;; amdgpu-corpus repo=pytorch/pytorch kind=compiled arch=gfx1100 opt=O3
	.text
	.amdgcn_target "amdgcn-amd-amdhsa--gfx1100"
	.amdhsa_code_object_version 6
	.protected	_ZN2at6native28amp_update_scale_cuda_kernelEPfPiPKfddi ; -- Begin function _ZN2at6native28amp_update_scale_cuda_kernelEPfPiPKfddi
	.globl	_ZN2at6native28amp_update_scale_cuda_kernelEPfPiPKfddi
	.p2align	8
	.type	_ZN2at6native28amp_update_scale_cuda_kernelEPfPiPKfddi,@function
_ZN2at6native28amp_update_scale_cuda_kernelEPfPiPKfddi: ; @_ZN2at6native28amp_update_scale_cuda_kernelEPfPiPKfddi
; %bb.0:
	s_load_b256 s[4:11], s[0:1], 0x0
	s_waitcnt lgkmcnt(0)
	s_load_b32 s8, s[8:9], 0x0
	s_load_b64 s[2:3], s[0:1], 0x20
	s_waitcnt lgkmcnt(0)
	v_cmp_eq_f32_e64 s8, s8, 0
	s_delay_alu instid0(VALU_DEP_1)
	s_and_b32 vcc_lo, exec_lo, s8
	s_mov_b32 s8, 0
	s_cbranch_vccz .LBB0_3
; %bb.1:
	s_load_b32 s8, s[6:7], 0x0
	s_load_b32 s1, s[0:1], 0x28
	s_waitcnt lgkmcnt(0)
	s_add_i32 s0, s8, 1
	s_delay_alu instid0(SALU_CYCLE_1)
	s_cmp_eq_u32 s0, s1
	s_mov_b32 s1, 0
	s_cbranch_scc0 .LBB0_8
; %bb.2:
	s_load_b32 s0, s[4:5], 0x0
	s_waitcnt lgkmcnt(0)
	v_cvt_f64_f32_e32 v[0:1], s0
	s_mov_b32 s0, 0
	s_delay_alu instid0(VALU_DEP_1) | instskip(NEXT) | instid1(VALU_DEP_1)
	v_mul_f64 v[0:1], v[0:1], s[10:11]
	v_cvt_f32_f64_e32 v0, v[0:1]
	s_delay_alu instid0(VALU_DEP_1)
	v_cmp_class_f32_e64 s8, v0, 0x1f8
	s_and_b32 vcc_lo, exec_lo, s1
	s_cbranch_vccnz .LBB0_4
	s_branch .LBB0_5
.LBB0_3:
                                        ; implicit-def: $vgpr0
                                        ; implicit-def: $sgpr0
	s_cbranch_execz .LBB0_5
.LBB0_4:
	s_load_b32 s0, s[4:5], 0x0
	s_mov_b32 s8, -1
	s_waitcnt lgkmcnt(0)
	v_cvt_f64_f32_e32 v[0:1], s0
                                        ; implicit-def: $sgpr0
	s_delay_alu instid0(VALU_DEP_1) | instskip(NEXT) | instid1(VALU_DEP_1)
	v_mul_f64 v[0:1], v[0:1], s[2:3]
	v_cvt_f32_f64_e32 v0, v[0:1]
.LBB0_5:
	s_delay_alu instid0(VALU_DEP_1)
	s_and_not1_b32 vcc_lo, exec_lo, s8
	s_cbranch_vccz .LBB0_7
; %bb.6:
	v_dual_mov_b32 v0, 0 :: v_dual_mov_b32 v1, s0
	global_store_b32 v0, v1, s[6:7]
	s_nop 0
	s_sendmsg sendmsg(MSG_DEALLOC_VGPRS)
	s_endpgm
.LBB0_7:
	v_mov_b32_e32 v1, 0
	s_mov_b32 s0, 0
	global_store_b32 v1, v0, s[4:5]
	v_dual_mov_b32 v0, 0 :: v_dual_mov_b32 v1, s0
	global_store_b32 v0, v1, s[6:7]
	s_nop 0
	s_sendmsg sendmsg(MSG_DEALLOC_VGPRS)
	s_endpgm
.LBB0_8:
	s_mov_b32 s8, 0
                                        ; implicit-def: $vgpr0
	s_and_b32 vcc_lo, exec_lo, s1
	s_cbranch_vccnz .LBB0_4
	s_branch .LBB0_5
	.section	.rodata,"a",@progbits
	.p2align	6, 0x0
	.amdhsa_kernel _ZN2at6native28amp_update_scale_cuda_kernelEPfPiPKfddi
		.amdhsa_group_segment_fixed_size 0
		.amdhsa_private_segment_fixed_size 0
		.amdhsa_kernarg_size 44
		.amdhsa_user_sgpr_count 15
		.amdhsa_user_sgpr_dispatch_ptr 0
		.amdhsa_user_sgpr_queue_ptr 0
		.amdhsa_user_sgpr_kernarg_segment_ptr 1
		.amdhsa_user_sgpr_dispatch_id 0
		.amdhsa_user_sgpr_private_segment_size 0
		.amdhsa_wavefront_size32 1
		.amdhsa_uses_dynamic_stack 0
		.amdhsa_enable_private_segment 0
		.amdhsa_system_sgpr_workgroup_id_x 1
		.amdhsa_system_sgpr_workgroup_id_y 0
		.amdhsa_system_sgpr_workgroup_id_z 0
		.amdhsa_system_sgpr_workgroup_info 0
		.amdhsa_system_vgpr_workitem_id 0
		.amdhsa_next_free_vgpr 2
		.amdhsa_next_free_sgpr 12
		.amdhsa_reserve_vcc 1
		.amdhsa_float_round_mode_32 0
		.amdhsa_float_round_mode_16_64 0
		.amdhsa_float_denorm_mode_32 3
		.amdhsa_float_denorm_mode_16_64 3
		.amdhsa_dx10_clamp 1
		.amdhsa_ieee_mode 1
		.amdhsa_fp16_overflow 0
		.amdhsa_workgroup_processor_mode 1
		.amdhsa_memory_ordered 1
		.amdhsa_forward_progress 0
		.amdhsa_shared_vgpr_count 0
		.amdhsa_exception_fp_ieee_invalid_op 0
		.amdhsa_exception_fp_denorm_src 0
		.amdhsa_exception_fp_ieee_div_zero 0
		.amdhsa_exception_fp_ieee_overflow 0
		.amdhsa_exception_fp_ieee_underflow 0
		.amdhsa_exception_fp_ieee_inexact 0
		.amdhsa_exception_int_div_zero 0
	.end_amdhsa_kernel
	.text
.Lfunc_end0:
	.size	_ZN2at6native28amp_update_scale_cuda_kernelEPfPiPKfddi, .Lfunc_end0-_ZN2at6native28amp_update_scale_cuda_kernelEPfPiPKfddi
                                        ; -- End function
	.section	.AMDGPU.csdata,"",@progbits
; Kernel info:
; codeLenInByte = 300
; NumSgprs: 14
; NumVgprs: 2
; ScratchSize: 0
; MemoryBound: 0
; FloatMode: 240
; IeeeMode: 1
; LDSByteSize: 0 bytes/workgroup (compile time only)
; SGPRBlocks: 1
; VGPRBlocks: 0
; NumSGPRsForWavesPerEU: 14
; NumVGPRsForWavesPerEU: 2
; Occupancy: 16
; WaveLimiterHint : 0
; COMPUTE_PGM_RSRC2:SCRATCH_EN: 0
; COMPUTE_PGM_RSRC2:USER_SGPR: 15
; COMPUTE_PGM_RSRC2:TRAP_HANDLER: 0
; COMPUTE_PGM_RSRC2:TGID_X_EN: 1
; COMPUTE_PGM_RSRC2:TGID_Y_EN: 0
; COMPUTE_PGM_RSRC2:TGID_Z_EN: 0
; COMPUTE_PGM_RSRC2:TIDIG_COMP_CNT: 0
	.section	.text._ZN2at6native29vectorized_elementwise_kernelILi16EZZZNS0_12_GLOBAL__N_139_amp_non_finite_check_and_unscale_cuda_ERNS_6TensorES4_RKS3_ENKUlvE_clEvENKUlvE_clEvEUldE_St5arrayIPcLm2EEEEviT0_T1_,"axG",@progbits,_ZN2at6native29vectorized_elementwise_kernelILi16EZZZNS0_12_GLOBAL__N_139_amp_non_finite_check_and_unscale_cuda_ERNS_6TensorES4_RKS3_ENKUlvE_clEvENKUlvE_clEvEUldE_St5arrayIPcLm2EEEEviT0_T1_,comdat
	.globl	_ZN2at6native29vectorized_elementwise_kernelILi16EZZZNS0_12_GLOBAL__N_139_amp_non_finite_check_and_unscale_cuda_ERNS_6TensorES4_RKS3_ENKUlvE_clEvENKUlvE_clEvEUldE_St5arrayIPcLm2EEEEviT0_T1_ ; -- Begin function _ZN2at6native29vectorized_elementwise_kernelILi16EZZZNS0_12_GLOBAL__N_139_amp_non_finite_check_and_unscale_cuda_ERNS_6TensorES4_RKS3_ENKUlvE_clEvENKUlvE_clEvEUldE_St5arrayIPcLm2EEEEviT0_T1_
	.p2align	8
	.type	_ZN2at6native29vectorized_elementwise_kernelILi16EZZZNS0_12_GLOBAL__N_139_amp_non_finite_check_and_unscale_cuda_ERNS_6TensorES4_RKS3_ENKUlvE_clEvENKUlvE_clEvEUldE_St5arrayIPcLm2EEEEviT0_T1_,@function
_ZN2at6native29vectorized_elementwise_kernelILi16EZZZNS0_12_GLOBAL__N_139_amp_non_finite_check_and_unscale_cuda_ERNS_6TensorES4_RKS3_ENKUlvE_clEvENKUlvE_clEvEUldE_St5arrayIPcLm2EEEEviT0_T1_: ; @_ZN2at6native29vectorized_elementwise_kernelILi16EZZZNS0_12_GLOBAL__N_139_amp_non_finite_check_and_unscale_cuda_ERNS_6TensorES4_RKS3_ENKUlvE_clEvENKUlvE_clEvEUldE_St5arrayIPcLm2EEEEviT0_T1_
; %bb.0:
	s_clause 0x1
	s_load_b32 s2, s[0:1], 0x0
	s_load_b256 s[4:11], s[0:1], 0x8
	s_lshl_b32 s12, s15, 10
	s_mov_b32 s0, -1
	s_waitcnt lgkmcnt(0)
	s_sub_i32 s3, s2, s12
	s_delay_alu instid0(SALU_CYCLE_1)
	s_cmpk_gt_i32 s3, 0x3ff
	s_cbranch_scc0 .LBB1_10
; %bb.1:
	s_ashr_i32 s13, s12, 31
	v_lshlrev_b32_e32 v17, 5, v0
	s_lshl_b64 s[14:15], s[12:13], 3
	v_mov_b32_e32 v9, 0
	s_add_u32 s0, s10, s14
	s_addc_u32 s1, s11, s15
	s_clause 0x1
	global_load_b128 v[5:8], v17, s[0:1]
	global_load_b128 v[1:4], v17, s[0:1] offset:16
	s_mov_b32 s0, exec_lo
	s_waitcnt vmcnt(1)
	v_cvt_f32_f64_e32 v10, v[5:6]
	s_delay_alu instid0(VALU_DEP_1)
	v_cmpx_nlg_f32_e64 0x7f800000, |v10|
	s_cbranch_execz .LBB1_3
; %bb.2:
	v_mov_b32_e32 v10, 1.0
	global_store_b32 v9, v10, s[4:5]
.LBB1_3:
	s_or_b32 exec_lo, exec_lo, s0
	global_load_b32 v18, v9, s[6:7]
	v_cvt_f32_f64_e32 v11, v[7:8]
	s_delay_alu instid0(VALU_DEP_1) | instskip(SKIP_3) | instid1(VALU_DEP_2)
	v_cmp_nlg_f32_e64 s1, 0x7f800000, |v11|
	s_waitcnt vmcnt(0)
	v_cvt_f64_f32_e32 v[9:10], v18
	v_mov_b32_e32 v19, v18
	v_dual_mov_b32 v12, v10 :: v_dual_mov_b32 v11, v9
	s_and_saveexec_b32 s0, s1
	s_cbranch_execz .LBB1_5
; %bb.4:
	v_dual_mov_b32 v11, 0 :: v_dual_mov_b32 v12, 1.0
	global_store_b32 v11, v12, s[4:5]
	global_load_b32 v19, v11, s[6:7]
	s_waitcnt vmcnt(0)
	v_cvt_f64_f32_e32 v[11:12], v19
.LBB1_5:
	s_or_b32 exec_lo, exec_lo, s0
	v_cvt_f32_f64_e32 v15, v[1:2]
	s_delay_alu instid0(VALU_DEP_2) | instskip(SKIP_2) | instid1(VALU_DEP_3)
	v_dual_mov_b32 v14, v12 :: v_dual_mov_b32 v13, v11
	v_mov_b32_e32 v20, v19
	s_mov_b32 s0, exec_lo
	v_cmpx_nlg_f32_e64 0x7f800000, |v15|
	s_cbranch_execz .LBB1_7
; %bb.6:
	v_dual_mov_b32 v13, 0 :: v_dual_mov_b32 v14, 1.0
	global_store_b32 v13, v14, s[4:5]
	global_load_b32 v20, v13, s[6:7]
	s_waitcnt vmcnt(0)
	v_cvt_f64_f32_e32 v[13:14], v20
.LBB1_7:
	s_or_b32 exec_lo, exec_lo, s0
	v_cvt_f32_f64_e32 v21, v[3:4]
	s_delay_alu instid0(VALU_DEP_2) | instskip(NEXT) | instid1(VALU_DEP_2)
	v_dual_mov_b32 v16, v14 :: v_dual_mov_b32 v15, v13
	v_cmp_nlg_f32_e64 s1, 0x7f800000, |v21|
	v_mov_b32_e32 v21, v20
	s_delay_alu instid0(VALU_DEP_2)
	s_and_saveexec_b32 s0, s1
	s_cbranch_execz .LBB1_9
; %bb.8:
	v_dual_mov_b32 v15, 0 :: v_dual_mov_b32 v16, 1.0
	global_store_b32 v15, v16, s[4:5]
	global_load_b32 v21, v15, s[6:7]
	s_waitcnt vmcnt(0)
	v_cvt_f64_f32_e32 v[15:16], v21
.LBB1_9:
	s_or_b32 exec_lo, exec_lo, s0
	v_mul_f64 v[11:12], v[7:8], v[11:12]
	v_mul_f64 v[9:10], v[5:6], v[9:10]
	;; [unrolled: 1-line block ×3, first 2 shown]
	s_delay_alu instid0(VALU_DEP_4)
	v_mul_f64 v[15:16], v[3:4], v[15:16]
	v_cmp_eq_f32_e64 s0, 1.0, v19
	v_cmp_eq_f32_e64 s1, 1.0, v18
	v_cmp_eq_f32_e32 vcc_lo, 1.0, v20
	v_cmp_eq_f32_e64 s2, 1.0, v21
	s_add_u32 s14, s8, s14
	s_addc_u32 s15, s9, s15
	v_cndmask_b32_e64 v8, v12, v8, s0
	v_cndmask_b32_e64 v7, v11, v7, s0
	;; [unrolled: 1-line block ×4, first 2 shown]
	v_dual_cndmask_b32 v2, v14, v2 :: v_dual_cndmask_b32 v1, v13, v1
	v_cndmask_b32_e64 v4, v16, v4, s2
	v_cndmask_b32_e64 v3, v15, v3, s2
	s_mov_b32 s0, 0
	s_clause 0x1
	global_store_b128 v17, v[5:8], s[14:15]
	global_store_b128 v17, v[1:4], s[14:15] offset:16
.LBB1_10:
	s_and_b32 vcc_lo, exec_lo, s0
	s_cbranch_vccz .LBB1_37
; %bb.11:
	v_dual_mov_b32 v12, 0 :: v_dual_mov_b32 v1, v0
	v_mov_b32_e32 v13, 0
	v_cmp_gt_i32_e32 vcc_lo, s3, v0
	v_or_b32_e32 v9, s12, v0
	v_or_b32_e32 v18, 0x100, v0
	s_delay_alu instid0(VALU_DEP_4)
	v_dual_mov_b32 v17, v13 :: v_dual_mov_b32 v16, v12
	s_and_saveexec_b32 s1, vcc_lo
	s_cbranch_execz .LBB1_13
; %bb.12:
	v_mov_b32_e32 v10, 0
	s_delay_alu instid0(VALU_DEP_1) | instskip(NEXT) | instid1(VALU_DEP_1)
	v_lshlrev_b64 v[1:2], 3, v[9:10]
	v_add_co_u32 v1, s0, s10, v1
	s_delay_alu instid0(VALU_DEP_1)
	v_add_co_ci_u32_e64 v2, s0, s11, v2, s0
	global_load_b64 v[16:17], v[1:2], off
	v_or_b32_e32 v1, 0x100, v0
.LBB1_13:
	s_or_b32 exec_lo, exec_lo, s1
	s_delay_alu instid0(SALU_CYCLE_1) | instskip(NEXT) | instid1(VALU_DEP_1)
	s_mov_b32 s1, exec_lo
	v_cmpx_gt_i32_e64 s3, v1
	s_cbranch_execz .LBB1_15
; %bb.14:
	v_dual_mov_b32 v3, 0 :: v_dual_add_nc_u32 v2, s12, v1
	v_add_nc_u32_e32 v1, 0x100, v1
	s_delay_alu instid0(VALU_DEP_2) | instskip(NEXT) | instid1(VALU_DEP_1)
	v_lshlrev_b64 v[2:3], 3, v[2:3]
	v_add_co_u32 v2, s0, s10, v2
	s_delay_alu instid0(VALU_DEP_1)
	v_add_co_ci_u32_e64 v3, s0, s11, v3, s0
	global_load_b64 v[12:13], v[2:3], off
.LBB1_15:
	s_or_b32 exec_lo, exec_lo, s1
	v_mov_b32_e32 v10, 0
	v_mov_b32_e32 v11, 0
	s_mov_b32 s1, exec_lo
	s_delay_alu instid0(VALU_DEP_1)
	v_dual_mov_b32 v15, v11 :: v_dual_mov_b32 v14, v10
	v_cmpx_gt_i32_e64 s3, v1
	s_cbranch_execnz .LBB1_19
; %bb.16:
	s_or_b32 exec_lo, exec_lo, s1
	s_delay_alu instid0(SALU_CYCLE_1)
	s_mov_b32 s1, exec_lo
	v_cmpx_gt_i32_e64 s3, v1
	s_cbranch_execnz .LBB1_20
.LBB1_17:
	s_or_b32 exec_lo, exec_lo, s1
                                        ; implicit-def: $vgpr1_vgpr2_vgpr3_vgpr4_vgpr5_vgpr6_vgpr7_vgpr8
	s_and_saveexec_b32 s1, vcc_lo
	s_cbranch_execnz .LBB1_21
.LBB1_18:
	s_or_b32 exec_lo, exec_lo, s1
	s_delay_alu instid0(SALU_CYCLE_1)
	s_mov_b32 s1, exec_lo
	v_cmpx_gt_i32_e64 s3, v18
	s_cbranch_execnz .LBB1_24
	s_branch .LBB1_27
.LBB1_19:
	v_dual_mov_b32 v3, 0 :: v_dual_add_nc_u32 v2, s12, v1
	v_add_nc_u32_e32 v1, 0x100, v1
	s_delay_alu instid0(VALU_DEP_2) | instskip(NEXT) | instid1(VALU_DEP_1)
	v_lshlrev_b64 v[2:3], 3, v[2:3]
	v_add_co_u32 v2, s0, s10, v2
	s_delay_alu instid0(VALU_DEP_1) | instskip(SKIP_2) | instid1(SALU_CYCLE_1)
	v_add_co_ci_u32_e64 v3, s0, s11, v3, s0
	global_load_b64 v[14:15], v[2:3], off
	s_or_b32 exec_lo, exec_lo, s1
	s_mov_b32 s1, exec_lo
	v_cmpx_gt_i32_e64 s3, v1
	s_cbranch_execz .LBB1_17
.LBB1_20:
	v_dual_mov_b32 v2, 0 :: v_dual_add_nc_u32 v1, s12, v1
	s_delay_alu instid0(VALU_DEP_1) | instskip(NEXT) | instid1(VALU_DEP_1)
	v_lshlrev_b64 v[1:2], 3, v[1:2]
	v_add_co_u32 v1, s0, s10, v1
	s_delay_alu instid0(VALU_DEP_1)
	v_add_co_ci_u32_e64 v2, s0, s11, v2, s0
	global_load_b64 v[10:11], v[1:2], off
	s_or_b32 exec_lo, exec_lo, s1
                                        ; implicit-def: $vgpr1_vgpr2_vgpr3_vgpr4_vgpr5_vgpr6_vgpr7_vgpr8
	s_and_saveexec_b32 s1, vcc_lo
	s_cbranch_execz .LBB1_18
.LBB1_21:
	s_waitcnt vmcnt(0)
	v_cvt_f32_f64_e32 v1, v[16:17]
	s_mov_b32 s0, exec_lo
	s_delay_alu instid0(VALU_DEP_1)
	v_cmpx_nlg_f32_e64 0x7f800000, |v1|
	s_cbranch_execz .LBB1_23
; %bb.22:
	v_dual_mov_b32 v1, 0 :: v_dual_mov_b32 v2, 1.0
	global_store_b32 v1, v2, s[4:5]
.LBB1_23:
	s_or_b32 exec_lo, exec_lo, s0
	v_mov_b32_e32 v1, 0
	global_load_b32 v3, v1, s[6:7]
	s_waitcnt vmcnt(0)
	v_cvt_f64_f32_e32 v[1:2], v3
	v_cmp_eq_f32_e64 s0, 1.0, v3
	s_delay_alu instid0(VALU_DEP_2) | instskip(NEXT) | instid1(VALU_DEP_1)
	v_mul_f64 v[1:2], v[16:17], v[1:2]
	v_cndmask_b32_e64 v2, v2, v17, s0
	s_delay_alu instid0(VALU_DEP_2) | instskip(SKIP_1) | instid1(SALU_CYCLE_1)
	v_cndmask_b32_e64 v1, v1, v16, s0
	s_or_b32 exec_lo, exec_lo, s1
	s_mov_b32 s1, exec_lo
	v_cmpx_gt_i32_e64 s3, v18
	s_cbranch_execz .LBB1_27
.LBB1_24:
	s_waitcnt vmcnt(0)
	v_cvt_f32_f64_e32 v3, v[12:13]
	s_mov_b32 s0, exec_lo
	s_delay_alu instid0(VALU_DEP_1)
	v_cmpx_nlg_f32_e64 0x7f800000, |v3|
	s_cbranch_execz .LBB1_26
; %bb.25:
	v_dual_mov_b32 v3, 0 :: v_dual_mov_b32 v4, 1.0
	global_store_b32 v3, v4, s[4:5]
.LBB1_26:
	s_or_b32 exec_lo, exec_lo, s0
	v_mov_b32_e32 v3, 0
	global_load_b32 v16, v3, s[6:7]
	s_waitcnt vmcnt(0)
	v_cvt_f64_f32_e32 v[3:4], v16
	v_cmp_eq_f32_e64 s0, 1.0, v16
	s_delay_alu instid0(VALU_DEP_2) | instskip(NEXT) | instid1(VALU_DEP_1)
	v_mul_f64 v[3:4], v[12:13], v[3:4]
	v_cndmask_b32_e64 v4, v4, v13, s0
	s_delay_alu instid0(VALU_DEP_2)
	v_cndmask_b32_e64 v3, v3, v12, s0
.LBB1_27:
	s_or_b32 exec_lo, exec_lo, s1
	s_waitcnt vmcnt(0)
	v_or_b32_e32 v12, 0x200, v0
	s_mov_b32 s1, exec_lo
	s_delay_alu instid0(VALU_DEP_1)
	v_cmpx_gt_i32_e64 s3, v12
	s_cbranch_execz .LBB1_31
; %bb.28:
	v_cvt_f32_f64_e32 v5, v[14:15]
	s_mov_b32 s0, exec_lo
	s_delay_alu instid0(VALU_DEP_1)
	v_cmpx_nlg_f32_e64 0x7f800000, |v5|
	s_cbranch_execz .LBB1_30
; %bb.29:
	v_dual_mov_b32 v5, 0 :: v_dual_mov_b32 v6, 1.0
	global_store_b32 v5, v6, s[4:5]
.LBB1_30:
	s_or_b32 exec_lo, exec_lo, s0
	v_mov_b32_e32 v5, 0
	global_load_b32 v12, v5, s[6:7]
	s_waitcnt vmcnt(0)
	v_cvt_f64_f32_e32 v[5:6], v12
	v_cmp_eq_f32_e64 s0, 1.0, v12
	s_delay_alu instid0(VALU_DEP_2) | instskip(NEXT) | instid1(VALU_DEP_1)
	v_mul_f64 v[5:6], v[14:15], v[5:6]
	v_cndmask_b32_e64 v6, v6, v15, s0
	s_delay_alu instid0(VALU_DEP_2)
	v_cndmask_b32_e64 v5, v5, v14, s0
.LBB1_31:
	s_or_b32 exec_lo, exec_lo, s1
	v_or_b32_e32 v12, 0x300, v0
	s_mov_b32 s1, exec_lo
	s_delay_alu instid0(VALU_DEP_1)
	v_cmpx_gt_i32_e64 s3, v12
	s_cbranch_execnz .LBB1_38
; %bb.32:
	s_or_b32 exec_lo, exec_lo, s1
	s_and_saveexec_b32 s0, vcc_lo
	s_delay_alu instid0(SALU_CYCLE_1)
	s_xor_b32 s0, exec_lo, s0
	s_cbranch_execnz .LBB1_41
.LBB1_33:
	s_or_b32 exec_lo, exec_lo, s0
	s_delay_alu instid0(SALU_CYCLE_1)
	s_mov_b32 s0, exec_lo
	v_cmpx_gt_i32_e64 s3, v0
	s_cbranch_execnz .LBB1_42
.LBB1_34:
	s_or_b32 exec_lo, exec_lo, s0
	s_delay_alu instid0(SALU_CYCLE_1)
	s_mov_b32 s0, exec_lo
	v_cmpx_gt_i32_e64 s3, v0
	s_cbranch_execnz .LBB1_43
.LBB1_35:
	s_or_b32 exec_lo, exec_lo, s0
	s_delay_alu instid0(SALU_CYCLE_1)
	s_mov_b32 s0, exec_lo
	v_cmpx_gt_i32_e64 s3, v0
	s_cbranch_execz .LBB1_37
.LBB1_36:
	v_dual_mov_b32 v1, 0 :: v_dual_add_nc_u32 v0, s12, v0
	s_delay_alu instid0(VALU_DEP_1) | instskip(NEXT) | instid1(VALU_DEP_1)
	v_lshlrev_b64 v[0:1], 3, v[0:1]
	v_add_co_u32 v0, vcc_lo, s8, v0
	s_delay_alu instid0(VALU_DEP_2)
	v_add_co_ci_u32_e32 v1, vcc_lo, s9, v1, vcc_lo
	global_store_b64 v[0:1], v[7:8], off
.LBB1_37:
	s_nop 0
	s_sendmsg sendmsg(MSG_DEALLOC_VGPRS)
	s_endpgm
.LBB1_38:
	v_cvt_f32_f64_e32 v7, v[10:11]
	s_mov_b32 s0, exec_lo
	s_delay_alu instid0(VALU_DEP_1)
	v_cmpx_nlg_f32_e64 0x7f800000, |v7|
	s_cbranch_execz .LBB1_40
; %bb.39:
	v_dual_mov_b32 v7, 0 :: v_dual_mov_b32 v8, 1.0
	global_store_b32 v7, v8, s[4:5]
.LBB1_40:
	s_or_b32 exec_lo, exec_lo, s0
	v_mov_b32_e32 v7, 0
	global_load_b32 v12, v7, s[6:7]
	s_waitcnt vmcnt(0)
	v_cvt_f64_f32_e32 v[7:8], v12
	v_cmp_eq_f32_e64 s0, 1.0, v12
	s_delay_alu instid0(VALU_DEP_2) | instskip(NEXT) | instid1(VALU_DEP_1)
	v_mul_f64 v[7:8], v[10:11], v[7:8]
	v_cndmask_b32_e64 v8, v8, v11, s0
	s_delay_alu instid0(VALU_DEP_2) | instskip(SKIP_2) | instid1(SALU_CYCLE_1)
	v_cndmask_b32_e64 v7, v7, v10, s0
	s_or_b32 exec_lo, exec_lo, s1
	s_and_saveexec_b32 s0, vcc_lo
	s_xor_b32 s0, exec_lo, s0
	s_cbranch_execz .LBB1_33
.LBB1_41:
	v_mov_b32_e32 v10, 0
	v_mov_b32_e32 v0, v18
	s_delay_alu instid0(VALU_DEP_2) | instskip(NEXT) | instid1(VALU_DEP_1)
	v_lshlrev_b64 v[9:10], 3, v[9:10]
	v_add_co_u32 v9, vcc_lo, s8, v9
	s_delay_alu instid0(VALU_DEP_2) | instskip(SKIP_2) | instid1(SALU_CYCLE_1)
	v_add_co_ci_u32_e32 v10, vcc_lo, s9, v10, vcc_lo
	global_store_b64 v[9:10], v[1:2], off
	s_or_b32 exec_lo, exec_lo, s0
	s_mov_b32 s0, exec_lo
	v_cmpx_gt_i32_e64 s3, v0
	s_cbranch_execz .LBB1_34
.LBB1_42:
	v_dual_mov_b32 v2, 0 :: v_dual_add_nc_u32 v1, s12, v0
	v_add_nc_u32_e32 v0, 0x100, v0
	s_delay_alu instid0(VALU_DEP_2) | instskip(NEXT) | instid1(VALU_DEP_1)
	v_lshlrev_b64 v[1:2], 3, v[1:2]
	v_add_co_u32 v1, vcc_lo, s8, v1
	s_delay_alu instid0(VALU_DEP_2) | instskip(SKIP_2) | instid1(SALU_CYCLE_1)
	v_add_co_ci_u32_e32 v2, vcc_lo, s9, v2, vcc_lo
	global_store_b64 v[1:2], v[3:4], off
	s_or_b32 exec_lo, exec_lo, s0
	s_mov_b32 s0, exec_lo
	v_cmpx_gt_i32_e64 s3, v0
	s_cbranch_execz .LBB1_35
.LBB1_43:
	v_dual_mov_b32 v2, 0 :: v_dual_add_nc_u32 v1, s12, v0
	v_add_nc_u32_e32 v0, 0x100, v0
	s_delay_alu instid0(VALU_DEP_2) | instskip(NEXT) | instid1(VALU_DEP_1)
	v_lshlrev_b64 v[1:2], 3, v[1:2]
	v_add_co_u32 v1, vcc_lo, s8, v1
	s_delay_alu instid0(VALU_DEP_2) | instskip(SKIP_2) | instid1(SALU_CYCLE_1)
	v_add_co_ci_u32_e32 v2, vcc_lo, s9, v2, vcc_lo
	global_store_b64 v[1:2], v[5:6], off
	s_or_b32 exec_lo, exec_lo, s0
	s_mov_b32 s0, exec_lo
	v_cmpx_gt_i32_e64 s3, v0
	s_cbranch_execnz .LBB1_36
	s_branch .LBB1_37
	.section	.rodata,"a",@progbits
	.p2align	6, 0x0
	.amdhsa_kernel _ZN2at6native29vectorized_elementwise_kernelILi16EZZZNS0_12_GLOBAL__N_139_amp_non_finite_check_and_unscale_cuda_ERNS_6TensorES4_RKS3_ENKUlvE_clEvENKUlvE_clEvEUldE_St5arrayIPcLm2EEEEviT0_T1_
		.amdhsa_group_segment_fixed_size 0
		.amdhsa_private_segment_fixed_size 0
		.amdhsa_kernarg_size 40
		.amdhsa_user_sgpr_count 15
		.amdhsa_user_sgpr_dispatch_ptr 0
		.amdhsa_user_sgpr_queue_ptr 0
		.amdhsa_user_sgpr_kernarg_segment_ptr 1
		.amdhsa_user_sgpr_dispatch_id 0
		.amdhsa_user_sgpr_private_segment_size 0
		.amdhsa_wavefront_size32 1
		.amdhsa_uses_dynamic_stack 0
		.amdhsa_enable_private_segment 0
		.amdhsa_system_sgpr_workgroup_id_x 1
		.amdhsa_system_sgpr_workgroup_id_y 0
		.amdhsa_system_sgpr_workgroup_id_z 0
		.amdhsa_system_sgpr_workgroup_info 0
		.amdhsa_system_vgpr_workitem_id 0
		.amdhsa_next_free_vgpr 22
		.amdhsa_next_free_sgpr 16
		.amdhsa_reserve_vcc 1
		.amdhsa_float_round_mode_32 0
		.amdhsa_float_round_mode_16_64 0
		.amdhsa_float_denorm_mode_32 3
		.amdhsa_float_denorm_mode_16_64 3
		.amdhsa_dx10_clamp 1
		.amdhsa_ieee_mode 1
		.amdhsa_fp16_overflow 0
		.amdhsa_workgroup_processor_mode 1
		.amdhsa_memory_ordered 1
		.amdhsa_forward_progress 0
		.amdhsa_shared_vgpr_count 0
		.amdhsa_exception_fp_ieee_invalid_op 0
		.amdhsa_exception_fp_denorm_src 0
		.amdhsa_exception_fp_ieee_div_zero 0
		.amdhsa_exception_fp_ieee_overflow 0
		.amdhsa_exception_fp_ieee_underflow 0
		.amdhsa_exception_fp_ieee_inexact 0
		.amdhsa_exception_int_div_zero 0
	.end_amdhsa_kernel
	.section	.text._ZN2at6native29vectorized_elementwise_kernelILi16EZZZNS0_12_GLOBAL__N_139_amp_non_finite_check_and_unscale_cuda_ERNS_6TensorES4_RKS3_ENKUlvE_clEvENKUlvE_clEvEUldE_St5arrayIPcLm2EEEEviT0_T1_,"axG",@progbits,_ZN2at6native29vectorized_elementwise_kernelILi16EZZZNS0_12_GLOBAL__N_139_amp_non_finite_check_and_unscale_cuda_ERNS_6TensorES4_RKS3_ENKUlvE_clEvENKUlvE_clEvEUldE_St5arrayIPcLm2EEEEviT0_T1_,comdat
.Lfunc_end1:
	.size	_ZN2at6native29vectorized_elementwise_kernelILi16EZZZNS0_12_GLOBAL__N_139_amp_non_finite_check_and_unscale_cuda_ERNS_6TensorES4_RKS3_ENKUlvE_clEvENKUlvE_clEvEUldE_St5arrayIPcLm2EEEEviT0_T1_, .Lfunc_end1-_ZN2at6native29vectorized_elementwise_kernelILi16EZZZNS0_12_GLOBAL__N_139_amp_non_finite_check_and_unscale_cuda_ERNS_6TensorES4_RKS3_ENKUlvE_clEvENKUlvE_clEvEUldE_St5arrayIPcLm2EEEEviT0_T1_
                                        ; -- End function
	.section	.AMDGPU.csdata,"",@progbits
; Kernel info:
; codeLenInByte = 1872
; NumSgprs: 18
; NumVgprs: 22
; ScratchSize: 0
; MemoryBound: 1
; FloatMode: 240
; IeeeMode: 1
; LDSByteSize: 0 bytes/workgroup (compile time only)
; SGPRBlocks: 2
; VGPRBlocks: 2
; NumSGPRsForWavesPerEU: 18
; NumVGPRsForWavesPerEU: 22
; Occupancy: 16
; WaveLimiterHint : 0
; COMPUTE_PGM_RSRC2:SCRATCH_EN: 0
; COMPUTE_PGM_RSRC2:USER_SGPR: 15
; COMPUTE_PGM_RSRC2:TRAP_HANDLER: 0
; COMPUTE_PGM_RSRC2:TGID_X_EN: 1
; COMPUTE_PGM_RSRC2:TGID_Y_EN: 0
; COMPUTE_PGM_RSRC2:TGID_Z_EN: 0
; COMPUTE_PGM_RSRC2:TIDIG_COMP_CNT: 0
	.section	.text._ZN2at6native29vectorized_elementwise_kernelILi8EZZZNS0_12_GLOBAL__N_139_amp_non_finite_check_and_unscale_cuda_ERNS_6TensorES4_RKS3_ENKUlvE_clEvENKUlvE_clEvEUldE_St5arrayIPcLm2EEEEviT0_T1_,"axG",@progbits,_ZN2at6native29vectorized_elementwise_kernelILi8EZZZNS0_12_GLOBAL__N_139_amp_non_finite_check_and_unscale_cuda_ERNS_6TensorES4_RKS3_ENKUlvE_clEvENKUlvE_clEvEUldE_St5arrayIPcLm2EEEEviT0_T1_,comdat
	.globl	_ZN2at6native29vectorized_elementwise_kernelILi8EZZZNS0_12_GLOBAL__N_139_amp_non_finite_check_and_unscale_cuda_ERNS_6TensorES4_RKS3_ENKUlvE_clEvENKUlvE_clEvEUldE_St5arrayIPcLm2EEEEviT0_T1_ ; -- Begin function _ZN2at6native29vectorized_elementwise_kernelILi8EZZZNS0_12_GLOBAL__N_139_amp_non_finite_check_and_unscale_cuda_ERNS_6TensorES4_RKS3_ENKUlvE_clEvENKUlvE_clEvEUldE_St5arrayIPcLm2EEEEviT0_T1_
	.p2align	8
	.type	_ZN2at6native29vectorized_elementwise_kernelILi8EZZZNS0_12_GLOBAL__N_139_amp_non_finite_check_and_unscale_cuda_ERNS_6TensorES4_RKS3_ENKUlvE_clEvENKUlvE_clEvEUldE_St5arrayIPcLm2EEEEviT0_T1_,@function
_ZN2at6native29vectorized_elementwise_kernelILi8EZZZNS0_12_GLOBAL__N_139_amp_non_finite_check_and_unscale_cuda_ERNS_6TensorES4_RKS3_ENKUlvE_clEvENKUlvE_clEvEUldE_St5arrayIPcLm2EEEEviT0_T1_: ; @_ZN2at6native29vectorized_elementwise_kernelILi8EZZZNS0_12_GLOBAL__N_139_amp_non_finite_check_and_unscale_cuda_ERNS_6TensorES4_RKS3_ENKUlvE_clEvENKUlvE_clEvEUldE_St5arrayIPcLm2EEEEviT0_T1_
; %bb.0:
	s_clause 0x1
	s_load_b32 s2, s[0:1], 0x0
	s_load_b256 s[4:11], s[0:1], 0x8
	s_lshl_b32 s12, s15, 10
	s_mov_b32 s0, -1
	s_waitcnt lgkmcnt(0)
	s_sub_i32 s3, s2, s12
	s_delay_alu instid0(SALU_CYCLE_1)
	s_cmpk_gt_i32 s3, 0x3ff
	s_cbranch_scc0 .LBB2_10
; %bb.1:
	s_ashr_i32 s13, s12, 31
	v_lshlrev_b32_e32 v17, 5, v0
	s_lshl_b64 s[14:15], s[12:13], 3
	v_mov_b32_e32 v9, 0
	s_add_u32 s0, s10, s14
	s_addc_u32 s1, s11, s15
	s_clause 0x1
	global_load_b128 v[5:8], v17, s[0:1]
	global_load_b128 v[1:4], v17, s[0:1] offset:16
	s_mov_b32 s0, exec_lo
	s_waitcnt vmcnt(1)
	v_cvt_f32_f64_e32 v10, v[5:6]
	s_delay_alu instid0(VALU_DEP_1)
	v_cmpx_nlg_f32_e64 0x7f800000, |v10|
	s_cbranch_execz .LBB2_3
; %bb.2:
	v_mov_b32_e32 v10, 1.0
	global_store_b32 v9, v10, s[4:5]
.LBB2_3:
	s_or_b32 exec_lo, exec_lo, s0
	global_load_b32 v18, v9, s[6:7]
	v_cvt_f32_f64_e32 v11, v[7:8]
	s_delay_alu instid0(VALU_DEP_1) | instskip(SKIP_3) | instid1(VALU_DEP_2)
	v_cmp_nlg_f32_e64 s1, 0x7f800000, |v11|
	s_waitcnt vmcnt(0)
	v_cvt_f64_f32_e32 v[9:10], v18
	v_mov_b32_e32 v19, v18
	v_dual_mov_b32 v12, v10 :: v_dual_mov_b32 v11, v9
	s_and_saveexec_b32 s0, s1
	s_cbranch_execz .LBB2_5
; %bb.4:
	v_dual_mov_b32 v11, 0 :: v_dual_mov_b32 v12, 1.0
	global_store_b32 v11, v12, s[4:5]
	global_load_b32 v19, v11, s[6:7]
	s_waitcnt vmcnt(0)
	v_cvt_f64_f32_e32 v[11:12], v19
.LBB2_5:
	s_or_b32 exec_lo, exec_lo, s0
	v_cvt_f32_f64_e32 v15, v[1:2]
	s_delay_alu instid0(VALU_DEP_2) | instskip(SKIP_2) | instid1(VALU_DEP_3)
	v_dual_mov_b32 v14, v12 :: v_dual_mov_b32 v13, v11
	v_mov_b32_e32 v20, v19
	s_mov_b32 s0, exec_lo
	v_cmpx_nlg_f32_e64 0x7f800000, |v15|
	s_cbranch_execz .LBB2_7
; %bb.6:
	v_dual_mov_b32 v13, 0 :: v_dual_mov_b32 v14, 1.0
	global_store_b32 v13, v14, s[4:5]
	global_load_b32 v20, v13, s[6:7]
	s_waitcnt vmcnt(0)
	v_cvt_f64_f32_e32 v[13:14], v20
.LBB2_7:
	s_or_b32 exec_lo, exec_lo, s0
	v_cvt_f32_f64_e32 v21, v[3:4]
	s_delay_alu instid0(VALU_DEP_2) | instskip(NEXT) | instid1(VALU_DEP_2)
	v_dual_mov_b32 v16, v14 :: v_dual_mov_b32 v15, v13
	v_cmp_nlg_f32_e64 s1, 0x7f800000, |v21|
	v_mov_b32_e32 v21, v20
	s_delay_alu instid0(VALU_DEP_2)
	s_and_saveexec_b32 s0, s1
	s_cbranch_execz .LBB2_9
; %bb.8:
	v_dual_mov_b32 v15, 0 :: v_dual_mov_b32 v16, 1.0
	global_store_b32 v15, v16, s[4:5]
	global_load_b32 v21, v15, s[6:7]
	s_waitcnt vmcnt(0)
	v_cvt_f64_f32_e32 v[15:16], v21
.LBB2_9:
	s_or_b32 exec_lo, exec_lo, s0
	v_mul_f64 v[11:12], v[7:8], v[11:12]
	v_mul_f64 v[9:10], v[5:6], v[9:10]
	;; [unrolled: 1-line block ×3, first 2 shown]
	s_delay_alu instid0(VALU_DEP_4)
	v_mul_f64 v[15:16], v[3:4], v[15:16]
	v_cmp_eq_f32_e64 s0, 1.0, v19
	v_cmp_eq_f32_e64 s1, 1.0, v18
	v_cmp_eq_f32_e32 vcc_lo, 1.0, v20
	v_cmp_eq_f32_e64 s2, 1.0, v21
	s_add_u32 s14, s8, s14
	s_addc_u32 s15, s9, s15
	v_cndmask_b32_e64 v8, v12, v8, s0
	v_cndmask_b32_e64 v7, v11, v7, s0
	;; [unrolled: 1-line block ×4, first 2 shown]
	v_dual_cndmask_b32 v2, v14, v2 :: v_dual_cndmask_b32 v1, v13, v1
	v_cndmask_b32_e64 v4, v16, v4, s2
	v_cndmask_b32_e64 v3, v15, v3, s2
	s_mov_b32 s0, 0
	s_clause 0x1
	global_store_b128 v17, v[5:8], s[14:15]
	global_store_b128 v17, v[1:4], s[14:15] offset:16
.LBB2_10:
	s_and_b32 vcc_lo, exec_lo, s0
	s_cbranch_vccz .LBB2_37
; %bb.11:
	v_dual_mov_b32 v12, 0 :: v_dual_mov_b32 v1, v0
	v_mov_b32_e32 v13, 0
	v_cmp_gt_i32_e32 vcc_lo, s3, v0
	v_or_b32_e32 v9, s12, v0
	v_or_b32_e32 v18, 0x100, v0
	s_delay_alu instid0(VALU_DEP_4)
	v_dual_mov_b32 v17, v13 :: v_dual_mov_b32 v16, v12
	s_and_saveexec_b32 s1, vcc_lo
	s_cbranch_execz .LBB2_13
; %bb.12:
	v_mov_b32_e32 v10, 0
	s_delay_alu instid0(VALU_DEP_1) | instskip(NEXT) | instid1(VALU_DEP_1)
	v_lshlrev_b64 v[1:2], 3, v[9:10]
	v_add_co_u32 v1, s0, s10, v1
	s_delay_alu instid0(VALU_DEP_1)
	v_add_co_ci_u32_e64 v2, s0, s11, v2, s0
	global_load_b64 v[16:17], v[1:2], off
	v_or_b32_e32 v1, 0x100, v0
.LBB2_13:
	s_or_b32 exec_lo, exec_lo, s1
	s_delay_alu instid0(SALU_CYCLE_1) | instskip(NEXT) | instid1(VALU_DEP_1)
	s_mov_b32 s1, exec_lo
	v_cmpx_gt_i32_e64 s3, v1
	s_cbranch_execz .LBB2_15
; %bb.14:
	v_dual_mov_b32 v3, 0 :: v_dual_add_nc_u32 v2, s12, v1
	v_add_nc_u32_e32 v1, 0x100, v1
	s_delay_alu instid0(VALU_DEP_2) | instskip(NEXT) | instid1(VALU_DEP_1)
	v_lshlrev_b64 v[2:3], 3, v[2:3]
	v_add_co_u32 v2, s0, s10, v2
	s_delay_alu instid0(VALU_DEP_1)
	v_add_co_ci_u32_e64 v3, s0, s11, v3, s0
	global_load_b64 v[12:13], v[2:3], off
.LBB2_15:
	s_or_b32 exec_lo, exec_lo, s1
	v_mov_b32_e32 v10, 0
	v_mov_b32_e32 v11, 0
	s_mov_b32 s1, exec_lo
	s_delay_alu instid0(VALU_DEP_1)
	v_dual_mov_b32 v15, v11 :: v_dual_mov_b32 v14, v10
	v_cmpx_gt_i32_e64 s3, v1
	s_cbranch_execnz .LBB2_19
; %bb.16:
	s_or_b32 exec_lo, exec_lo, s1
	s_delay_alu instid0(SALU_CYCLE_1)
	s_mov_b32 s1, exec_lo
	v_cmpx_gt_i32_e64 s3, v1
	s_cbranch_execnz .LBB2_20
.LBB2_17:
	s_or_b32 exec_lo, exec_lo, s1
                                        ; implicit-def: $vgpr1_vgpr2_vgpr3_vgpr4_vgpr5_vgpr6_vgpr7_vgpr8
	s_and_saveexec_b32 s1, vcc_lo
	s_cbranch_execnz .LBB2_21
.LBB2_18:
	s_or_b32 exec_lo, exec_lo, s1
	s_delay_alu instid0(SALU_CYCLE_1)
	s_mov_b32 s1, exec_lo
	v_cmpx_gt_i32_e64 s3, v18
	s_cbranch_execnz .LBB2_24
	s_branch .LBB2_27
.LBB2_19:
	v_dual_mov_b32 v3, 0 :: v_dual_add_nc_u32 v2, s12, v1
	v_add_nc_u32_e32 v1, 0x100, v1
	s_delay_alu instid0(VALU_DEP_2) | instskip(NEXT) | instid1(VALU_DEP_1)
	v_lshlrev_b64 v[2:3], 3, v[2:3]
	v_add_co_u32 v2, s0, s10, v2
	s_delay_alu instid0(VALU_DEP_1) | instskip(SKIP_2) | instid1(SALU_CYCLE_1)
	v_add_co_ci_u32_e64 v3, s0, s11, v3, s0
	global_load_b64 v[14:15], v[2:3], off
	s_or_b32 exec_lo, exec_lo, s1
	s_mov_b32 s1, exec_lo
	v_cmpx_gt_i32_e64 s3, v1
	s_cbranch_execz .LBB2_17
.LBB2_20:
	v_dual_mov_b32 v2, 0 :: v_dual_add_nc_u32 v1, s12, v1
	s_delay_alu instid0(VALU_DEP_1) | instskip(NEXT) | instid1(VALU_DEP_1)
	v_lshlrev_b64 v[1:2], 3, v[1:2]
	v_add_co_u32 v1, s0, s10, v1
	s_delay_alu instid0(VALU_DEP_1)
	v_add_co_ci_u32_e64 v2, s0, s11, v2, s0
	global_load_b64 v[10:11], v[1:2], off
	s_or_b32 exec_lo, exec_lo, s1
                                        ; implicit-def: $vgpr1_vgpr2_vgpr3_vgpr4_vgpr5_vgpr6_vgpr7_vgpr8
	s_and_saveexec_b32 s1, vcc_lo
	s_cbranch_execz .LBB2_18
.LBB2_21:
	s_waitcnt vmcnt(0)
	v_cvt_f32_f64_e32 v1, v[16:17]
	s_mov_b32 s0, exec_lo
	s_delay_alu instid0(VALU_DEP_1)
	v_cmpx_nlg_f32_e64 0x7f800000, |v1|
	s_cbranch_execz .LBB2_23
; %bb.22:
	v_dual_mov_b32 v1, 0 :: v_dual_mov_b32 v2, 1.0
	global_store_b32 v1, v2, s[4:5]
.LBB2_23:
	s_or_b32 exec_lo, exec_lo, s0
	v_mov_b32_e32 v1, 0
	global_load_b32 v3, v1, s[6:7]
	s_waitcnt vmcnt(0)
	v_cvt_f64_f32_e32 v[1:2], v3
	v_cmp_eq_f32_e64 s0, 1.0, v3
	s_delay_alu instid0(VALU_DEP_2) | instskip(NEXT) | instid1(VALU_DEP_1)
	v_mul_f64 v[1:2], v[16:17], v[1:2]
	v_cndmask_b32_e64 v2, v2, v17, s0
	s_delay_alu instid0(VALU_DEP_2) | instskip(SKIP_1) | instid1(SALU_CYCLE_1)
	v_cndmask_b32_e64 v1, v1, v16, s0
	s_or_b32 exec_lo, exec_lo, s1
	s_mov_b32 s1, exec_lo
	v_cmpx_gt_i32_e64 s3, v18
	s_cbranch_execz .LBB2_27
.LBB2_24:
	s_waitcnt vmcnt(0)
	v_cvt_f32_f64_e32 v3, v[12:13]
	s_mov_b32 s0, exec_lo
	s_delay_alu instid0(VALU_DEP_1)
	v_cmpx_nlg_f32_e64 0x7f800000, |v3|
	s_cbranch_execz .LBB2_26
; %bb.25:
	v_dual_mov_b32 v3, 0 :: v_dual_mov_b32 v4, 1.0
	global_store_b32 v3, v4, s[4:5]
.LBB2_26:
	s_or_b32 exec_lo, exec_lo, s0
	v_mov_b32_e32 v3, 0
	global_load_b32 v16, v3, s[6:7]
	s_waitcnt vmcnt(0)
	v_cvt_f64_f32_e32 v[3:4], v16
	v_cmp_eq_f32_e64 s0, 1.0, v16
	s_delay_alu instid0(VALU_DEP_2) | instskip(NEXT) | instid1(VALU_DEP_1)
	v_mul_f64 v[3:4], v[12:13], v[3:4]
	v_cndmask_b32_e64 v4, v4, v13, s0
	s_delay_alu instid0(VALU_DEP_2)
	v_cndmask_b32_e64 v3, v3, v12, s0
.LBB2_27:
	s_or_b32 exec_lo, exec_lo, s1
	s_waitcnt vmcnt(0)
	v_or_b32_e32 v12, 0x200, v0
	s_mov_b32 s1, exec_lo
	s_delay_alu instid0(VALU_DEP_1)
	v_cmpx_gt_i32_e64 s3, v12
	s_cbranch_execz .LBB2_31
; %bb.28:
	v_cvt_f32_f64_e32 v5, v[14:15]
	s_mov_b32 s0, exec_lo
	s_delay_alu instid0(VALU_DEP_1)
	v_cmpx_nlg_f32_e64 0x7f800000, |v5|
	s_cbranch_execz .LBB2_30
; %bb.29:
	v_dual_mov_b32 v5, 0 :: v_dual_mov_b32 v6, 1.0
	global_store_b32 v5, v6, s[4:5]
.LBB2_30:
	s_or_b32 exec_lo, exec_lo, s0
	v_mov_b32_e32 v5, 0
	global_load_b32 v12, v5, s[6:7]
	s_waitcnt vmcnt(0)
	v_cvt_f64_f32_e32 v[5:6], v12
	v_cmp_eq_f32_e64 s0, 1.0, v12
	s_delay_alu instid0(VALU_DEP_2) | instskip(NEXT) | instid1(VALU_DEP_1)
	v_mul_f64 v[5:6], v[14:15], v[5:6]
	v_cndmask_b32_e64 v6, v6, v15, s0
	s_delay_alu instid0(VALU_DEP_2)
	v_cndmask_b32_e64 v5, v5, v14, s0
.LBB2_31:
	s_or_b32 exec_lo, exec_lo, s1
	v_or_b32_e32 v12, 0x300, v0
	s_mov_b32 s1, exec_lo
	s_delay_alu instid0(VALU_DEP_1)
	v_cmpx_gt_i32_e64 s3, v12
	s_cbranch_execnz .LBB2_38
; %bb.32:
	s_or_b32 exec_lo, exec_lo, s1
	s_and_saveexec_b32 s0, vcc_lo
	s_delay_alu instid0(SALU_CYCLE_1)
	s_xor_b32 s0, exec_lo, s0
	s_cbranch_execnz .LBB2_41
.LBB2_33:
	s_or_b32 exec_lo, exec_lo, s0
	s_delay_alu instid0(SALU_CYCLE_1)
	s_mov_b32 s0, exec_lo
	v_cmpx_gt_i32_e64 s3, v0
	s_cbranch_execnz .LBB2_42
.LBB2_34:
	s_or_b32 exec_lo, exec_lo, s0
	s_delay_alu instid0(SALU_CYCLE_1)
	s_mov_b32 s0, exec_lo
	v_cmpx_gt_i32_e64 s3, v0
	s_cbranch_execnz .LBB2_43
.LBB2_35:
	s_or_b32 exec_lo, exec_lo, s0
	s_delay_alu instid0(SALU_CYCLE_1)
	s_mov_b32 s0, exec_lo
	v_cmpx_gt_i32_e64 s3, v0
	s_cbranch_execz .LBB2_37
.LBB2_36:
	v_dual_mov_b32 v1, 0 :: v_dual_add_nc_u32 v0, s12, v0
	s_delay_alu instid0(VALU_DEP_1) | instskip(NEXT) | instid1(VALU_DEP_1)
	v_lshlrev_b64 v[0:1], 3, v[0:1]
	v_add_co_u32 v0, vcc_lo, s8, v0
	s_delay_alu instid0(VALU_DEP_2)
	v_add_co_ci_u32_e32 v1, vcc_lo, s9, v1, vcc_lo
	global_store_b64 v[0:1], v[7:8], off
.LBB2_37:
	s_nop 0
	s_sendmsg sendmsg(MSG_DEALLOC_VGPRS)
	s_endpgm
.LBB2_38:
	v_cvt_f32_f64_e32 v7, v[10:11]
	s_mov_b32 s0, exec_lo
	s_delay_alu instid0(VALU_DEP_1)
	v_cmpx_nlg_f32_e64 0x7f800000, |v7|
	s_cbranch_execz .LBB2_40
; %bb.39:
	v_dual_mov_b32 v7, 0 :: v_dual_mov_b32 v8, 1.0
	global_store_b32 v7, v8, s[4:5]
.LBB2_40:
	s_or_b32 exec_lo, exec_lo, s0
	v_mov_b32_e32 v7, 0
	global_load_b32 v12, v7, s[6:7]
	s_waitcnt vmcnt(0)
	v_cvt_f64_f32_e32 v[7:8], v12
	v_cmp_eq_f32_e64 s0, 1.0, v12
	s_delay_alu instid0(VALU_DEP_2) | instskip(NEXT) | instid1(VALU_DEP_1)
	v_mul_f64 v[7:8], v[10:11], v[7:8]
	v_cndmask_b32_e64 v8, v8, v11, s0
	s_delay_alu instid0(VALU_DEP_2) | instskip(SKIP_2) | instid1(SALU_CYCLE_1)
	v_cndmask_b32_e64 v7, v7, v10, s0
	s_or_b32 exec_lo, exec_lo, s1
	s_and_saveexec_b32 s0, vcc_lo
	s_xor_b32 s0, exec_lo, s0
	s_cbranch_execz .LBB2_33
.LBB2_41:
	v_mov_b32_e32 v10, 0
	v_mov_b32_e32 v0, v18
	s_delay_alu instid0(VALU_DEP_2) | instskip(NEXT) | instid1(VALU_DEP_1)
	v_lshlrev_b64 v[9:10], 3, v[9:10]
	v_add_co_u32 v9, vcc_lo, s8, v9
	s_delay_alu instid0(VALU_DEP_2) | instskip(SKIP_2) | instid1(SALU_CYCLE_1)
	v_add_co_ci_u32_e32 v10, vcc_lo, s9, v10, vcc_lo
	global_store_b64 v[9:10], v[1:2], off
	s_or_b32 exec_lo, exec_lo, s0
	s_mov_b32 s0, exec_lo
	v_cmpx_gt_i32_e64 s3, v0
	s_cbranch_execz .LBB2_34
.LBB2_42:
	v_dual_mov_b32 v2, 0 :: v_dual_add_nc_u32 v1, s12, v0
	v_add_nc_u32_e32 v0, 0x100, v0
	s_delay_alu instid0(VALU_DEP_2) | instskip(NEXT) | instid1(VALU_DEP_1)
	v_lshlrev_b64 v[1:2], 3, v[1:2]
	v_add_co_u32 v1, vcc_lo, s8, v1
	s_delay_alu instid0(VALU_DEP_2) | instskip(SKIP_2) | instid1(SALU_CYCLE_1)
	v_add_co_ci_u32_e32 v2, vcc_lo, s9, v2, vcc_lo
	global_store_b64 v[1:2], v[3:4], off
	s_or_b32 exec_lo, exec_lo, s0
	s_mov_b32 s0, exec_lo
	v_cmpx_gt_i32_e64 s3, v0
	s_cbranch_execz .LBB2_35
.LBB2_43:
	v_dual_mov_b32 v2, 0 :: v_dual_add_nc_u32 v1, s12, v0
	v_add_nc_u32_e32 v0, 0x100, v0
	s_delay_alu instid0(VALU_DEP_2) | instskip(NEXT) | instid1(VALU_DEP_1)
	v_lshlrev_b64 v[1:2], 3, v[1:2]
	v_add_co_u32 v1, vcc_lo, s8, v1
	s_delay_alu instid0(VALU_DEP_2) | instskip(SKIP_2) | instid1(SALU_CYCLE_1)
	v_add_co_ci_u32_e32 v2, vcc_lo, s9, v2, vcc_lo
	global_store_b64 v[1:2], v[5:6], off
	s_or_b32 exec_lo, exec_lo, s0
	s_mov_b32 s0, exec_lo
	v_cmpx_gt_i32_e64 s3, v0
	s_cbranch_execnz .LBB2_36
	s_branch .LBB2_37
	.section	.rodata,"a",@progbits
	.p2align	6, 0x0
	.amdhsa_kernel _ZN2at6native29vectorized_elementwise_kernelILi8EZZZNS0_12_GLOBAL__N_139_amp_non_finite_check_and_unscale_cuda_ERNS_6TensorES4_RKS3_ENKUlvE_clEvENKUlvE_clEvEUldE_St5arrayIPcLm2EEEEviT0_T1_
		.amdhsa_group_segment_fixed_size 0
		.amdhsa_private_segment_fixed_size 0
		.amdhsa_kernarg_size 40
		.amdhsa_user_sgpr_count 15
		.amdhsa_user_sgpr_dispatch_ptr 0
		.amdhsa_user_sgpr_queue_ptr 0
		.amdhsa_user_sgpr_kernarg_segment_ptr 1
		.amdhsa_user_sgpr_dispatch_id 0
		.amdhsa_user_sgpr_private_segment_size 0
		.amdhsa_wavefront_size32 1
		.amdhsa_uses_dynamic_stack 0
		.amdhsa_enable_private_segment 0
		.amdhsa_system_sgpr_workgroup_id_x 1
		.amdhsa_system_sgpr_workgroup_id_y 0
		.amdhsa_system_sgpr_workgroup_id_z 0
		.amdhsa_system_sgpr_workgroup_info 0
		.amdhsa_system_vgpr_workitem_id 0
		.amdhsa_next_free_vgpr 22
		.amdhsa_next_free_sgpr 16
		.amdhsa_reserve_vcc 1
		.amdhsa_float_round_mode_32 0
		.amdhsa_float_round_mode_16_64 0
		.amdhsa_float_denorm_mode_32 3
		.amdhsa_float_denorm_mode_16_64 3
		.amdhsa_dx10_clamp 1
		.amdhsa_ieee_mode 1
		.amdhsa_fp16_overflow 0
		.amdhsa_workgroup_processor_mode 1
		.amdhsa_memory_ordered 1
		.amdhsa_forward_progress 0
		.amdhsa_shared_vgpr_count 0
		.amdhsa_exception_fp_ieee_invalid_op 0
		.amdhsa_exception_fp_denorm_src 0
		.amdhsa_exception_fp_ieee_div_zero 0
		.amdhsa_exception_fp_ieee_overflow 0
		.amdhsa_exception_fp_ieee_underflow 0
		.amdhsa_exception_fp_ieee_inexact 0
		.amdhsa_exception_int_div_zero 0
	.end_amdhsa_kernel
	.section	.text._ZN2at6native29vectorized_elementwise_kernelILi8EZZZNS0_12_GLOBAL__N_139_amp_non_finite_check_and_unscale_cuda_ERNS_6TensorES4_RKS3_ENKUlvE_clEvENKUlvE_clEvEUldE_St5arrayIPcLm2EEEEviT0_T1_,"axG",@progbits,_ZN2at6native29vectorized_elementwise_kernelILi8EZZZNS0_12_GLOBAL__N_139_amp_non_finite_check_and_unscale_cuda_ERNS_6TensorES4_RKS3_ENKUlvE_clEvENKUlvE_clEvEUldE_St5arrayIPcLm2EEEEviT0_T1_,comdat
.Lfunc_end2:
	.size	_ZN2at6native29vectorized_elementwise_kernelILi8EZZZNS0_12_GLOBAL__N_139_amp_non_finite_check_and_unscale_cuda_ERNS_6TensorES4_RKS3_ENKUlvE_clEvENKUlvE_clEvEUldE_St5arrayIPcLm2EEEEviT0_T1_, .Lfunc_end2-_ZN2at6native29vectorized_elementwise_kernelILi8EZZZNS0_12_GLOBAL__N_139_amp_non_finite_check_and_unscale_cuda_ERNS_6TensorES4_RKS3_ENKUlvE_clEvENKUlvE_clEvEUldE_St5arrayIPcLm2EEEEviT0_T1_
                                        ; -- End function
	.section	.AMDGPU.csdata,"",@progbits
; Kernel info:
; codeLenInByte = 1872
; NumSgprs: 18
; NumVgprs: 22
; ScratchSize: 0
; MemoryBound: 1
; FloatMode: 240
; IeeeMode: 1
; LDSByteSize: 0 bytes/workgroup (compile time only)
; SGPRBlocks: 2
; VGPRBlocks: 2
; NumSGPRsForWavesPerEU: 18
; NumVGPRsForWavesPerEU: 22
; Occupancy: 16
; WaveLimiterHint : 0
; COMPUTE_PGM_RSRC2:SCRATCH_EN: 0
; COMPUTE_PGM_RSRC2:USER_SGPR: 15
; COMPUTE_PGM_RSRC2:TRAP_HANDLER: 0
; COMPUTE_PGM_RSRC2:TGID_X_EN: 1
; COMPUTE_PGM_RSRC2:TGID_Y_EN: 0
; COMPUTE_PGM_RSRC2:TGID_Z_EN: 0
; COMPUTE_PGM_RSRC2:TIDIG_COMP_CNT: 0
	.section	.text._ZN2at6native29vectorized_elementwise_kernelILi4EZZZNS0_12_GLOBAL__N_139_amp_non_finite_check_and_unscale_cuda_ERNS_6TensorES4_RKS3_ENKUlvE_clEvENKUlvE_clEvEUldE_St5arrayIPcLm2EEEEviT0_T1_,"axG",@progbits,_ZN2at6native29vectorized_elementwise_kernelILi4EZZZNS0_12_GLOBAL__N_139_amp_non_finite_check_and_unscale_cuda_ERNS_6TensorES4_RKS3_ENKUlvE_clEvENKUlvE_clEvEUldE_St5arrayIPcLm2EEEEviT0_T1_,comdat
	.globl	_ZN2at6native29vectorized_elementwise_kernelILi4EZZZNS0_12_GLOBAL__N_139_amp_non_finite_check_and_unscale_cuda_ERNS_6TensorES4_RKS3_ENKUlvE_clEvENKUlvE_clEvEUldE_St5arrayIPcLm2EEEEviT0_T1_ ; -- Begin function _ZN2at6native29vectorized_elementwise_kernelILi4EZZZNS0_12_GLOBAL__N_139_amp_non_finite_check_and_unscale_cuda_ERNS_6TensorES4_RKS3_ENKUlvE_clEvENKUlvE_clEvEUldE_St5arrayIPcLm2EEEEviT0_T1_
	.p2align	8
	.type	_ZN2at6native29vectorized_elementwise_kernelILi4EZZZNS0_12_GLOBAL__N_139_amp_non_finite_check_and_unscale_cuda_ERNS_6TensorES4_RKS3_ENKUlvE_clEvENKUlvE_clEvEUldE_St5arrayIPcLm2EEEEviT0_T1_,@function
_ZN2at6native29vectorized_elementwise_kernelILi4EZZZNS0_12_GLOBAL__N_139_amp_non_finite_check_and_unscale_cuda_ERNS_6TensorES4_RKS3_ENKUlvE_clEvENKUlvE_clEvEUldE_St5arrayIPcLm2EEEEviT0_T1_: ; @_ZN2at6native29vectorized_elementwise_kernelILi4EZZZNS0_12_GLOBAL__N_139_amp_non_finite_check_and_unscale_cuda_ERNS_6TensorES4_RKS3_ENKUlvE_clEvENKUlvE_clEvEUldE_St5arrayIPcLm2EEEEviT0_T1_
; %bb.0:
	s_clause 0x1
	s_load_b32 s2, s[0:1], 0x0
	s_load_b256 s[4:11], s[0:1], 0x8
	s_lshl_b32 s12, s15, 10
	s_mov_b32 s0, -1
	s_waitcnt lgkmcnt(0)
	s_sub_i32 s3, s2, s12
	s_delay_alu instid0(SALU_CYCLE_1)
	s_cmpk_gt_i32 s3, 0x3ff
	s_cbranch_scc0 .LBB3_10
; %bb.1:
	s_ashr_i32 s13, s12, 31
	v_lshlrev_b32_e32 v17, 5, v0
	s_lshl_b64 s[14:15], s[12:13], 3
	v_mov_b32_e32 v9, 0
	s_add_u32 s0, s10, s14
	s_addc_u32 s1, s11, s15
	s_clause 0x1
	global_load_b128 v[5:8], v17, s[0:1]
	global_load_b128 v[1:4], v17, s[0:1] offset:16
	s_mov_b32 s0, exec_lo
	s_waitcnt vmcnt(1)
	v_cvt_f32_f64_e32 v10, v[5:6]
	s_delay_alu instid0(VALU_DEP_1)
	v_cmpx_nlg_f32_e64 0x7f800000, |v10|
	s_cbranch_execz .LBB3_3
; %bb.2:
	v_mov_b32_e32 v10, 1.0
	global_store_b32 v9, v10, s[4:5]
.LBB3_3:
	s_or_b32 exec_lo, exec_lo, s0
	global_load_b32 v18, v9, s[6:7]
	v_cvt_f32_f64_e32 v11, v[7:8]
	s_delay_alu instid0(VALU_DEP_1) | instskip(SKIP_3) | instid1(VALU_DEP_2)
	v_cmp_nlg_f32_e64 s1, 0x7f800000, |v11|
	s_waitcnt vmcnt(0)
	v_cvt_f64_f32_e32 v[9:10], v18
	v_mov_b32_e32 v19, v18
	v_dual_mov_b32 v12, v10 :: v_dual_mov_b32 v11, v9
	s_and_saveexec_b32 s0, s1
	s_cbranch_execz .LBB3_5
; %bb.4:
	v_dual_mov_b32 v11, 0 :: v_dual_mov_b32 v12, 1.0
	global_store_b32 v11, v12, s[4:5]
	global_load_b32 v19, v11, s[6:7]
	s_waitcnt vmcnt(0)
	v_cvt_f64_f32_e32 v[11:12], v19
.LBB3_5:
	s_or_b32 exec_lo, exec_lo, s0
	v_cvt_f32_f64_e32 v15, v[1:2]
	s_delay_alu instid0(VALU_DEP_2) | instskip(SKIP_2) | instid1(VALU_DEP_3)
	v_dual_mov_b32 v14, v12 :: v_dual_mov_b32 v13, v11
	v_mov_b32_e32 v20, v19
	s_mov_b32 s0, exec_lo
	v_cmpx_nlg_f32_e64 0x7f800000, |v15|
	s_cbranch_execz .LBB3_7
; %bb.6:
	v_dual_mov_b32 v13, 0 :: v_dual_mov_b32 v14, 1.0
	global_store_b32 v13, v14, s[4:5]
	global_load_b32 v20, v13, s[6:7]
	s_waitcnt vmcnt(0)
	v_cvt_f64_f32_e32 v[13:14], v20
.LBB3_7:
	s_or_b32 exec_lo, exec_lo, s0
	v_cvt_f32_f64_e32 v21, v[3:4]
	s_delay_alu instid0(VALU_DEP_2) | instskip(NEXT) | instid1(VALU_DEP_2)
	v_dual_mov_b32 v16, v14 :: v_dual_mov_b32 v15, v13
	v_cmp_nlg_f32_e64 s1, 0x7f800000, |v21|
	v_mov_b32_e32 v21, v20
	s_delay_alu instid0(VALU_DEP_2)
	s_and_saveexec_b32 s0, s1
	s_cbranch_execz .LBB3_9
; %bb.8:
	v_dual_mov_b32 v15, 0 :: v_dual_mov_b32 v16, 1.0
	global_store_b32 v15, v16, s[4:5]
	global_load_b32 v21, v15, s[6:7]
	s_waitcnt vmcnt(0)
	v_cvt_f64_f32_e32 v[15:16], v21
.LBB3_9:
	s_or_b32 exec_lo, exec_lo, s0
	v_mul_f64 v[11:12], v[7:8], v[11:12]
	v_mul_f64 v[9:10], v[5:6], v[9:10]
	;; [unrolled: 1-line block ×3, first 2 shown]
	s_delay_alu instid0(VALU_DEP_4)
	v_mul_f64 v[15:16], v[3:4], v[15:16]
	v_cmp_eq_f32_e64 s0, 1.0, v19
	v_cmp_eq_f32_e64 s1, 1.0, v18
	v_cmp_eq_f32_e32 vcc_lo, 1.0, v20
	v_cmp_eq_f32_e64 s2, 1.0, v21
	s_add_u32 s14, s8, s14
	s_addc_u32 s15, s9, s15
	v_cndmask_b32_e64 v8, v12, v8, s0
	v_cndmask_b32_e64 v7, v11, v7, s0
	;; [unrolled: 1-line block ×4, first 2 shown]
	v_dual_cndmask_b32 v2, v14, v2 :: v_dual_cndmask_b32 v1, v13, v1
	v_cndmask_b32_e64 v4, v16, v4, s2
	v_cndmask_b32_e64 v3, v15, v3, s2
	s_mov_b32 s0, 0
	s_clause 0x1
	global_store_b128 v17, v[5:8], s[14:15]
	global_store_b128 v17, v[1:4], s[14:15] offset:16
.LBB3_10:
	s_and_b32 vcc_lo, exec_lo, s0
	s_cbranch_vccz .LBB3_37
; %bb.11:
	v_dual_mov_b32 v12, 0 :: v_dual_mov_b32 v1, v0
	v_mov_b32_e32 v13, 0
	v_cmp_gt_i32_e32 vcc_lo, s3, v0
	v_or_b32_e32 v9, s12, v0
	v_or_b32_e32 v18, 0x100, v0
	s_delay_alu instid0(VALU_DEP_4)
	v_dual_mov_b32 v17, v13 :: v_dual_mov_b32 v16, v12
	s_and_saveexec_b32 s1, vcc_lo
	s_cbranch_execz .LBB3_13
; %bb.12:
	v_mov_b32_e32 v10, 0
	s_delay_alu instid0(VALU_DEP_1) | instskip(NEXT) | instid1(VALU_DEP_1)
	v_lshlrev_b64 v[1:2], 3, v[9:10]
	v_add_co_u32 v1, s0, s10, v1
	s_delay_alu instid0(VALU_DEP_1)
	v_add_co_ci_u32_e64 v2, s0, s11, v2, s0
	global_load_b64 v[16:17], v[1:2], off
	v_or_b32_e32 v1, 0x100, v0
.LBB3_13:
	s_or_b32 exec_lo, exec_lo, s1
	s_delay_alu instid0(SALU_CYCLE_1) | instskip(NEXT) | instid1(VALU_DEP_1)
	s_mov_b32 s1, exec_lo
	v_cmpx_gt_i32_e64 s3, v1
	s_cbranch_execz .LBB3_15
; %bb.14:
	v_dual_mov_b32 v3, 0 :: v_dual_add_nc_u32 v2, s12, v1
	v_add_nc_u32_e32 v1, 0x100, v1
	s_delay_alu instid0(VALU_DEP_2) | instskip(NEXT) | instid1(VALU_DEP_1)
	v_lshlrev_b64 v[2:3], 3, v[2:3]
	v_add_co_u32 v2, s0, s10, v2
	s_delay_alu instid0(VALU_DEP_1)
	v_add_co_ci_u32_e64 v3, s0, s11, v3, s0
	global_load_b64 v[12:13], v[2:3], off
.LBB3_15:
	s_or_b32 exec_lo, exec_lo, s1
	v_mov_b32_e32 v10, 0
	v_mov_b32_e32 v11, 0
	s_mov_b32 s1, exec_lo
	s_delay_alu instid0(VALU_DEP_1)
	v_dual_mov_b32 v15, v11 :: v_dual_mov_b32 v14, v10
	v_cmpx_gt_i32_e64 s3, v1
	s_cbranch_execnz .LBB3_19
; %bb.16:
	s_or_b32 exec_lo, exec_lo, s1
	s_delay_alu instid0(SALU_CYCLE_1)
	s_mov_b32 s1, exec_lo
	v_cmpx_gt_i32_e64 s3, v1
	s_cbranch_execnz .LBB3_20
.LBB3_17:
	s_or_b32 exec_lo, exec_lo, s1
                                        ; implicit-def: $vgpr1_vgpr2_vgpr3_vgpr4_vgpr5_vgpr6_vgpr7_vgpr8
	s_and_saveexec_b32 s1, vcc_lo
	s_cbranch_execnz .LBB3_21
.LBB3_18:
	s_or_b32 exec_lo, exec_lo, s1
	s_delay_alu instid0(SALU_CYCLE_1)
	s_mov_b32 s1, exec_lo
	v_cmpx_gt_i32_e64 s3, v18
	s_cbranch_execnz .LBB3_24
	s_branch .LBB3_27
.LBB3_19:
	v_dual_mov_b32 v3, 0 :: v_dual_add_nc_u32 v2, s12, v1
	v_add_nc_u32_e32 v1, 0x100, v1
	s_delay_alu instid0(VALU_DEP_2) | instskip(NEXT) | instid1(VALU_DEP_1)
	v_lshlrev_b64 v[2:3], 3, v[2:3]
	v_add_co_u32 v2, s0, s10, v2
	s_delay_alu instid0(VALU_DEP_1) | instskip(SKIP_2) | instid1(SALU_CYCLE_1)
	v_add_co_ci_u32_e64 v3, s0, s11, v3, s0
	global_load_b64 v[14:15], v[2:3], off
	s_or_b32 exec_lo, exec_lo, s1
	s_mov_b32 s1, exec_lo
	v_cmpx_gt_i32_e64 s3, v1
	s_cbranch_execz .LBB3_17
.LBB3_20:
	v_dual_mov_b32 v2, 0 :: v_dual_add_nc_u32 v1, s12, v1
	s_delay_alu instid0(VALU_DEP_1) | instskip(NEXT) | instid1(VALU_DEP_1)
	v_lshlrev_b64 v[1:2], 3, v[1:2]
	v_add_co_u32 v1, s0, s10, v1
	s_delay_alu instid0(VALU_DEP_1)
	v_add_co_ci_u32_e64 v2, s0, s11, v2, s0
	global_load_b64 v[10:11], v[1:2], off
	s_or_b32 exec_lo, exec_lo, s1
                                        ; implicit-def: $vgpr1_vgpr2_vgpr3_vgpr4_vgpr5_vgpr6_vgpr7_vgpr8
	s_and_saveexec_b32 s1, vcc_lo
	s_cbranch_execz .LBB3_18
.LBB3_21:
	s_waitcnt vmcnt(0)
	v_cvt_f32_f64_e32 v1, v[16:17]
	s_mov_b32 s0, exec_lo
	s_delay_alu instid0(VALU_DEP_1)
	v_cmpx_nlg_f32_e64 0x7f800000, |v1|
	s_cbranch_execz .LBB3_23
; %bb.22:
	v_dual_mov_b32 v1, 0 :: v_dual_mov_b32 v2, 1.0
	global_store_b32 v1, v2, s[4:5]
.LBB3_23:
	s_or_b32 exec_lo, exec_lo, s0
	v_mov_b32_e32 v1, 0
	global_load_b32 v3, v1, s[6:7]
	s_waitcnt vmcnt(0)
	v_cvt_f64_f32_e32 v[1:2], v3
	v_cmp_eq_f32_e64 s0, 1.0, v3
	s_delay_alu instid0(VALU_DEP_2) | instskip(NEXT) | instid1(VALU_DEP_1)
	v_mul_f64 v[1:2], v[16:17], v[1:2]
	v_cndmask_b32_e64 v2, v2, v17, s0
	s_delay_alu instid0(VALU_DEP_2) | instskip(SKIP_1) | instid1(SALU_CYCLE_1)
	v_cndmask_b32_e64 v1, v1, v16, s0
	s_or_b32 exec_lo, exec_lo, s1
	s_mov_b32 s1, exec_lo
	v_cmpx_gt_i32_e64 s3, v18
	s_cbranch_execz .LBB3_27
.LBB3_24:
	s_waitcnt vmcnt(0)
	v_cvt_f32_f64_e32 v3, v[12:13]
	s_mov_b32 s0, exec_lo
	s_delay_alu instid0(VALU_DEP_1)
	v_cmpx_nlg_f32_e64 0x7f800000, |v3|
	s_cbranch_execz .LBB3_26
; %bb.25:
	v_dual_mov_b32 v3, 0 :: v_dual_mov_b32 v4, 1.0
	global_store_b32 v3, v4, s[4:5]
.LBB3_26:
	s_or_b32 exec_lo, exec_lo, s0
	v_mov_b32_e32 v3, 0
	global_load_b32 v16, v3, s[6:7]
	s_waitcnt vmcnt(0)
	v_cvt_f64_f32_e32 v[3:4], v16
	v_cmp_eq_f32_e64 s0, 1.0, v16
	s_delay_alu instid0(VALU_DEP_2) | instskip(NEXT) | instid1(VALU_DEP_1)
	v_mul_f64 v[3:4], v[12:13], v[3:4]
	v_cndmask_b32_e64 v4, v4, v13, s0
	s_delay_alu instid0(VALU_DEP_2)
	v_cndmask_b32_e64 v3, v3, v12, s0
.LBB3_27:
	s_or_b32 exec_lo, exec_lo, s1
	s_waitcnt vmcnt(0)
	v_or_b32_e32 v12, 0x200, v0
	s_mov_b32 s1, exec_lo
	s_delay_alu instid0(VALU_DEP_1)
	v_cmpx_gt_i32_e64 s3, v12
	s_cbranch_execz .LBB3_31
; %bb.28:
	v_cvt_f32_f64_e32 v5, v[14:15]
	s_mov_b32 s0, exec_lo
	s_delay_alu instid0(VALU_DEP_1)
	v_cmpx_nlg_f32_e64 0x7f800000, |v5|
	s_cbranch_execz .LBB3_30
; %bb.29:
	v_dual_mov_b32 v5, 0 :: v_dual_mov_b32 v6, 1.0
	global_store_b32 v5, v6, s[4:5]
.LBB3_30:
	s_or_b32 exec_lo, exec_lo, s0
	v_mov_b32_e32 v5, 0
	global_load_b32 v12, v5, s[6:7]
	s_waitcnt vmcnt(0)
	v_cvt_f64_f32_e32 v[5:6], v12
	v_cmp_eq_f32_e64 s0, 1.0, v12
	s_delay_alu instid0(VALU_DEP_2) | instskip(NEXT) | instid1(VALU_DEP_1)
	v_mul_f64 v[5:6], v[14:15], v[5:6]
	v_cndmask_b32_e64 v6, v6, v15, s0
	s_delay_alu instid0(VALU_DEP_2)
	v_cndmask_b32_e64 v5, v5, v14, s0
.LBB3_31:
	s_or_b32 exec_lo, exec_lo, s1
	v_or_b32_e32 v12, 0x300, v0
	s_mov_b32 s1, exec_lo
	s_delay_alu instid0(VALU_DEP_1)
	v_cmpx_gt_i32_e64 s3, v12
	s_cbranch_execnz .LBB3_38
; %bb.32:
	s_or_b32 exec_lo, exec_lo, s1
	s_and_saveexec_b32 s0, vcc_lo
	s_delay_alu instid0(SALU_CYCLE_1)
	s_xor_b32 s0, exec_lo, s0
	s_cbranch_execnz .LBB3_41
.LBB3_33:
	s_or_b32 exec_lo, exec_lo, s0
	s_delay_alu instid0(SALU_CYCLE_1)
	s_mov_b32 s0, exec_lo
	v_cmpx_gt_i32_e64 s3, v0
	s_cbranch_execnz .LBB3_42
.LBB3_34:
	s_or_b32 exec_lo, exec_lo, s0
	s_delay_alu instid0(SALU_CYCLE_1)
	s_mov_b32 s0, exec_lo
	v_cmpx_gt_i32_e64 s3, v0
	s_cbranch_execnz .LBB3_43
.LBB3_35:
	s_or_b32 exec_lo, exec_lo, s0
	s_delay_alu instid0(SALU_CYCLE_1)
	s_mov_b32 s0, exec_lo
	v_cmpx_gt_i32_e64 s3, v0
	s_cbranch_execz .LBB3_37
.LBB3_36:
	v_dual_mov_b32 v1, 0 :: v_dual_add_nc_u32 v0, s12, v0
	s_delay_alu instid0(VALU_DEP_1) | instskip(NEXT) | instid1(VALU_DEP_1)
	v_lshlrev_b64 v[0:1], 3, v[0:1]
	v_add_co_u32 v0, vcc_lo, s8, v0
	s_delay_alu instid0(VALU_DEP_2)
	v_add_co_ci_u32_e32 v1, vcc_lo, s9, v1, vcc_lo
	global_store_b64 v[0:1], v[7:8], off
.LBB3_37:
	s_nop 0
	s_sendmsg sendmsg(MSG_DEALLOC_VGPRS)
	s_endpgm
.LBB3_38:
	v_cvt_f32_f64_e32 v7, v[10:11]
	s_mov_b32 s0, exec_lo
	s_delay_alu instid0(VALU_DEP_1)
	v_cmpx_nlg_f32_e64 0x7f800000, |v7|
	s_cbranch_execz .LBB3_40
; %bb.39:
	v_dual_mov_b32 v7, 0 :: v_dual_mov_b32 v8, 1.0
	global_store_b32 v7, v8, s[4:5]
.LBB3_40:
	s_or_b32 exec_lo, exec_lo, s0
	v_mov_b32_e32 v7, 0
	global_load_b32 v12, v7, s[6:7]
	s_waitcnt vmcnt(0)
	v_cvt_f64_f32_e32 v[7:8], v12
	v_cmp_eq_f32_e64 s0, 1.0, v12
	s_delay_alu instid0(VALU_DEP_2) | instskip(NEXT) | instid1(VALU_DEP_1)
	v_mul_f64 v[7:8], v[10:11], v[7:8]
	v_cndmask_b32_e64 v8, v8, v11, s0
	s_delay_alu instid0(VALU_DEP_2) | instskip(SKIP_2) | instid1(SALU_CYCLE_1)
	v_cndmask_b32_e64 v7, v7, v10, s0
	s_or_b32 exec_lo, exec_lo, s1
	s_and_saveexec_b32 s0, vcc_lo
	s_xor_b32 s0, exec_lo, s0
	s_cbranch_execz .LBB3_33
.LBB3_41:
	v_mov_b32_e32 v10, 0
	v_mov_b32_e32 v0, v18
	s_delay_alu instid0(VALU_DEP_2) | instskip(NEXT) | instid1(VALU_DEP_1)
	v_lshlrev_b64 v[9:10], 3, v[9:10]
	v_add_co_u32 v9, vcc_lo, s8, v9
	s_delay_alu instid0(VALU_DEP_2) | instskip(SKIP_2) | instid1(SALU_CYCLE_1)
	v_add_co_ci_u32_e32 v10, vcc_lo, s9, v10, vcc_lo
	global_store_b64 v[9:10], v[1:2], off
	s_or_b32 exec_lo, exec_lo, s0
	s_mov_b32 s0, exec_lo
	v_cmpx_gt_i32_e64 s3, v0
	s_cbranch_execz .LBB3_34
.LBB3_42:
	v_dual_mov_b32 v2, 0 :: v_dual_add_nc_u32 v1, s12, v0
	v_add_nc_u32_e32 v0, 0x100, v0
	s_delay_alu instid0(VALU_DEP_2) | instskip(NEXT) | instid1(VALU_DEP_1)
	v_lshlrev_b64 v[1:2], 3, v[1:2]
	v_add_co_u32 v1, vcc_lo, s8, v1
	s_delay_alu instid0(VALU_DEP_2) | instskip(SKIP_2) | instid1(SALU_CYCLE_1)
	v_add_co_ci_u32_e32 v2, vcc_lo, s9, v2, vcc_lo
	global_store_b64 v[1:2], v[3:4], off
	s_or_b32 exec_lo, exec_lo, s0
	s_mov_b32 s0, exec_lo
	v_cmpx_gt_i32_e64 s3, v0
	s_cbranch_execz .LBB3_35
.LBB3_43:
	v_dual_mov_b32 v2, 0 :: v_dual_add_nc_u32 v1, s12, v0
	v_add_nc_u32_e32 v0, 0x100, v0
	s_delay_alu instid0(VALU_DEP_2) | instskip(NEXT) | instid1(VALU_DEP_1)
	v_lshlrev_b64 v[1:2], 3, v[1:2]
	v_add_co_u32 v1, vcc_lo, s8, v1
	s_delay_alu instid0(VALU_DEP_2) | instskip(SKIP_2) | instid1(SALU_CYCLE_1)
	v_add_co_ci_u32_e32 v2, vcc_lo, s9, v2, vcc_lo
	global_store_b64 v[1:2], v[5:6], off
	s_or_b32 exec_lo, exec_lo, s0
	s_mov_b32 s0, exec_lo
	v_cmpx_gt_i32_e64 s3, v0
	s_cbranch_execnz .LBB3_36
	s_branch .LBB3_37
	.section	.rodata,"a",@progbits
	.p2align	6, 0x0
	.amdhsa_kernel _ZN2at6native29vectorized_elementwise_kernelILi4EZZZNS0_12_GLOBAL__N_139_amp_non_finite_check_and_unscale_cuda_ERNS_6TensorES4_RKS3_ENKUlvE_clEvENKUlvE_clEvEUldE_St5arrayIPcLm2EEEEviT0_T1_
		.amdhsa_group_segment_fixed_size 0
		.amdhsa_private_segment_fixed_size 0
		.amdhsa_kernarg_size 40
		.amdhsa_user_sgpr_count 15
		.amdhsa_user_sgpr_dispatch_ptr 0
		.amdhsa_user_sgpr_queue_ptr 0
		.amdhsa_user_sgpr_kernarg_segment_ptr 1
		.amdhsa_user_sgpr_dispatch_id 0
		.amdhsa_user_sgpr_private_segment_size 0
		.amdhsa_wavefront_size32 1
		.amdhsa_uses_dynamic_stack 0
		.amdhsa_enable_private_segment 0
		.amdhsa_system_sgpr_workgroup_id_x 1
		.amdhsa_system_sgpr_workgroup_id_y 0
		.amdhsa_system_sgpr_workgroup_id_z 0
		.amdhsa_system_sgpr_workgroup_info 0
		.amdhsa_system_vgpr_workitem_id 0
		.amdhsa_next_free_vgpr 22
		.amdhsa_next_free_sgpr 16
		.amdhsa_reserve_vcc 1
		.amdhsa_float_round_mode_32 0
		.amdhsa_float_round_mode_16_64 0
		.amdhsa_float_denorm_mode_32 3
		.amdhsa_float_denorm_mode_16_64 3
		.amdhsa_dx10_clamp 1
		.amdhsa_ieee_mode 1
		.amdhsa_fp16_overflow 0
		.amdhsa_workgroup_processor_mode 1
		.amdhsa_memory_ordered 1
		.amdhsa_forward_progress 0
		.amdhsa_shared_vgpr_count 0
		.amdhsa_exception_fp_ieee_invalid_op 0
		.amdhsa_exception_fp_denorm_src 0
		.amdhsa_exception_fp_ieee_div_zero 0
		.amdhsa_exception_fp_ieee_overflow 0
		.amdhsa_exception_fp_ieee_underflow 0
		.amdhsa_exception_fp_ieee_inexact 0
		.amdhsa_exception_int_div_zero 0
	.end_amdhsa_kernel
	.section	.text._ZN2at6native29vectorized_elementwise_kernelILi4EZZZNS0_12_GLOBAL__N_139_amp_non_finite_check_and_unscale_cuda_ERNS_6TensorES4_RKS3_ENKUlvE_clEvENKUlvE_clEvEUldE_St5arrayIPcLm2EEEEviT0_T1_,"axG",@progbits,_ZN2at6native29vectorized_elementwise_kernelILi4EZZZNS0_12_GLOBAL__N_139_amp_non_finite_check_and_unscale_cuda_ERNS_6TensorES4_RKS3_ENKUlvE_clEvENKUlvE_clEvEUldE_St5arrayIPcLm2EEEEviT0_T1_,comdat
.Lfunc_end3:
	.size	_ZN2at6native29vectorized_elementwise_kernelILi4EZZZNS0_12_GLOBAL__N_139_amp_non_finite_check_and_unscale_cuda_ERNS_6TensorES4_RKS3_ENKUlvE_clEvENKUlvE_clEvEUldE_St5arrayIPcLm2EEEEviT0_T1_, .Lfunc_end3-_ZN2at6native29vectorized_elementwise_kernelILi4EZZZNS0_12_GLOBAL__N_139_amp_non_finite_check_and_unscale_cuda_ERNS_6TensorES4_RKS3_ENKUlvE_clEvENKUlvE_clEvEUldE_St5arrayIPcLm2EEEEviT0_T1_
                                        ; -- End function
	.section	.AMDGPU.csdata,"",@progbits
; Kernel info:
; codeLenInByte = 1872
; NumSgprs: 18
; NumVgprs: 22
; ScratchSize: 0
; MemoryBound: 1
; FloatMode: 240
; IeeeMode: 1
; LDSByteSize: 0 bytes/workgroup (compile time only)
; SGPRBlocks: 2
; VGPRBlocks: 2
; NumSGPRsForWavesPerEU: 18
; NumVGPRsForWavesPerEU: 22
; Occupancy: 16
; WaveLimiterHint : 0
; COMPUTE_PGM_RSRC2:SCRATCH_EN: 0
; COMPUTE_PGM_RSRC2:USER_SGPR: 15
; COMPUTE_PGM_RSRC2:TRAP_HANDLER: 0
; COMPUTE_PGM_RSRC2:TGID_X_EN: 1
; COMPUTE_PGM_RSRC2:TGID_Y_EN: 0
; COMPUTE_PGM_RSRC2:TGID_Z_EN: 0
; COMPUTE_PGM_RSRC2:TIDIG_COMP_CNT: 0
	.section	.text._ZN2at6native29vectorized_elementwise_kernelILi2EZZZNS0_12_GLOBAL__N_139_amp_non_finite_check_and_unscale_cuda_ERNS_6TensorES4_RKS3_ENKUlvE_clEvENKUlvE_clEvEUldE_St5arrayIPcLm2EEEEviT0_T1_,"axG",@progbits,_ZN2at6native29vectorized_elementwise_kernelILi2EZZZNS0_12_GLOBAL__N_139_amp_non_finite_check_and_unscale_cuda_ERNS_6TensorES4_RKS3_ENKUlvE_clEvENKUlvE_clEvEUldE_St5arrayIPcLm2EEEEviT0_T1_,comdat
	.globl	_ZN2at6native29vectorized_elementwise_kernelILi2EZZZNS0_12_GLOBAL__N_139_amp_non_finite_check_and_unscale_cuda_ERNS_6TensorES4_RKS3_ENKUlvE_clEvENKUlvE_clEvEUldE_St5arrayIPcLm2EEEEviT0_T1_ ; -- Begin function _ZN2at6native29vectorized_elementwise_kernelILi2EZZZNS0_12_GLOBAL__N_139_amp_non_finite_check_and_unscale_cuda_ERNS_6TensorES4_RKS3_ENKUlvE_clEvENKUlvE_clEvEUldE_St5arrayIPcLm2EEEEviT0_T1_
	.p2align	8
	.type	_ZN2at6native29vectorized_elementwise_kernelILi2EZZZNS0_12_GLOBAL__N_139_amp_non_finite_check_and_unscale_cuda_ERNS_6TensorES4_RKS3_ENKUlvE_clEvENKUlvE_clEvEUldE_St5arrayIPcLm2EEEEviT0_T1_,@function
_ZN2at6native29vectorized_elementwise_kernelILi2EZZZNS0_12_GLOBAL__N_139_amp_non_finite_check_and_unscale_cuda_ERNS_6TensorES4_RKS3_ENKUlvE_clEvENKUlvE_clEvEUldE_St5arrayIPcLm2EEEEviT0_T1_: ; @_ZN2at6native29vectorized_elementwise_kernelILi2EZZZNS0_12_GLOBAL__N_139_amp_non_finite_check_and_unscale_cuda_ERNS_6TensorES4_RKS3_ENKUlvE_clEvENKUlvE_clEvEUldE_St5arrayIPcLm2EEEEviT0_T1_
; %bb.0:
	s_clause 0x1
	s_load_b32 s2, s[0:1], 0x0
	s_load_b256 s[4:11], s[0:1], 0x8
	s_lshl_b32 s12, s15, 10
	s_mov_b32 s0, -1
	s_waitcnt lgkmcnt(0)
	s_sub_i32 s14, s2, s12
	s_delay_alu instid0(SALU_CYCLE_1)
	s_cmpk_gt_i32 s14, 0x3ff
	s_cbranch_scc0 .LBB4_10
; %bb.1:
	s_ashr_i32 s13, s12, 31
	v_lshlrev_b32_e32 v17, 4, v0
	s_lshl_b64 s[2:3], s[12:13], 3
	s_delay_alu instid0(SALU_CYCLE_1) | instskip(SKIP_3) | instid1(VALU_DEP_1)
	s_add_u32 s0, s10, s2
	s_addc_u32 s1, s11, s3
	global_load_b128 v[1:4], v17, s[0:1]
	v_add_co_u32 v5, s0, s0, v17
	v_add_co_ci_u32_e64 v6, null, s1, 0, s0
	s_mov_b32 s0, exec_lo
	s_delay_alu instid0(VALU_DEP_2) | instskip(NEXT) | instid1(VALU_DEP_2)
	v_add_co_u32 v5, vcc_lo, 0x1000, v5
	v_add_co_ci_u32_e32 v6, vcc_lo, 0, v6, vcc_lo
	global_load_b128 v[5:8], v[5:6], off
	s_waitcnt vmcnt(1)
	v_cvt_f32_f64_e32 v9, v[1:2]
	s_delay_alu instid0(VALU_DEP_1)
	v_cmpx_nlg_f32_e64 0x7f800000, |v9|
	s_cbranch_execz .LBB4_3
; %bb.2:
	v_dual_mov_b32 v9, 0 :: v_dual_mov_b32 v10, 1.0
	global_store_b32 v9, v10, s[4:5]
.LBB4_3:
	s_or_b32 exec_lo, exec_lo, s0
	v_mov_b32_e32 v13, 0
	v_cvt_f32_f64_e32 v11, v[3:4]
	global_load_b32 v18, v13, s[6:7]
	v_cmp_nlg_f32_e64 s1, 0x7f800000, |v11|
	s_waitcnt vmcnt(0)
	v_cvt_f64_f32_e32 v[9:10], v18
	v_mov_b32_e32 v19, v18
	s_delay_alu instid0(VALU_DEP_2)
	v_dual_mov_b32 v12, v10 :: v_dual_mov_b32 v11, v9
	s_and_saveexec_b32 s0, s1
	s_cbranch_execz .LBB4_5
; %bb.4:
	v_mov_b32_e32 v11, 1.0
	global_store_b32 v13, v11, s[4:5]
	global_load_b32 v19, v13, s[6:7]
	s_waitcnt vmcnt(0)
	v_cvt_f64_f32_e32 v[11:12], v19
.LBB4_5:
	s_or_b32 exec_lo, exec_lo, s0
	v_cvt_f32_f64_e32 v15, v[5:6]
	s_delay_alu instid0(VALU_DEP_2) | instskip(SKIP_2) | instid1(VALU_DEP_3)
	v_dual_mov_b32 v14, v12 :: v_dual_mov_b32 v13, v11
	v_mov_b32_e32 v20, v19
	s_mov_b32 s0, exec_lo
	v_cmpx_nlg_f32_e64 0x7f800000, |v15|
	s_cbranch_execz .LBB4_7
; %bb.6:
	v_dual_mov_b32 v13, 0 :: v_dual_mov_b32 v14, 1.0
	global_store_b32 v13, v14, s[4:5]
	global_load_b32 v20, v13, s[6:7]
	s_waitcnt vmcnt(0)
	v_cvt_f64_f32_e32 v[13:14], v20
.LBB4_7:
	s_or_b32 exec_lo, exec_lo, s0
	v_cvt_f32_f64_e32 v21, v[7:8]
	s_delay_alu instid0(VALU_DEP_2) | instskip(NEXT) | instid1(VALU_DEP_2)
	v_dual_mov_b32 v16, v14 :: v_dual_mov_b32 v15, v13
	v_cmp_nlg_f32_e64 s1, 0x7f800000, |v21|
	v_mov_b32_e32 v21, v20
	s_delay_alu instid0(VALU_DEP_2)
	s_and_saveexec_b32 s0, s1
	s_cbranch_execz .LBB4_9
; %bb.8:
	v_dual_mov_b32 v15, 0 :: v_dual_mov_b32 v16, 1.0
	global_store_b32 v15, v16, s[4:5]
	global_load_b32 v21, v15, s[6:7]
	s_waitcnt vmcnt(0)
	v_cvt_f64_f32_e32 v[15:16], v21
.LBB4_9:
	s_or_b32 exec_lo, exec_lo, s0
	v_mul_f64 v[11:12], v[3:4], v[11:12]
	v_mul_f64 v[9:10], v[1:2], v[9:10]
	;; [unrolled: 1-line block ×3, first 2 shown]
	s_delay_alu instid0(VALU_DEP_4)
	v_mul_f64 v[15:16], v[7:8], v[15:16]
	s_add_u32 s16, s8, s2
	v_cmp_eq_f32_e64 s1, 1.0, v18
	s_addc_u32 s17, s9, s3
	v_add_co_u32 v18, s2, s16, v17
	v_cmp_eq_f32_e64 s0, 1.0, v19
	v_cmp_eq_f32_e32 vcc_lo, 1.0, v20
	v_add_co_ci_u32_e64 v19, null, s17, 0, s2
	v_cmp_eq_f32_e64 s2, 1.0, v21
	v_add_co_u32 v18, s3, 0x1000, v18
	s_delay_alu instid0(VALU_DEP_1)
	v_add_co_ci_u32_e64 v19, s3, 0, v19, s3
	v_cndmask_b32_e64 v4, v12, v4, s0
	v_cndmask_b32_e64 v3, v11, v3, s0
	;; [unrolled: 1-line block ×4, first 2 shown]
	v_dual_cndmask_b32 v6, v14, v6 :: v_dual_cndmask_b32 v5, v13, v5
	v_cndmask_b32_e64 v8, v16, v8, s2
	v_cndmask_b32_e64 v7, v15, v7, s2
	s_mov_b32 s0, 0
	s_clause 0x1
	global_store_b128 v17, v[1:4], s[16:17]
	global_store_b128 v[18:19], v[5:8], off
.LBB4_10:
	s_and_b32 vcc_lo, exec_lo, s0
	s_cbranch_vccz .LBB4_37
; %bb.11:
	v_dual_mov_b32 v12, 0 :: v_dual_mov_b32 v1, v0
	v_mov_b32_e32 v13, 0
	v_cmp_gt_i32_e32 vcc_lo, s14, v0
	v_or_b32_e32 v9, s12, v0
	v_or_b32_e32 v18, 0x100, v0
	s_delay_alu instid0(VALU_DEP_4)
	v_dual_mov_b32 v17, v13 :: v_dual_mov_b32 v16, v12
	s_and_saveexec_b32 s1, vcc_lo
	s_cbranch_execz .LBB4_13
; %bb.12:
	v_mov_b32_e32 v10, 0
	s_delay_alu instid0(VALU_DEP_1) | instskip(NEXT) | instid1(VALU_DEP_1)
	v_lshlrev_b64 v[1:2], 3, v[9:10]
	v_add_co_u32 v1, s0, s10, v1
	s_delay_alu instid0(VALU_DEP_1)
	v_add_co_ci_u32_e64 v2, s0, s11, v2, s0
	global_load_b64 v[16:17], v[1:2], off
	v_or_b32_e32 v1, 0x100, v0
.LBB4_13:
	s_or_b32 exec_lo, exec_lo, s1
	s_delay_alu instid0(SALU_CYCLE_1) | instskip(NEXT) | instid1(VALU_DEP_1)
	s_mov_b32 s1, exec_lo
	v_cmpx_gt_i32_e64 s14, v1
	s_cbranch_execz .LBB4_15
; %bb.14:
	v_dual_mov_b32 v3, 0 :: v_dual_add_nc_u32 v2, s12, v1
	v_add_nc_u32_e32 v1, 0x100, v1
	s_delay_alu instid0(VALU_DEP_2) | instskip(NEXT) | instid1(VALU_DEP_1)
	v_lshlrev_b64 v[2:3], 3, v[2:3]
	v_add_co_u32 v2, s0, s10, v2
	s_delay_alu instid0(VALU_DEP_1)
	v_add_co_ci_u32_e64 v3, s0, s11, v3, s0
	global_load_b64 v[12:13], v[2:3], off
.LBB4_15:
	s_or_b32 exec_lo, exec_lo, s1
	v_mov_b32_e32 v10, 0
	v_mov_b32_e32 v11, 0
	s_mov_b32 s1, exec_lo
	s_delay_alu instid0(VALU_DEP_1)
	v_dual_mov_b32 v15, v11 :: v_dual_mov_b32 v14, v10
	v_cmpx_gt_i32_e64 s14, v1
	s_cbranch_execnz .LBB4_19
; %bb.16:
	s_or_b32 exec_lo, exec_lo, s1
	s_delay_alu instid0(SALU_CYCLE_1)
	s_mov_b32 s1, exec_lo
	v_cmpx_gt_i32_e64 s14, v1
	s_cbranch_execnz .LBB4_20
.LBB4_17:
	s_or_b32 exec_lo, exec_lo, s1
                                        ; implicit-def: $vgpr1_vgpr2_vgpr3_vgpr4_vgpr5_vgpr6_vgpr7_vgpr8
	s_and_saveexec_b32 s1, vcc_lo
	s_cbranch_execnz .LBB4_21
.LBB4_18:
	s_or_b32 exec_lo, exec_lo, s1
	s_delay_alu instid0(SALU_CYCLE_1)
	s_mov_b32 s1, exec_lo
	v_cmpx_gt_i32_e64 s14, v18
	s_cbranch_execnz .LBB4_24
	s_branch .LBB4_27
.LBB4_19:
	v_dual_mov_b32 v3, 0 :: v_dual_add_nc_u32 v2, s12, v1
	v_add_nc_u32_e32 v1, 0x100, v1
	s_delay_alu instid0(VALU_DEP_2) | instskip(NEXT) | instid1(VALU_DEP_1)
	v_lshlrev_b64 v[2:3], 3, v[2:3]
	v_add_co_u32 v2, s0, s10, v2
	s_delay_alu instid0(VALU_DEP_1) | instskip(SKIP_2) | instid1(SALU_CYCLE_1)
	v_add_co_ci_u32_e64 v3, s0, s11, v3, s0
	global_load_b64 v[14:15], v[2:3], off
	s_or_b32 exec_lo, exec_lo, s1
	s_mov_b32 s1, exec_lo
	v_cmpx_gt_i32_e64 s14, v1
	s_cbranch_execz .LBB4_17
.LBB4_20:
	v_dual_mov_b32 v2, 0 :: v_dual_add_nc_u32 v1, s12, v1
	s_delay_alu instid0(VALU_DEP_1) | instskip(NEXT) | instid1(VALU_DEP_1)
	v_lshlrev_b64 v[1:2], 3, v[1:2]
	v_add_co_u32 v1, s0, s10, v1
	s_delay_alu instid0(VALU_DEP_1)
	v_add_co_ci_u32_e64 v2, s0, s11, v2, s0
	global_load_b64 v[10:11], v[1:2], off
	s_or_b32 exec_lo, exec_lo, s1
                                        ; implicit-def: $vgpr1_vgpr2_vgpr3_vgpr4_vgpr5_vgpr6_vgpr7_vgpr8
	s_and_saveexec_b32 s1, vcc_lo
	s_cbranch_execz .LBB4_18
.LBB4_21:
	s_waitcnt vmcnt(0)
	v_cvt_f32_f64_e32 v1, v[16:17]
	s_mov_b32 s0, exec_lo
	s_delay_alu instid0(VALU_DEP_1)
	v_cmpx_nlg_f32_e64 0x7f800000, |v1|
	s_cbranch_execz .LBB4_23
; %bb.22:
	v_dual_mov_b32 v1, 0 :: v_dual_mov_b32 v2, 1.0
	global_store_b32 v1, v2, s[4:5]
.LBB4_23:
	s_or_b32 exec_lo, exec_lo, s0
	v_mov_b32_e32 v1, 0
	global_load_b32 v3, v1, s[6:7]
	s_waitcnt vmcnt(0)
	v_cvt_f64_f32_e32 v[1:2], v3
	v_cmp_eq_f32_e64 s0, 1.0, v3
	s_delay_alu instid0(VALU_DEP_2) | instskip(NEXT) | instid1(VALU_DEP_1)
	v_mul_f64 v[1:2], v[16:17], v[1:2]
	v_cndmask_b32_e64 v2, v2, v17, s0
	s_delay_alu instid0(VALU_DEP_2) | instskip(SKIP_1) | instid1(SALU_CYCLE_1)
	v_cndmask_b32_e64 v1, v1, v16, s0
	s_or_b32 exec_lo, exec_lo, s1
	s_mov_b32 s1, exec_lo
	v_cmpx_gt_i32_e64 s14, v18
	s_cbranch_execz .LBB4_27
.LBB4_24:
	s_waitcnt vmcnt(0)
	v_cvt_f32_f64_e32 v3, v[12:13]
	s_mov_b32 s0, exec_lo
	s_delay_alu instid0(VALU_DEP_1)
	v_cmpx_nlg_f32_e64 0x7f800000, |v3|
	s_cbranch_execz .LBB4_26
; %bb.25:
	v_dual_mov_b32 v3, 0 :: v_dual_mov_b32 v4, 1.0
	global_store_b32 v3, v4, s[4:5]
.LBB4_26:
	s_or_b32 exec_lo, exec_lo, s0
	v_mov_b32_e32 v3, 0
	global_load_b32 v16, v3, s[6:7]
	s_waitcnt vmcnt(0)
	v_cvt_f64_f32_e32 v[3:4], v16
	v_cmp_eq_f32_e64 s0, 1.0, v16
	s_delay_alu instid0(VALU_DEP_2) | instskip(NEXT) | instid1(VALU_DEP_1)
	v_mul_f64 v[3:4], v[12:13], v[3:4]
	v_cndmask_b32_e64 v4, v4, v13, s0
	s_delay_alu instid0(VALU_DEP_2)
	v_cndmask_b32_e64 v3, v3, v12, s0
.LBB4_27:
	s_or_b32 exec_lo, exec_lo, s1
	s_waitcnt vmcnt(0)
	v_or_b32_e32 v12, 0x200, v0
	s_mov_b32 s1, exec_lo
	s_delay_alu instid0(VALU_DEP_1)
	v_cmpx_gt_i32_e64 s14, v12
	s_cbranch_execz .LBB4_31
; %bb.28:
	v_cvt_f32_f64_e32 v5, v[14:15]
	s_mov_b32 s0, exec_lo
	s_delay_alu instid0(VALU_DEP_1)
	v_cmpx_nlg_f32_e64 0x7f800000, |v5|
	s_cbranch_execz .LBB4_30
; %bb.29:
	v_dual_mov_b32 v5, 0 :: v_dual_mov_b32 v6, 1.0
	global_store_b32 v5, v6, s[4:5]
.LBB4_30:
	s_or_b32 exec_lo, exec_lo, s0
	v_mov_b32_e32 v5, 0
	global_load_b32 v12, v5, s[6:7]
	s_waitcnt vmcnt(0)
	v_cvt_f64_f32_e32 v[5:6], v12
	v_cmp_eq_f32_e64 s0, 1.0, v12
	s_delay_alu instid0(VALU_DEP_2) | instskip(NEXT) | instid1(VALU_DEP_1)
	v_mul_f64 v[5:6], v[14:15], v[5:6]
	v_cndmask_b32_e64 v6, v6, v15, s0
	s_delay_alu instid0(VALU_DEP_2)
	v_cndmask_b32_e64 v5, v5, v14, s0
.LBB4_31:
	s_or_b32 exec_lo, exec_lo, s1
	v_or_b32_e32 v12, 0x300, v0
	s_mov_b32 s1, exec_lo
	s_delay_alu instid0(VALU_DEP_1)
	v_cmpx_gt_i32_e64 s14, v12
	s_cbranch_execnz .LBB4_38
; %bb.32:
	s_or_b32 exec_lo, exec_lo, s1
	s_and_saveexec_b32 s0, vcc_lo
	s_delay_alu instid0(SALU_CYCLE_1)
	s_xor_b32 s0, exec_lo, s0
	s_cbranch_execnz .LBB4_41
.LBB4_33:
	s_or_b32 exec_lo, exec_lo, s0
	s_delay_alu instid0(SALU_CYCLE_1)
	s_mov_b32 s0, exec_lo
	v_cmpx_gt_i32_e64 s14, v0
	s_cbranch_execnz .LBB4_42
.LBB4_34:
	s_or_b32 exec_lo, exec_lo, s0
	s_delay_alu instid0(SALU_CYCLE_1)
	s_mov_b32 s0, exec_lo
	v_cmpx_gt_i32_e64 s14, v0
	s_cbranch_execnz .LBB4_43
.LBB4_35:
	s_or_b32 exec_lo, exec_lo, s0
	s_delay_alu instid0(SALU_CYCLE_1)
	s_mov_b32 s0, exec_lo
	v_cmpx_gt_i32_e64 s14, v0
	s_cbranch_execz .LBB4_37
.LBB4_36:
	v_dual_mov_b32 v1, 0 :: v_dual_add_nc_u32 v0, s12, v0
	s_delay_alu instid0(VALU_DEP_1) | instskip(NEXT) | instid1(VALU_DEP_1)
	v_lshlrev_b64 v[0:1], 3, v[0:1]
	v_add_co_u32 v0, vcc_lo, s8, v0
	s_delay_alu instid0(VALU_DEP_2)
	v_add_co_ci_u32_e32 v1, vcc_lo, s9, v1, vcc_lo
	global_store_b64 v[0:1], v[7:8], off
.LBB4_37:
	s_nop 0
	s_sendmsg sendmsg(MSG_DEALLOC_VGPRS)
	s_endpgm
.LBB4_38:
	v_cvt_f32_f64_e32 v7, v[10:11]
	s_mov_b32 s0, exec_lo
	s_delay_alu instid0(VALU_DEP_1)
	v_cmpx_nlg_f32_e64 0x7f800000, |v7|
	s_cbranch_execz .LBB4_40
; %bb.39:
	v_dual_mov_b32 v7, 0 :: v_dual_mov_b32 v8, 1.0
	global_store_b32 v7, v8, s[4:5]
.LBB4_40:
	s_or_b32 exec_lo, exec_lo, s0
	v_mov_b32_e32 v7, 0
	global_load_b32 v12, v7, s[6:7]
	s_waitcnt vmcnt(0)
	v_cvt_f64_f32_e32 v[7:8], v12
	v_cmp_eq_f32_e64 s0, 1.0, v12
	s_delay_alu instid0(VALU_DEP_2) | instskip(NEXT) | instid1(VALU_DEP_1)
	v_mul_f64 v[7:8], v[10:11], v[7:8]
	v_cndmask_b32_e64 v8, v8, v11, s0
	s_delay_alu instid0(VALU_DEP_2) | instskip(SKIP_2) | instid1(SALU_CYCLE_1)
	v_cndmask_b32_e64 v7, v7, v10, s0
	s_or_b32 exec_lo, exec_lo, s1
	s_and_saveexec_b32 s0, vcc_lo
	s_xor_b32 s0, exec_lo, s0
	s_cbranch_execz .LBB4_33
.LBB4_41:
	v_mov_b32_e32 v10, 0
	v_mov_b32_e32 v0, v18
	s_delay_alu instid0(VALU_DEP_2) | instskip(NEXT) | instid1(VALU_DEP_1)
	v_lshlrev_b64 v[9:10], 3, v[9:10]
	v_add_co_u32 v9, vcc_lo, s8, v9
	s_delay_alu instid0(VALU_DEP_2) | instskip(SKIP_2) | instid1(SALU_CYCLE_1)
	v_add_co_ci_u32_e32 v10, vcc_lo, s9, v10, vcc_lo
	global_store_b64 v[9:10], v[1:2], off
	s_or_b32 exec_lo, exec_lo, s0
	s_mov_b32 s0, exec_lo
	v_cmpx_gt_i32_e64 s14, v0
	s_cbranch_execz .LBB4_34
.LBB4_42:
	v_dual_mov_b32 v2, 0 :: v_dual_add_nc_u32 v1, s12, v0
	v_add_nc_u32_e32 v0, 0x100, v0
	s_delay_alu instid0(VALU_DEP_2) | instskip(NEXT) | instid1(VALU_DEP_1)
	v_lshlrev_b64 v[1:2], 3, v[1:2]
	v_add_co_u32 v1, vcc_lo, s8, v1
	s_delay_alu instid0(VALU_DEP_2) | instskip(SKIP_2) | instid1(SALU_CYCLE_1)
	v_add_co_ci_u32_e32 v2, vcc_lo, s9, v2, vcc_lo
	global_store_b64 v[1:2], v[3:4], off
	s_or_b32 exec_lo, exec_lo, s0
	s_mov_b32 s0, exec_lo
	v_cmpx_gt_i32_e64 s14, v0
	s_cbranch_execz .LBB4_35
.LBB4_43:
	v_dual_mov_b32 v2, 0 :: v_dual_add_nc_u32 v1, s12, v0
	v_add_nc_u32_e32 v0, 0x100, v0
	s_delay_alu instid0(VALU_DEP_2) | instskip(NEXT) | instid1(VALU_DEP_1)
	v_lshlrev_b64 v[1:2], 3, v[1:2]
	v_add_co_u32 v1, vcc_lo, s8, v1
	s_delay_alu instid0(VALU_DEP_2) | instskip(SKIP_2) | instid1(SALU_CYCLE_1)
	v_add_co_ci_u32_e32 v2, vcc_lo, s9, v2, vcc_lo
	global_store_b64 v[1:2], v[5:6], off
	s_or_b32 exec_lo, exec_lo, s0
	s_mov_b32 s0, exec_lo
	v_cmpx_gt_i32_e64 s14, v0
	s_cbranch_execnz .LBB4_36
	s_branch .LBB4_37
	.section	.rodata,"a",@progbits
	.p2align	6, 0x0
	.amdhsa_kernel _ZN2at6native29vectorized_elementwise_kernelILi2EZZZNS0_12_GLOBAL__N_139_amp_non_finite_check_and_unscale_cuda_ERNS_6TensorES4_RKS3_ENKUlvE_clEvENKUlvE_clEvEUldE_St5arrayIPcLm2EEEEviT0_T1_
		.amdhsa_group_segment_fixed_size 0
		.amdhsa_private_segment_fixed_size 0
		.amdhsa_kernarg_size 40
		.amdhsa_user_sgpr_count 15
		.amdhsa_user_sgpr_dispatch_ptr 0
		.amdhsa_user_sgpr_queue_ptr 0
		.amdhsa_user_sgpr_kernarg_segment_ptr 1
		.amdhsa_user_sgpr_dispatch_id 0
		.amdhsa_user_sgpr_private_segment_size 0
		.amdhsa_wavefront_size32 1
		.amdhsa_uses_dynamic_stack 0
		.amdhsa_enable_private_segment 0
		.amdhsa_system_sgpr_workgroup_id_x 1
		.amdhsa_system_sgpr_workgroup_id_y 0
		.amdhsa_system_sgpr_workgroup_id_z 0
		.amdhsa_system_sgpr_workgroup_info 0
		.amdhsa_system_vgpr_workitem_id 0
		.amdhsa_next_free_vgpr 22
		.amdhsa_next_free_sgpr 18
		.amdhsa_reserve_vcc 1
		.amdhsa_float_round_mode_32 0
		.amdhsa_float_round_mode_16_64 0
		.amdhsa_float_denorm_mode_32 3
		.amdhsa_float_denorm_mode_16_64 3
		.amdhsa_dx10_clamp 1
		.amdhsa_ieee_mode 1
		.amdhsa_fp16_overflow 0
		.amdhsa_workgroup_processor_mode 1
		.amdhsa_memory_ordered 1
		.amdhsa_forward_progress 0
		.amdhsa_shared_vgpr_count 0
		.amdhsa_exception_fp_ieee_invalid_op 0
		.amdhsa_exception_fp_denorm_src 0
		.amdhsa_exception_fp_ieee_div_zero 0
		.amdhsa_exception_fp_ieee_overflow 0
		.amdhsa_exception_fp_ieee_underflow 0
		.amdhsa_exception_fp_ieee_inexact 0
		.amdhsa_exception_int_div_zero 0
	.end_amdhsa_kernel
	.section	.text._ZN2at6native29vectorized_elementwise_kernelILi2EZZZNS0_12_GLOBAL__N_139_amp_non_finite_check_and_unscale_cuda_ERNS_6TensorES4_RKS3_ENKUlvE_clEvENKUlvE_clEvEUldE_St5arrayIPcLm2EEEEviT0_T1_,"axG",@progbits,_ZN2at6native29vectorized_elementwise_kernelILi2EZZZNS0_12_GLOBAL__N_139_amp_non_finite_check_and_unscale_cuda_ERNS_6TensorES4_RKS3_ENKUlvE_clEvENKUlvE_clEvEUldE_St5arrayIPcLm2EEEEviT0_T1_,comdat
.Lfunc_end4:
	.size	_ZN2at6native29vectorized_elementwise_kernelILi2EZZZNS0_12_GLOBAL__N_139_amp_non_finite_check_and_unscale_cuda_ERNS_6TensorES4_RKS3_ENKUlvE_clEvENKUlvE_clEvEUldE_St5arrayIPcLm2EEEEviT0_T1_, .Lfunc_end4-_ZN2at6native29vectorized_elementwise_kernelILi2EZZZNS0_12_GLOBAL__N_139_amp_non_finite_check_and_unscale_cuda_ERNS_6TensorES4_RKS3_ENKUlvE_clEvENKUlvE_clEvEUldE_St5arrayIPcLm2EEEEviT0_T1_
                                        ; -- End function
	.section	.AMDGPU.csdata,"",@progbits
; Kernel info:
; codeLenInByte = 1948
; NumSgprs: 20
; NumVgprs: 22
; ScratchSize: 0
; MemoryBound: 0
; FloatMode: 240
; IeeeMode: 1
; LDSByteSize: 0 bytes/workgroup (compile time only)
; SGPRBlocks: 2
; VGPRBlocks: 2
; NumSGPRsForWavesPerEU: 20
; NumVGPRsForWavesPerEU: 22
; Occupancy: 16
; WaveLimiterHint : 1
; COMPUTE_PGM_RSRC2:SCRATCH_EN: 0
; COMPUTE_PGM_RSRC2:USER_SGPR: 15
; COMPUTE_PGM_RSRC2:TRAP_HANDLER: 0
; COMPUTE_PGM_RSRC2:TGID_X_EN: 1
; COMPUTE_PGM_RSRC2:TGID_Y_EN: 0
; COMPUTE_PGM_RSRC2:TGID_Z_EN: 0
; COMPUTE_PGM_RSRC2:TIDIG_COMP_CNT: 0
	.section	.text._ZN2at6native27unrolled_elementwise_kernelIZZZNS0_12_GLOBAL__N_139_amp_non_finite_check_and_unscale_cuda_ERNS_6TensorES4_RKS3_ENKUlvE_clEvENKUlvE_clEvEUldE_St5arrayIPcLm2EELi4E23TrivialOffsetCalculatorILi1EjESE_NS0_6memory15LoadWithoutCastENSF_16StoreWithoutCastEEEviT_T0_T2_T3_T4_T5_,"axG",@progbits,_ZN2at6native27unrolled_elementwise_kernelIZZZNS0_12_GLOBAL__N_139_amp_non_finite_check_and_unscale_cuda_ERNS_6TensorES4_RKS3_ENKUlvE_clEvENKUlvE_clEvEUldE_St5arrayIPcLm2EELi4E23TrivialOffsetCalculatorILi1EjESE_NS0_6memory15LoadWithoutCastENSF_16StoreWithoutCastEEEviT_T0_T2_T3_T4_T5_,comdat
	.globl	_ZN2at6native27unrolled_elementwise_kernelIZZZNS0_12_GLOBAL__N_139_amp_non_finite_check_and_unscale_cuda_ERNS_6TensorES4_RKS3_ENKUlvE_clEvENKUlvE_clEvEUldE_St5arrayIPcLm2EELi4E23TrivialOffsetCalculatorILi1EjESE_NS0_6memory15LoadWithoutCastENSF_16StoreWithoutCastEEEviT_T0_T2_T3_T4_T5_ ; -- Begin function _ZN2at6native27unrolled_elementwise_kernelIZZZNS0_12_GLOBAL__N_139_amp_non_finite_check_and_unscale_cuda_ERNS_6TensorES4_RKS3_ENKUlvE_clEvENKUlvE_clEvEUldE_St5arrayIPcLm2EELi4E23TrivialOffsetCalculatorILi1EjESE_NS0_6memory15LoadWithoutCastENSF_16StoreWithoutCastEEEviT_T0_T2_T3_T4_T5_
	.p2align	8
	.type	_ZN2at6native27unrolled_elementwise_kernelIZZZNS0_12_GLOBAL__N_139_amp_non_finite_check_and_unscale_cuda_ERNS_6TensorES4_RKS3_ENKUlvE_clEvENKUlvE_clEvEUldE_St5arrayIPcLm2EELi4E23TrivialOffsetCalculatorILi1EjESE_NS0_6memory15LoadWithoutCastENSF_16StoreWithoutCastEEEviT_T0_T2_T3_T4_T5_,@function
_ZN2at6native27unrolled_elementwise_kernelIZZZNS0_12_GLOBAL__N_139_amp_non_finite_check_and_unscale_cuda_ERNS_6TensorES4_RKS3_ENKUlvE_clEvENKUlvE_clEvEUldE_St5arrayIPcLm2EELi4E23TrivialOffsetCalculatorILi1EjESE_NS0_6memory15LoadWithoutCastENSF_16StoreWithoutCastEEEviT_T0_T2_T3_T4_T5_: ; @_ZN2at6native27unrolled_elementwise_kernelIZZZNS0_12_GLOBAL__N_139_amp_non_finite_check_and_unscale_cuda_ERNS_6TensorES4_RKS3_ENKUlvE_clEvENKUlvE_clEvEUldE_St5arrayIPcLm2EELi4E23TrivialOffsetCalculatorILi1EjESE_NS0_6memory15LoadWithoutCastENSF_16StoreWithoutCastEEEviT_T0_T2_T3_T4_T5_
; %bb.0:
	s_clause 0x1
	s_load_b32 s2, s[0:1], 0x0
	s_load_b256 s[4:11], s[0:1], 0x8
	v_dual_mov_b32 v12, 0 :: v_dual_mov_b32 v1, v0
	v_mov_b32_e32 v13, 0
	s_lshl_b32 s1, s15, 10
	v_or_b32_e32 v18, 0x100, v0
	v_or_b32_e32 v9, s1, v0
	s_delay_alu instid0(VALU_DEP_3) | instskip(SKIP_2) | instid1(SALU_CYCLE_1)
	v_dual_mov_b32 v17, v13 :: v_dual_mov_b32 v16, v12
	s_waitcnt lgkmcnt(0)
	s_sub_i32 s2, s2, s1
	v_cmp_gt_i32_e32 vcc_lo, s2, v0
	s_and_saveexec_b32 s3, vcc_lo
	s_cbranch_execz .LBB5_2
; %bb.1:
	v_mov_b32_e32 v10, 0
	s_delay_alu instid0(VALU_DEP_1) | instskip(NEXT) | instid1(VALU_DEP_1)
	v_lshlrev_b64 v[1:2], 3, v[9:10]
	v_add_co_u32 v1, s0, s10, v1
	s_delay_alu instid0(VALU_DEP_1)
	v_add_co_ci_u32_e64 v2, s0, s11, v2, s0
	global_load_b64 v[16:17], v[1:2], off
	v_or_b32_e32 v1, 0x100, v0
.LBB5_2:
	s_or_b32 exec_lo, exec_lo, s3
	s_delay_alu instid0(SALU_CYCLE_1) | instskip(NEXT) | instid1(VALU_DEP_1)
	s_mov_b32 s3, exec_lo
	v_cmpx_gt_i32_e64 s2, v1
	s_cbranch_execz .LBB5_4
; %bb.3:
	v_dual_mov_b32 v3, 0 :: v_dual_add_nc_u32 v2, s1, v1
	v_add_nc_u32_e32 v1, 0x100, v1
	s_delay_alu instid0(VALU_DEP_2) | instskip(NEXT) | instid1(VALU_DEP_1)
	v_lshlrev_b64 v[2:3], 3, v[2:3]
	v_add_co_u32 v2, s0, s10, v2
	s_delay_alu instid0(VALU_DEP_1)
	v_add_co_ci_u32_e64 v3, s0, s11, v3, s0
	global_load_b64 v[12:13], v[2:3], off
.LBB5_4:
	s_or_b32 exec_lo, exec_lo, s3
	v_mov_b32_e32 v10, 0
	v_mov_b32_e32 v11, 0
	s_mov_b32 s3, exec_lo
	s_delay_alu instid0(VALU_DEP_1)
	v_dual_mov_b32 v15, v11 :: v_dual_mov_b32 v14, v10
	v_cmpx_gt_i32_e64 s2, v1
	s_cbranch_execnz .LBB5_8
; %bb.5:
	s_or_b32 exec_lo, exec_lo, s3
	s_delay_alu instid0(SALU_CYCLE_1)
	s_mov_b32 s3, exec_lo
	v_cmpx_gt_i32_e64 s2, v1
	s_cbranch_execnz .LBB5_9
.LBB5_6:
	s_or_b32 exec_lo, exec_lo, s3
                                        ; implicit-def: $vgpr1_vgpr2_vgpr3_vgpr4_vgpr5_vgpr6_vgpr7_vgpr8
	s_and_saveexec_b32 s3, vcc_lo
	s_cbranch_execnz .LBB5_10
.LBB5_7:
	s_or_b32 exec_lo, exec_lo, s3
	s_delay_alu instid0(SALU_CYCLE_1)
	s_mov_b32 s3, exec_lo
	v_cmpx_gt_i32_e64 s2, v18
	s_cbranch_execnz .LBB5_13
	s_branch .LBB5_16
.LBB5_8:
	v_dual_mov_b32 v3, 0 :: v_dual_add_nc_u32 v2, s1, v1
	v_add_nc_u32_e32 v1, 0x100, v1
	s_delay_alu instid0(VALU_DEP_2) | instskip(NEXT) | instid1(VALU_DEP_1)
	v_lshlrev_b64 v[2:3], 3, v[2:3]
	v_add_co_u32 v2, s0, s10, v2
	s_delay_alu instid0(VALU_DEP_1) | instskip(SKIP_2) | instid1(SALU_CYCLE_1)
	v_add_co_ci_u32_e64 v3, s0, s11, v3, s0
	global_load_b64 v[14:15], v[2:3], off
	s_or_b32 exec_lo, exec_lo, s3
	s_mov_b32 s3, exec_lo
	v_cmpx_gt_i32_e64 s2, v1
	s_cbranch_execz .LBB5_6
.LBB5_9:
	v_dual_mov_b32 v2, 0 :: v_dual_add_nc_u32 v1, s1, v1
	s_delay_alu instid0(VALU_DEP_1) | instskip(NEXT) | instid1(VALU_DEP_1)
	v_lshlrev_b64 v[1:2], 3, v[1:2]
	v_add_co_u32 v1, s0, s10, v1
	s_delay_alu instid0(VALU_DEP_1)
	v_add_co_ci_u32_e64 v2, s0, s11, v2, s0
	global_load_b64 v[10:11], v[1:2], off
	s_or_b32 exec_lo, exec_lo, s3
                                        ; implicit-def: $vgpr1_vgpr2_vgpr3_vgpr4_vgpr5_vgpr6_vgpr7_vgpr8
	s_and_saveexec_b32 s3, vcc_lo
	s_cbranch_execz .LBB5_7
.LBB5_10:
	s_waitcnt vmcnt(0)
	v_cvt_f32_f64_e32 v1, v[16:17]
	s_mov_b32 s0, exec_lo
	s_delay_alu instid0(VALU_DEP_1)
	v_cmpx_nlg_f32_e64 0x7f800000, |v1|
	s_cbranch_execz .LBB5_12
; %bb.11:
	v_dual_mov_b32 v1, 0 :: v_dual_mov_b32 v2, 1.0
	global_store_b32 v1, v2, s[4:5]
.LBB5_12:
	s_or_b32 exec_lo, exec_lo, s0
	v_mov_b32_e32 v1, 0
	global_load_b32 v3, v1, s[6:7]
	s_waitcnt vmcnt(0)
	v_cvt_f64_f32_e32 v[1:2], v3
	v_cmp_eq_f32_e64 s0, 1.0, v3
	s_delay_alu instid0(VALU_DEP_2) | instskip(NEXT) | instid1(VALU_DEP_1)
	v_mul_f64 v[1:2], v[16:17], v[1:2]
	v_cndmask_b32_e64 v2, v2, v17, s0
	s_delay_alu instid0(VALU_DEP_2) | instskip(SKIP_1) | instid1(SALU_CYCLE_1)
	v_cndmask_b32_e64 v1, v1, v16, s0
	s_or_b32 exec_lo, exec_lo, s3
	s_mov_b32 s3, exec_lo
	v_cmpx_gt_i32_e64 s2, v18
	s_cbranch_execz .LBB5_16
.LBB5_13:
	s_waitcnt vmcnt(0)
	v_cvt_f32_f64_e32 v3, v[12:13]
	s_mov_b32 s0, exec_lo
	s_delay_alu instid0(VALU_DEP_1)
	v_cmpx_nlg_f32_e64 0x7f800000, |v3|
	s_cbranch_execz .LBB5_15
; %bb.14:
	v_dual_mov_b32 v3, 0 :: v_dual_mov_b32 v4, 1.0
	global_store_b32 v3, v4, s[4:5]
.LBB5_15:
	s_or_b32 exec_lo, exec_lo, s0
	v_mov_b32_e32 v3, 0
	global_load_b32 v16, v3, s[6:7]
	s_waitcnt vmcnt(0)
	v_cvt_f64_f32_e32 v[3:4], v16
	v_cmp_eq_f32_e64 s0, 1.0, v16
	s_delay_alu instid0(VALU_DEP_2) | instskip(NEXT) | instid1(VALU_DEP_1)
	v_mul_f64 v[3:4], v[12:13], v[3:4]
	v_cndmask_b32_e64 v4, v4, v13, s0
	s_delay_alu instid0(VALU_DEP_2)
	v_cndmask_b32_e64 v3, v3, v12, s0
.LBB5_16:
	s_or_b32 exec_lo, exec_lo, s3
	s_waitcnt vmcnt(0)
	v_or_b32_e32 v12, 0x200, v0
	s_mov_b32 s3, exec_lo
	s_delay_alu instid0(VALU_DEP_1)
	v_cmpx_gt_i32_e64 s2, v12
	s_cbranch_execz .LBB5_20
; %bb.17:
	v_cvt_f32_f64_e32 v5, v[14:15]
	s_mov_b32 s0, exec_lo
	s_delay_alu instid0(VALU_DEP_1)
	v_cmpx_nlg_f32_e64 0x7f800000, |v5|
	s_cbranch_execz .LBB5_19
; %bb.18:
	v_dual_mov_b32 v5, 0 :: v_dual_mov_b32 v6, 1.0
	global_store_b32 v5, v6, s[4:5]
.LBB5_19:
	s_or_b32 exec_lo, exec_lo, s0
	v_mov_b32_e32 v5, 0
	global_load_b32 v12, v5, s[6:7]
	s_waitcnt vmcnt(0)
	v_cvt_f64_f32_e32 v[5:6], v12
	v_cmp_eq_f32_e64 s0, 1.0, v12
	s_delay_alu instid0(VALU_DEP_2) | instskip(NEXT) | instid1(VALU_DEP_1)
	v_mul_f64 v[5:6], v[14:15], v[5:6]
	v_cndmask_b32_e64 v6, v6, v15, s0
	s_delay_alu instid0(VALU_DEP_2)
	v_cndmask_b32_e64 v5, v5, v14, s0
.LBB5_20:
	s_or_b32 exec_lo, exec_lo, s3
	v_or_b32_e32 v12, 0x300, v0
	s_mov_b32 s3, exec_lo
	s_delay_alu instid0(VALU_DEP_1)
	v_cmpx_gt_i32_e64 s2, v12
	s_cbranch_execnz .LBB5_26
; %bb.21:
	s_or_b32 exec_lo, exec_lo, s3
	s_and_saveexec_b32 s0, vcc_lo
	s_delay_alu instid0(SALU_CYCLE_1)
	s_xor_b32 s0, exec_lo, s0
	s_cbranch_execnz .LBB5_29
.LBB5_22:
	s_or_b32 exec_lo, exec_lo, s0
	s_delay_alu instid0(SALU_CYCLE_1)
	s_mov_b32 s0, exec_lo
	v_cmpx_gt_i32_e64 s2, v0
	s_cbranch_execnz .LBB5_30
.LBB5_23:
	s_or_b32 exec_lo, exec_lo, s0
	s_delay_alu instid0(SALU_CYCLE_1)
	s_mov_b32 s0, exec_lo
	v_cmpx_gt_i32_e64 s2, v0
	s_cbranch_execnz .LBB5_31
.LBB5_24:
	s_or_b32 exec_lo, exec_lo, s0
	s_delay_alu instid0(SALU_CYCLE_1)
	s_mov_b32 s0, exec_lo
	v_cmpx_gt_i32_e64 s2, v0
	s_cbranch_execnz .LBB5_32
.LBB5_25:
	s_nop 0
	s_sendmsg sendmsg(MSG_DEALLOC_VGPRS)
	s_endpgm
.LBB5_26:
	v_cvt_f32_f64_e32 v7, v[10:11]
	s_mov_b32 s0, exec_lo
	s_delay_alu instid0(VALU_DEP_1)
	v_cmpx_nlg_f32_e64 0x7f800000, |v7|
	s_cbranch_execz .LBB5_28
; %bb.27:
	v_dual_mov_b32 v7, 0 :: v_dual_mov_b32 v8, 1.0
	global_store_b32 v7, v8, s[4:5]
.LBB5_28:
	s_or_b32 exec_lo, exec_lo, s0
	v_mov_b32_e32 v7, 0
	global_load_b32 v12, v7, s[6:7]
	s_waitcnt vmcnt(0)
	v_cvt_f64_f32_e32 v[7:8], v12
	v_cmp_eq_f32_e64 s0, 1.0, v12
	s_delay_alu instid0(VALU_DEP_2) | instskip(NEXT) | instid1(VALU_DEP_1)
	v_mul_f64 v[7:8], v[10:11], v[7:8]
	v_cndmask_b32_e64 v8, v8, v11, s0
	s_delay_alu instid0(VALU_DEP_2) | instskip(SKIP_2) | instid1(SALU_CYCLE_1)
	v_cndmask_b32_e64 v7, v7, v10, s0
	s_or_b32 exec_lo, exec_lo, s3
	s_and_saveexec_b32 s0, vcc_lo
	s_xor_b32 s0, exec_lo, s0
	s_cbranch_execz .LBB5_22
.LBB5_29:
	v_mov_b32_e32 v10, 0
	v_mov_b32_e32 v0, v18
	s_delay_alu instid0(VALU_DEP_2) | instskip(NEXT) | instid1(VALU_DEP_1)
	v_lshlrev_b64 v[9:10], 3, v[9:10]
	v_add_co_u32 v9, vcc_lo, s8, v9
	s_delay_alu instid0(VALU_DEP_2) | instskip(SKIP_2) | instid1(SALU_CYCLE_1)
	v_add_co_ci_u32_e32 v10, vcc_lo, s9, v10, vcc_lo
	global_store_b64 v[9:10], v[1:2], off
	s_or_b32 exec_lo, exec_lo, s0
	s_mov_b32 s0, exec_lo
	v_cmpx_gt_i32_e64 s2, v0
	s_cbranch_execz .LBB5_23
.LBB5_30:
	v_dual_mov_b32 v2, 0 :: v_dual_add_nc_u32 v1, s1, v0
	v_add_nc_u32_e32 v0, 0x100, v0
	s_delay_alu instid0(VALU_DEP_2) | instskip(NEXT) | instid1(VALU_DEP_1)
	v_lshlrev_b64 v[1:2], 3, v[1:2]
	v_add_co_u32 v1, vcc_lo, s8, v1
	s_delay_alu instid0(VALU_DEP_2) | instskip(SKIP_2) | instid1(SALU_CYCLE_1)
	v_add_co_ci_u32_e32 v2, vcc_lo, s9, v2, vcc_lo
	global_store_b64 v[1:2], v[3:4], off
	s_or_b32 exec_lo, exec_lo, s0
	s_mov_b32 s0, exec_lo
	v_cmpx_gt_i32_e64 s2, v0
	s_cbranch_execz .LBB5_24
.LBB5_31:
	v_dual_mov_b32 v2, 0 :: v_dual_add_nc_u32 v1, s1, v0
	v_add_nc_u32_e32 v0, 0x100, v0
	s_delay_alu instid0(VALU_DEP_2) | instskip(NEXT) | instid1(VALU_DEP_1)
	v_lshlrev_b64 v[1:2], 3, v[1:2]
	v_add_co_u32 v1, vcc_lo, s8, v1
	s_delay_alu instid0(VALU_DEP_2) | instskip(SKIP_2) | instid1(SALU_CYCLE_1)
	v_add_co_ci_u32_e32 v2, vcc_lo, s9, v2, vcc_lo
	global_store_b64 v[1:2], v[5:6], off
	s_or_b32 exec_lo, exec_lo, s0
	s_mov_b32 s0, exec_lo
	v_cmpx_gt_i32_e64 s2, v0
	s_cbranch_execz .LBB5_25
.LBB5_32:
	v_dual_mov_b32 v1, 0 :: v_dual_add_nc_u32 v0, s1, v0
	s_delay_alu instid0(VALU_DEP_1) | instskip(NEXT) | instid1(VALU_DEP_1)
	v_lshlrev_b64 v[0:1], 3, v[0:1]
	v_add_co_u32 v0, vcc_lo, s8, v0
	s_delay_alu instid0(VALU_DEP_2)
	v_add_co_ci_u32_e32 v1, vcc_lo, s9, v1, vcc_lo
	global_store_b64 v[0:1], v[7:8], off
	s_nop 0
	s_sendmsg sendmsg(MSG_DEALLOC_VGPRS)
	s_endpgm
	.section	.rodata,"a",@progbits
	.p2align	6, 0x0
	.amdhsa_kernel _ZN2at6native27unrolled_elementwise_kernelIZZZNS0_12_GLOBAL__N_139_amp_non_finite_check_and_unscale_cuda_ERNS_6TensorES4_RKS3_ENKUlvE_clEvENKUlvE_clEvEUldE_St5arrayIPcLm2EELi4E23TrivialOffsetCalculatorILi1EjESE_NS0_6memory15LoadWithoutCastENSF_16StoreWithoutCastEEEviT_T0_T2_T3_T4_T5_
		.amdhsa_group_segment_fixed_size 0
		.amdhsa_private_segment_fixed_size 0
		.amdhsa_kernarg_size 44
		.amdhsa_user_sgpr_count 15
		.amdhsa_user_sgpr_dispatch_ptr 0
		.amdhsa_user_sgpr_queue_ptr 0
		.amdhsa_user_sgpr_kernarg_segment_ptr 1
		.amdhsa_user_sgpr_dispatch_id 0
		.amdhsa_user_sgpr_private_segment_size 0
		.amdhsa_wavefront_size32 1
		.amdhsa_uses_dynamic_stack 0
		.amdhsa_enable_private_segment 0
		.amdhsa_system_sgpr_workgroup_id_x 1
		.amdhsa_system_sgpr_workgroup_id_y 0
		.amdhsa_system_sgpr_workgroup_id_z 0
		.amdhsa_system_sgpr_workgroup_info 0
		.amdhsa_system_vgpr_workitem_id 0
		.amdhsa_next_free_vgpr 19
		.amdhsa_next_free_sgpr 16
		.amdhsa_reserve_vcc 1
		.amdhsa_float_round_mode_32 0
		.amdhsa_float_round_mode_16_64 0
		.amdhsa_float_denorm_mode_32 3
		.amdhsa_float_denorm_mode_16_64 3
		.amdhsa_dx10_clamp 1
		.amdhsa_ieee_mode 1
		.amdhsa_fp16_overflow 0
		.amdhsa_workgroup_processor_mode 1
		.amdhsa_memory_ordered 1
		.amdhsa_forward_progress 0
		.amdhsa_shared_vgpr_count 0
		.amdhsa_exception_fp_ieee_invalid_op 0
		.amdhsa_exception_fp_denorm_src 0
		.amdhsa_exception_fp_ieee_div_zero 0
		.amdhsa_exception_fp_ieee_overflow 0
		.amdhsa_exception_fp_ieee_underflow 0
		.amdhsa_exception_fp_ieee_inexact 0
		.amdhsa_exception_int_div_zero 0
	.end_amdhsa_kernel
	.section	.text._ZN2at6native27unrolled_elementwise_kernelIZZZNS0_12_GLOBAL__N_139_amp_non_finite_check_and_unscale_cuda_ERNS_6TensorES4_RKS3_ENKUlvE_clEvENKUlvE_clEvEUldE_St5arrayIPcLm2EELi4E23TrivialOffsetCalculatorILi1EjESE_NS0_6memory15LoadWithoutCastENSF_16StoreWithoutCastEEEviT_T0_T2_T3_T4_T5_,"axG",@progbits,_ZN2at6native27unrolled_elementwise_kernelIZZZNS0_12_GLOBAL__N_139_amp_non_finite_check_and_unscale_cuda_ERNS_6TensorES4_RKS3_ENKUlvE_clEvENKUlvE_clEvEUldE_St5arrayIPcLm2EELi4E23TrivialOffsetCalculatorILi1EjESE_NS0_6memory15LoadWithoutCastENSF_16StoreWithoutCastEEEviT_T0_T2_T3_T4_T5_,comdat
.Lfunc_end5:
	.size	_ZN2at6native27unrolled_elementwise_kernelIZZZNS0_12_GLOBAL__N_139_amp_non_finite_check_and_unscale_cuda_ERNS_6TensorES4_RKS3_ENKUlvE_clEvENKUlvE_clEvEUldE_St5arrayIPcLm2EELi4E23TrivialOffsetCalculatorILi1EjESE_NS0_6memory15LoadWithoutCastENSF_16StoreWithoutCastEEEviT_T0_T2_T3_T4_T5_, .Lfunc_end5-_ZN2at6native27unrolled_elementwise_kernelIZZZNS0_12_GLOBAL__N_139_amp_non_finite_check_and_unscale_cuda_ERNS_6TensorES4_RKS3_ENKUlvE_clEvENKUlvE_clEvEUldE_St5arrayIPcLm2EELi4E23TrivialOffsetCalculatorILi1EjESE_NS0_6memory15LoadWithoutCastENSF_16StoreWithoutCastEEEviT_T0_T2_T3_T4_T5_
                                        ; -- End function
	.section	.AMDGPU.csdata,"",@progbits
; Kernel info:
; codeLenInByte = 1364
; NumSgprs: 18
; NumVgprs: 19
; ScratchSize: 0
; MemoryBound: 0
; FloatMode: 240
; IeeeMode: 1
; LDSByteSize: 0 bytes/workgroup (compile time only)
; SGPRBlocks: 2
; VGPRBlocks: 2
; NumSGPRsForWavesPerEU: 18
; NumVGPRsForWavesPerEU: 19
; Occupancy: 16
; WaveLimiterHint : 0
; COMPUTE_PGM_RSRC2:SCRATCH_EN: 0
; COMPUTE_PGM_RSRC2:USER_SGPR: 15
; COMPUTE_PGM_RSRC2:TRAP_HANDLER: 0
; COMPUTE_PGM_RSRC2:TGID_X_EN: 1
; COMPUTE_PGM_RSRC2:TGID_Y_EN: 0
; COMPUTE_PGM_RSRC2:TGID_Z_EN: 0
; COMPUTE_PGM_RSRC2:TIDIG_COMP_CNT: 0
	.section	.text._ZN2at6native32elementwise_kernel_manual_unrollILi128ELi4EZNS0_22gpu_kernel_impl_nocastIZZZNS0_12_GLOBAL__N_139_amp_non_finite_check_and_unscale_cuda_ERNS_6TensorES5_RKS4_ENKUlvE_clEvENKUlvE_clEvEUldE_EEvRNS_18TensorIteratorBaseERKT_EUlibE_EEviT1_,"axG",@progbits,_ZN2at6native32elementwise_kernel_manual_unrollILi128ELi4EZNS0_22gpu_kernel_impl_nocastIZZZNS0_12_GLOBAL__N_139_amp_non_finite_check_and_unscale_cuda_ERNS_6TensorES5_RKS4_ENKUlvE_clEvENKUlvE_clEvEUldE_EEvRNS_18TensorIteratorBaseERKT_EUlibE_EEviT1_,comdat
	.globl	_ZN2at6native32elementwise_kernel_manual_unrollILi128ELi4EZNS0_22gpu_kernel_impl_nocastIZZZNS0_12_GLOBAL__N_139_amp_non_finite_check_and_unscale_cuda_ERNS_6TensorES5_RKS4_ENKUlvE_clEvENKUlvE_clEvEUldE_EEvRNS_18TensorIteratorBaseERKT_EUlibE_EEviT1_ ; -- Begin function _ZN2at6native32elementwise_kernel_manual_unrollILi128ELi4EZNS0_22gpu_kernel_impl_nocastIZZZNS0_12_GLOBAL__N_139_amp_non_finite_check_and_unscale_cuda_ERNS_6TensorES5_RKS4_ENKUlvE_clEvENKUlvE_clEvEUldE_EEvRNS_18TensorIteratorBaseERKT_EUlibE_EEviT1_
	.p2align	8
	.type	_ZN2at6native32elementwise_kernel_manual_unrollILi128ELi4EZNS0_22gpu_kernel_impl_nocastIZZZNS0_12_GLOBAL__N_139_amp_non_finite_check_and_unscale_cuda_ERNS_6TensorES5_RKS4_ENKUlvE_clEvENKUlvE_clEvEUldE_EEvRNS_18TensorIteratorBaseERKT_EUlibE_EEviT1_,@function
_ZN2at6native32elementwise_kernel_manual_unrollILi128ELi4EZNS0_22gpu_kernel_impl_nocastIZZZNS0_12_GLOBAL__N_139_amp_non_finite_check_and_unscale_cuda_ERNS_6TensorES5_RKS4_ENKUlvE_clEvENKUlvE_clEvEUldE_EEvRNS_18TensorIteratorBaseERKT_EUlibE_EEviT1_: ; @_ZN2at6native32elementwise_kernel_manual_unrollILi128ELi4EZNS0_22gpu_kernel_impl_nocastIZZZNS0_12_GLOBAL__N_139_amp_non_finite_check_and_unscale_cuda_ERNS_6TensorES5_RKS4_ENKUlvE_clEvENKUlvE_clEvEUldE_EEvRNS_18TensorIteratorBaseERKT_EUlibE_EEviT1_
; %bb.0:
	s_clause 0x1
	s_load_b32 s26, s[0:1], 0x8
	s_load_b32 s31, s[0:1], 0x0
	v_lshl_or_b32 v4, s15, 9, v0
	s_or_b32 s0, s0, 8
	s_mov_b32 s2, exec_lo
	s_delay_alu instid0(VALU_DEP_1) | instskip(SKIP_2) | instid1(SALU_CYCLE_1)
	v_or_b32_e32 v8, 0x180, v4
	s_waitcnt lgkmcnt(0)
	s_add_i32 s27, s26, -1
	s_cmp_gt_u32 s27, 1
	s_cselect_b32 s28, -1, 0
	v_cmpx_le_i32_e64 s31, v8
	s_xor_b32 s29, exec_lo, s2
	s_cbranch_execz .LBB6_7
; %bb.1:
	s_clause 0x3
	s_load_b128 s[16:19], s[0:1], 0x4
	s_load_b64 s[2:3], s[0:1], 0x14
	s_load_b128 s[12:15], s[0:1], 0xc4
	s_load_b256 s[4:11], s[0:1], 0x148
	s_cmp_lg_u32 s26, 0
	s_mov_b32 s35, exec_lo
	s_cselect_b32 s34, -1, 0
	s_add_u32 s20, s0, 0xc4
	s_addc_u32 s21, s1, 0
	s_min_u32 s33, s27, 15
	s_cmp_gt_u32 s26, 1
	s_cselect_b32 s30, -1, 0
	v_cmpx_gt_i32_e64 s31, v4
	s_cbranch_execz .LBB6_14
; %bb.2:
	s_and_not1_b32 vcc_lo, exec_lo, s28
	s_cbranch_vccnz .LBB6_21
; %bb.3:
	v_dual_mov_b32 v0, 0 :: v_dual_mov_b32 v1, 0
	s_and_not1_b32 vcc_lo, exec_lo, s34
	s_mov_b32 s36, 0
	s_cbranch_vccnz .LBB6_81
; %bb.4:
	v_mov_b32_e32 v0, 0
	s_add_i32 s38, s33, 1
	s_cmp_eq_u32 s27, 2
	s_mov_b32 s37, 0
	s_cbranch_scc1 .LBB6_77
; %bb.5:
	v_dual_mov_b32 v1, 0 :: v_dual_mov_b32 v0, 0
	v_mov_b32_e32 v2, v4
	s_and_b32 s37, s38, 28
	s_mov_b32 s39, 0
	s_mov_b64 s[22:23], s[20:21]
	s_mov_b64 s[24:25], s[0:1]
.LBB6_6:                                ; =>This Inner Loop Header: Depth=1
	s_clause 0x1
	s_load_b256 s[40:47], s[24:25], 0x4
	s_load_b128 s[56:59], s[24:25], 0x24
	s_load_b256 s[48:55], s[22:23], 0x0
	s_add_u32 s24, s24, 48
	s_addc_u32 s25, s25, 0
	s_add_i32 s39, s39, 4
	s_add_u32 s22, s22, 32
	s_addc_u32 s23, s23, 0
	s_cmp_lg_u32 s37, s39
	s_waitcnt lgkmcnt(0)
	v_mul_hi_u32 v3, s41, v2
	s_delay_alu instid0(VALU_DEP_1) | instskip(NEXT) | instid1(VALU_DEP_1)
	v_add_nc_u32_e32 v3, v2, v3
	v_lshrrev_b32_e32 v3, s42, v3
	s_delay_alu instid0(VALU_DEP_1) | instskip(SKIP_1) | instid1(VALU_DEP_2)
	v_mul_hi_u32 v5, s44, v3
	v_mul_lo_u32 v7, v3, s40
	v_add_nc_u32_e32 v5, v3, v5
	s_delay_alu instid0(VALU_DEP_2) | instskip(NEXT) | instid1(VALU_DEP_2)
	v_sub_nc_u32_e32 v2, v2, v7
	v_lshrrev_b32_e32 v5, s45, v5
	s_delay_alu instid0(VALU_DEP_2) | instskip(SKIP_1) | instid1(VALU_DEP_3)
	v_mul_lo_u32 v7, v2, s48
	v_mul_lo_u32 v9, v2, s49
	v_mul_hi_u32 v6, s47, v5
	s_delay_alu instid0(VALU_DEP_1) | instskip(NEXT) | instid1(VALU_DEP_1)
	v_add_nc_u32_e32 v6, v5, v6
	v_lshrrev_b32_e32 v6, s56, v6
	s_delay_alu instid0(VALU_DEP_1) | instskip(SKIP_1) | instid1(VALU_DEP_2)
	v_mul_hi_u32 v8, s58, v6
	v_mul_lo_u32 v10, v6, s46
	v_add_nc_u32_e32 v2, v6, v8
	v_mul_lo_u32 v8, v5, s43
	s_delay_alu instid0(VALU_DEP_3) | instskip(NEXT) | instid1(VALU_DEP_3)
	v_sub_nc_u32_e32 v5, v5, v10
	v_lshrrev_b32_e32 v2, s59, v2
	s_delay_alu instid0(VALU_DEP_2) | instskip(SKIP_2) | instid1(VALU_DEP_4)
	v_mul_lo_u32 v10, v5, s52
	v_mul_lo_u32 v5, v5, s53
	v_sub_nc_u32_e32 v3, v3, v8
	v_mul_lo_u32 v11, v2, s57
	s_delay_alu instid0(VALU_DEP_2) | instskip(SKIP_1) | instid1(VALU_DEP_3)
	v_mul_lo_u32 v8, v3, s50
	v_mul_lo_u32 v3, v3, s51
	v_sub_nc_u32_e32 v6, v6, v11
	s_delay_alu instid0(VALU_DEP_3) | instskip(NEXT) | instid1(VALU_DEP_2)
	v_add3_u32 v0, v7, v0, v8
	v_mul_lo_u32 v11, v6, s54
	v_mul_lo_u32 v6, v6, s55
	v_add3_u32 v1, v9, v1, v3
	s_delay_alu instid0(VALU_DEP_3) | instskip(NEXT) | instid1(VALU_DEP_2)
	v_add3_u32 v0, v10, v0, v11
	v_add3_u32 v1, v5, v1, v6
	s_cbranch_scc1 .LBB6_6
	s_branch .LBB6_78
.LBB6_7:
	s_and_not1_saveexec_b32 s2, s29
	s_cbranch_execz .LBB6_106
.LBB6_8:
	v_cndmask_b32_e64 v6, 0, 1, s28
	s_and_not1_b32 vcc_lo, exec_lo, s28
	s_cbranch_vccnz .LBB6_20
; %bb.9:
	v_dual_mov_b32 v0, 0 :: v_dual_mov_b32 v1, 0
	s_cmp_lg_u32 s26, 0
	s_mov_b32 s6, 0
	s_cbranch_scc0 .LBB6_26
; %bb.10:
	s_min_u32 s7, s27, 15
	v_mov_b32_e32 v0, 0
	s_add_i32 s7, s7, 1
	s_cmp_eq_u32 s27, 2
	s_mov_b32 s8, 0
	s_cbranch_scc1 .LBB6_23
; %bb.11:
	v_dual_mov_b32 v1, 0 :: v_dual_mov_b32 v0, 0
	v_mov_b32_e32 v2, v4
	s_add_u32 s2, s0, 0xc4
	s_addc_u32 s3, s1, 0
	s_and_b32 s8, s7, 28
	s_mov_b32 s9, 0
	s_mov_b64 s[4:5], s[0:1]
.LBB6_12:                               ; =>This Inner Loop Header: Depth=1
	s_clause 0x1
	s_load_b256 s[12:19], s[4:5], 0x4
	s_load_b128 s[20:23], s[4:5], 0x24
	s_load_b256 s[36:43], s[2:3], 0x0
	s_add_u32 s4, s4, 48
	s_addc_u32 s5, s5, 0
	s_add_i32 s9, s9, 4
	s_add_u32 s2, s2, 32
	s_addc_u32 s3, s3, 0
	s_cmp_lg_u32 s8, s9
	s_waitcnt lgkmcnt(0)
	v_mul_hi_u32 v3, s13, v2
	s_delay_alu instid0(VALU_DEP_1) | instskip(NEXT) | instid1(VALU_DEP_1)
	v_add_nc_u32_e32 v3, v2, v3
	v_lshrrev_b32_e32 v3, s14, v3
	s_delay_alu instid0(VALU_DEP_1) | instskip(SKIP_1) | instid1(VALU_DEP_2)
	v_mul_hi_u32 v5, s16, v3
	v_mul_lo_u32 v9, v3, s12
	v_add_nc_u32_e32 v5, v3, v5
	s_delay_alu instid0(VALU_DEP_2) | instskip(NEXT) | instid1(VALU_DEP_2)
	v_sub_nc_u32_e32 v2, v2, v9
	v_lshrrev_b32_e32 v5, s17, v5
	s_delay_alu instid0(VALU_DEP_2) | instskip(SKIP_1) | instid1(VALU_DEP_3)
	v_mul_lo_u32 v9, v2, s36
	v_mul_lo_u32 v11, v2, s37
	v_mul_hi_u32 v7, s19, v5
	s_delay_alu instid0(VALU_DEP_1) | instskip(NEXT) | instid1(VALU_DEP_1)
	v_add_nc_u32_e32 v7, v5, v7
	v_lshrrev_b32_e32 v7, s20, v7
	s_delay_alu instid0(VALU_DEP_1) | instskip(SKIP_1) | instid1(VALU_DEP_2)
	v_mul_hi_u32 v10, s22, v7
	v_mul_lo_u32 v12, v7, s18
	v_add_nc_u32_e32 v2, v7, v10
	v_mul_lo_u32 v10, v5, s15
	s_delay_alu instid0(VALU_DEP_3) | instskip(NEXT) | instid1(VALU_DEP_3)
	v_sub_nc_u32_e32 v5, v5, v12
	v_lshrrev_b32_e32 v2, s23, v2
	s_delay_alu instid0(VALU_DEP_2) | instskip(SKIP_2) | instid1(VALU_DEP_4)
	v_mul_lo_u32 v12, v5, s40
	v_mul_lo_u32 v5, v5, s41
	v_sub_nc_u32_e32 v3, v3, v10
	v_mul_lo_u32 v13, v2, s21
	s_delay_alu instid0(VALU_DEP_2) | instskip(SKIP_1) | instid1(VALU_DEP_3)
	v_mul_lo_u32 v10, v3, s38
	v_mul_lo_u32 v3, v3, s39
	v_sub_nc_u32_e32 v7, v7, v13
	s_delay_alu instid0(VALU_DEP_3) | instskip(NEXT) | instid1(VALU_DEP_2)
	v_add3_u32 v0, v9, v0, v10
	v_mul_lo_u32 v13, v7, s42
	v_mul_lo_u32 v7, v7, s43
	v_add3_u32 v1, v11, v1, v3
	s_delay_alu instid0(VALU_DEP_3) | instskip(NEXT) | instid1(VALU_DEP_2)
	v_add3_u32 v0, v12, v0, v13
	v_add3_u32 v1, v5, v1, v7
	s_cbranch_scc1 .LBB6_12
; %bb.13:
	s_and_b32 s7, s7, 3
	s_delay_alu instid0(SALU_CYCLE_1)
	s_cmp_eq_u32 s7, 0
	s_cbranch_scc0 .LBB6_24
	s_branch .LBB6_26
.LBB6_14:
	s_or_b32 exec_lo, exec_lo, s35
	s_delay_alu instid0(SALU_CYCLE_1)
	s_mov_b32 s35, exec_lo
	v_cmpx_gt_i32_e64 s31, v4
	s_cbranch_execz .LBB6_87
.LBB6_15:
	s_and_not1_b32 vcc_lo, exec_lo, s28
	s_cbranch_vccnz .LBB6_22
; %bb.16:
	v_dual_mov_b32 v0, 0 :: v_dual_mov_b32 v1, 0
	s_and_not1_b32 vcc_lo, exec_lo, s34
	s_mov_b32 s36, 0
	s_cbranch_vccnz .LBB6_98
; %bb.17:
	v_mov_b32_e32 v0, 0
	s_add_i32 s38, s33, 1
	s_cmp_eq_u32 s27, 2
	s_mov_b32 s37, 0
	s_cbranch_scc1 .LBB6_94
; %bb.18:
	v_dual_mov_b32 v1, 0 :: v_dual_mov_b32 v0, 0
	v_mov_b32_e32 v2, v4
	s_and_b32 s37, s38, 28
	s_mov_b32 s39, 0
	s_mov_b64 s[22:23], s[20:21]
	s_mov_b64 s[24:25], s[0:1]
.LBB6_19:                               ; =>This Inner Loop Header: Depth=1
	s_clause 0x1
	s_load_b256 s[40:47], s[24:25], 0x4
	s_load_b128 s[56:59], s[24:25], 0x24
	s_load_b256 s[48:55], s[22:23], 0x0
	s_add_u32 s24, s24, 48
	s_addc_u32 s25, s25, 0
	s_add_i32 s39, s39, 4
	s_add_u32 s22, s22, 32
	s_addc_u32 s23, s23, 0
	s_cmp_eq_u32 s37, s39
	s_waitcnt lgkmcnt(0)
	v_mul_hi_u32 v3, s41, v2
	s_delay_alu instid0(VALU_DEP_1) | instskip(NEXT) | instid1(VALU_DEP_1)
	v_add_nc_u32_e32 v3, v2, v3
	v_lshrrev_b32_e32 v3, s42, v3
	s_delay_alu instid0(VALU_DEP_1) | instskip(SKIP_1) | instid1(VALU_DEP_2)
	v_mul_hi_u32 v5, s44, v3
	v_mul_lo_u32 v7, v3, s40
	v_add_nc_u32_e32 v5, v3, v5
	s_delay_alu instid0(VALU_DEP_2) | instskip(NEXT) | instid1(VALU_DEP_2)
	v_sub_nc_u32_e32 v2, v2, v7
	v_lshrrev_b32_e32 v5, s45, v5
	s_delay_alu instid0(VALU_DEP_2) | instskip(SKIP_1) | instid1(VALU_DEP_3)
	v_mul_lo_u32 v7, v2, s48
	v_mul_lo_u32 v9, v2, s49
	v_mul_hi_u32 v6, s47, v5
	s_delay_alu instid0(VALU_DEP_1) | instskip(NEXT) | instid1(VALU_DEP_1)
	v_add_nc_u32_e32 v6, v5, v6
	v_lshrrev_b32_e32 v6, s56, v6
	s_delay_alu instid0(VALU_DEP_1) | instskip(SKIP_1) | instid1(VALU_DEP_2)
	v_mul_hi_u32 v8, s58, v6
	v_mul_lo_u32 v10, v6, s46
	v_add_nc_u32_e32 v2, v6, v8
	v_mul_lo_u32 v8, v5, s43
	s_delay_alu instid0(VALU_DEP_3) | instskip(NEXT) | instid1(VALU_DEP_3)
	v_sub_nc_u32_e32 v5, v5, v10
	v_lshrrev_b32_e32 v2, s59, v2
	s_delay_alu instid0(VALU_DEP_2) | instskip(SKIP_2) | instid1(VALU_DEP_4)
	v_mul_lo_u32 v10, v5, s52
	v_mul_lo_u32 v5, v5, s53
	v_sub_nc_u32_e32 v3, v3, v8
	v_mul_lo_u32 v11, v2, s57
	s_delay_alu instid0(VALU_DEP_2) | instskip(SKIP_1) | instid1(VALU_DEP_3)
	v_mul_lo_u32 v8, v3, s50
	v_mul_lo_u32 v3, v3, s51
	v_sub_nc_u32_e32 v6, v6, v11
	s_delay_alu instid0(VALU_DEP_3) | instskip(NEXT) | instid1(VALU_DEP_2)
	v_add3_u32 v0, v7, v0, v8
	v_mul_lo_u32 v11, v6, s54
	v_mul_lo_u32 v6, v6, s55
	v_add3_u32 v1, v9, v1, v3
	s_delay_alu instid0(VALU_DEP_3) | instskip(NEXT) | instid1(VALU_DEP_2)
	v_add3_u32 v0, v10, v0, v11
	v_add3_u32 v1, v5, v1, v6
	s_cbranch_scc0 .LBB6_19
	s_branch .LBB6_95
.LBB6_20:
	s_mov_b32 s6, -1
                                        ; implicit-def: $vgpr0
                                        ; implicit-def: $vgpr1
	s_branch .LBB6_26
.LBB6_21:
	s_mov_b32 s36, -1
                                        ; implicit-def: $vgpr0
                                        ; implicit-def: $vgpr1
	s_branch .LBB6_81
.LBB6_22:
	s_mov_b32 s36, -1
                                        ; implicit-def: $vgpr0
                                        ; implicit-def: $vgpr1
	s_branch .LBB6_98
.LBB6_23:
	v_dual_mov_b32 v2, v4 :: v_dual_mov_b32 v1, 0
	s_and_b32 s7, s7, 3
	s_delay_alu instid0(SALU_CYCLE_1)
	s_cmp_eq_u32 s7, 0
	s_cbranch_scc1 .LBB6_26
.LBB6_24:
	s_lshl_b32 s2, s8, 3
	s_mul_i32 s4, s8, 12
	s_add_u32 s2, s2, s0
	s_addc_u32 s3, 0, s1
	s_add_u32 s2, s2, 0xc4
	s_addc_u32 s3, s3, 0
	;; [unrolled: 2-line block ×3, first 2 shown]
	.p2align	6
.LBB6_25:                               ; =>This Inner Loop Header: Depth=1
	s_clause 0x1
	s_load_b64 s[8:9], s[4:5], 0x4
	s_load_b32 s12, s[4:5], 0xc
	s_load_b64 s[10:11], s[2:3], 0x0
	s_add_u32 s4, s4, 12
	s_addc_u32 s5, s5, 0
	s_add_u32 s2, s2, 8
	s_addc_u32 s3, s3, 0
	s_add_i32 s7, s7, -1
	s_delay_alu instid0(SALU_CYCLE_1) | instskip(SKIP_2) | instid1(VALU_DEP_1)
	s_cmp_lg_u32 s7, 0
	s_waitcnt lgkmcnt(0)
	v_mul_hi_u32 v3, s9, v2
	v_add_nc_u32_e32 v3, v2, v3
	s_delay_alu instid0(VALU_DEP_1) | instskip(NEXT) | instid1(VALU_DEP_1)
	v_lshrrev_b32_e32 v3, s12, v3
	v_mul_lo_u32 v5, v3, s8
	s_delay_alu instid0(VALU_DEP_1) | instskip(NEXT) | instid1(VALU_DEP_1)
	v_sub_nc_u32_e32 v2, v2, v5
	v_mad_u64_u32 v[9:10], null, v2, s10, v[0:1]
	v_mad_u64_u32 v[10:11], null, v2, s11, v[1:2]
	v_mov_b32_e32 v2, v3
	s_delay_alu instid0(VALU_DEP_2)
	v_dual_mov_b32 v0, v9 :: v_dual_mov_b32 v1, v10
	s_cbranch_scc1 .LBB6_25
.LBB6_26:
	s_and_not1_b32 vcc_lo, exec_lo, s6
	s_cbranch_vccnz .LBB6_29
; %bb.27:
	s_clause 0x1
	s_load_b128 s[4:7], s[0:1], 0x4
	s_load_b64 s[2:3], s[0:1], 0xc4
	s_cmp_lt_u32 s26, 2
	s_waitcnt lgkmcnt(0)
	v_mul_hi_u32 v0, s5, v4
	s_delay_alu instid0(VALU_DEP_1) | instskip(NEXT) | instid1(VALU_DEP_1)
	v_add_nc_u32_e32 v0, v4, v0
	v_lshrrev_b32_e32 v2, s6, v0
	s_delay_alu instid0(VALU_DEP_1) | instskip(NEXT) | instid1(VALU_DEP_1)
	v_mul_lo_u32 v0, v2, s4
	v_sub_nc_u32_e32 v1, v4, v0
	s_delay_alu instid0(VALU_DEP_1)
	v_mul_lo_u32 v0, v1, s2
	v_mul_lo_u32 v1, v1, s3
	s_cbranch_scc1 .LBB6_29
; %bb.28:
	s_clause 0x1
	s_load_b128 s[4:7], s[0:1], 0x10
	s_load_b64 s[2:3], s[0:1], 0xcc
	s_waitcnt lgkmcnt(0)
	v_mul_hi_u32 v3, s5, v2
	s_delay_alu instid0(VALU_DEP_1) | instskip(NEXT) | instid1(VALU_DEP_1)
	v_add_nc_u32_e32 v3, v2, v3
	v_lshrrev_b32_e32 v3, s6, v3
	s_delay_alu instid0(VALU_DEP_1) | instskip(NEXT) | instid1(VALU_DEP_1)
	v_mul_lo_u32 v3, v3, s4
	v_sub_nc_u32_e32 v5, v2, v3
	s_delay_alu instid0(VALU_DEP_1) | instskip(NEXT) | instid1(VALU_DEP_1)
	v_mad_u64_u32 v[2:3], null, v5, s2, v[0:1]
	v_mad_u64_u32 v[9:10], null, v5, s3, v[1:2]
	s_delay_alu instid0(VALU_DEP_1)
	v_dual_mov_b32 v0, v2 :: v_dual_mov_b32 v1, v9
.LBB6_29:
	v_cmp_ne_u32_e32 vcc_lo, 1, v6
	v_add_nc_u32_e32 v5, 0x80, v4
	s_cbranch_vccnz .LBB6_35
; %bb.30:
	v_dual_mov_b32 v2, 0 :: v_dual_mov_b32 v3, 0
	s_cmp_lg_u32 s26, 0
	s_mov_b32 s6, 0
	s_cbranch_scc0 .LBB6_39
; %bb.31:
	s_min_u32 s7, s27, 15
	v_mov_b32_e32 v2, 0
	s_add_i32 s7, s7, 1
	s_cmp_eq_u32 s27, 2
	s_mov_b32 s8, 0
	s_cbranch_scc1 .LBB6_36
; %bb.32:
	v_dual_mov_b32 v3, 0 :: v_dual_mov_b32 v2, 0
	v_mov_b32_e32 v7, v5
	s_add_u32 s2, s0, 0xc4
	s_addc_u32 s3, s1, 0
	s_and_b32 s8, s7, 28
	s_mov_b32 s9, 0
	s_mov_b64 s[4:5], s[0:1]
.LBB6_33:                               ; =>This Inner Loop Header: Depth=1
	s_clause 0x1
	s_load_b256 s[12:19], s[4:5], 0x4
	s_load_b128 s[20:23], s[4:5], 0x24
	s_load_b256 s[36:43], s[2:3], 0x0
	s_add_u32 s4, s4, 48
	s_addc_u32 s5, s5, 0
	s_add_i32 s9, s9, 4
	s_add_u32 s2, s2, 32
	s_addc_u32 s3, s3, 0
	s_cmp_lg_u32 s8, s9
	s_waitcnt lgkmcnt(0)
	v_mul_hi_u32 v9, s13, v7
	s_delay_alu instid0(VALU_DEP_1) | instskip(NEXT) | instid1(VALU_DEP_1)
	v_add_nc_u32_e32 v9, v7, v9
	v_lshrrev_b32_e32 v9, s14, v9
	s_delay_alu instid0(VALU_DEP_1) | instskip(SKIP_1) | instid1(VALU_DEP_2)
	v_mul_hi_u32 v10, s16, v9
	v_mul_lo_u32 v12, v9, s12
	v_add_nc_u32_e32 v10, v9, v10
	s_delay_alu instid0(VALU_DEP_2) | instskip(NEXT) | instid1(VALU_DEP_2)
	v_sub_nc_u32_e32 v7, v7, v12
	v_lshrrev_b32_e32 v10, s17, v10
	s_delay_alu instid0(VALU_DEP_2) | instskip(SKIP_1) | instid1(VALU_DEP_3)
	v_mul_lo_u32 v12, v7, s36
	v_mul_lo_u32 v14, v7, s37
	v_mul_hi_u32 v11, s19, v10
	s_delay_alu instid0(VALU_DEP_1) | instskip(NEXT) | instid1(VALU_DEP_1)
	v_add_nc_u32_e32 v11, v10, v11
	v_lshrrev_b32_e32 v11, s20, v11
	s_delay_alu instid0(VALU_DEP_1) | instskip(SKIP_1) | instid1(VALU_DEP_2)
	v_mul_hi_u32 v13, s22, v11
	v_mul_lo_u32 v15, v11, s18
	v_add_nc_u32_e32 v7, v11, v13
	v_mul_lo_u32 v13, v10, s15
	s_delay_alu instid0(VALU_DEP_3) | instskip(NEXT) | instid1(VALU_DEP_3)
	v_sub_nc_u32_e32 v10, v10, v15
	v_lshrrev_b32_e32 v7, s23, v7
	s_delay_alu instid0(VALU_DEP_2) | instskip(SKIP_2) | instid1(VALU_DEP_4)
	v_mul_lo_u32 v15, v10, s40
	v_mul_lo_u32 v10, v10, s41
	v_sub_nc_u32_e32 v9, v9, v13
	v_mul_lo_u32 v16, v7, s21
	s_delay_alu instid0(VALU_DEP_2) | instskip(SKIP_1) | instid1(VALU_DEP_3)
	v_mul_lo_u32 v13, v9, s38
	v_mul_lo_u32 v9, v9, s39
	v_sub_nc_u32_e32 v11, v11, v16
	s_delay_alu instid0(VALU_DEP_3) | instskip(NEXT) | instid1(VALU_DEP_2)
	v_add3_u32 v2, v12, v2, v13
	v_mul_lo_u32 v16, v11, s42
	v_mul_lo_u32 v11, v11, s43
	v_add3_u32 v3, v14, v3, v9
	s_delay_alu instid0(VALU_DEP_3) | instskip(NEXT) | instid1(VALU_DEP_2)
	v_add3_u32 v2, v15, v2, v16
	v_add3_u32 v3, v10, v3, v11
	s_cbranch_scc1 .LBB6_33
; %bb.34:
	s_and_b32 s7, s7, 3
	s_delay_alu instid0(SALU_CYCLE_1)
	s_cmp_eq_u32 s7, 0
	s_cbranch_scc0 .LBB6_37
	s_branch .LBB6_39
.LBB6_35:
	s_mov_b32 s6, -1
                                        ; implicit-def: $vgpr2
                                        ; implicit-def: $vgpr3
	s_branch .LBB6_39
.LBB6_36:
	v_mov_b32_e32 v7, v5
	v_mov_b32_e32 v3, 0
	s_and_b32 s7, s7, 3
	s_delay_alu instid0(SALU_CYCLE_1)
	s_cmp_eq_u32 s7, 0
	s_cbranch_scc1 .LBB6_39
.LBB6_37:
	s_lshl_b32 s2, s8, 3
	s_mul_i32 s4, s8, 12
	s_add_u32 s2, s2, s0
	s_addc_u32 s3, 0, s1
	s_add_u32 s2, s2, 0xc4
	s_addc_u32 s3, s3, 0
	;; [unrolled: 2-line block ×3, first 2 shown]
	.p2align	6
.LBB6_38:                               ; =>This Inner Loop Header: Depth=1
	s_clause 0x1
	s_load_b64 s[8:9], s[4:5], 0x4
	s_load_b32 s12, s[4:5], 0xc
	s_load_b64 s[10:11], s[2:3], 0x0
	s_add_u32 s4, s4, 12
	s_addc_u32 s5, s5, 0
	s_add_u32 s2, s2, 8
	s_addc_u32 s3, s3, 0
	s_add_i32 s7, s7, -1
	s_delay_alu instid0(SALU_CYCLE_1) | instskip(SKIP_2) | instid1(VALU_DEP_1)
	s_cmp_lg_u32 s7, 0
	s_waitcnt lgkmcnt(0)
	v_mul_hi_u32 v9, s9, v7
	v_add_nc_u32_e32 v9, v7, v9
	s_delay_alu instid0(VALU_DEP_1) | instskip(NEXT) | instid1(VALU_DEP_1)
	v_lshrrev_b32_e32 v12, s12, v9
	v_mul_lo_u32 v9, v12, s8
	s_delay_alu instid0(VALU_DEP_1) | instskip(NEXT) | instid1(VALU_DEP_1)
	v_sub_nc_u32_e32 v7, v7, v9
	v_mad_u64_u32 v[9:10], null, v7, s10, v[2:3]
	v_mad_u64_u32 v[10:11], null, v7, s11, v[3:4]
	s_delay_alu instid0(VALU_DEP_2) | instskip(NEXT) | instid1(VALU_DEP_2)
	v_dual_mov_b32 v7, v12 :: v_dual_mov_b32 v2, v9
	v_mov_b32_e32 v3, v10
	s_cbranch_scc1 .LBB6_38
.LBB6_39:
	s_and_not1_b32 vcc_lo, exec_lo, s6
	s_cbranch_vccnz .LBB6_42
; %bb.40:
	s_clause 0x1
	s_load_b128 s[4:7], s[0:1], 0x4
	s_load_b64 s[2:3], s[0:1], 0xc4
	s_cmp_lt_u32 s26, 2
	s_waitcnt lgkmcnt(0)
	v_mul_hi_u32 v2, s5, v5
	s_delay_alu instid0(VALU_DEP_1) | instskip(NEXT) | instid1(VALU_DEP_1)
	v_add_nc_u32_e32 v2, v5, v2
	v_lshrrev_b32_e32 v7, s6, v2
	s_delay_alu instid0(VALU_DEP_1) | instskip(NEXT) | instid1(VALU_DEP_1)
	v_mul_lo_u32 v2, v7, s4
	v_sub_nc_u32_e32 v3, v5, v2
	s_delay_alu instid0(VALU_DEP_1)
	v_mul_lo_u32 v2, v3, s2
	v_mul_lo_u32 v3, v3, s3
	s_cbranch_scc1 .LBB6_42
; %bb.41:
	s_clause 0x1
	s_load_b128 s[4:7], s[0:1], 0x10
	s_load_b64 s[2:3], s[0:1], 0xcc
	s_waitcnt lgkmcnt(0)
	v_mul_hi_u32 v5, s5, v7
	s_delay_alu instid0(VALU_DEP_1) | instskip(NEXT) | instid1(VALU_DEP_1)
	v_add_nc_u32_e32 v5, v7, v5
	v_lshrrev_b32_e32 v5, s6, v5
	s_delay_alu instid0(VALU_DEP_1) | instskip(NEXT) | instid1(VALU_DEP_1)
	v_mul_lo_u32 v5, v5, s4
	v_sub_nc_u32_e32 v5, v7, v5
	s_delay_alu instid0(VALU_DEP_1) | instskip(SKIP_1) | instid1(VALU_DEP_1)
	v_mad_u64_u32 v[9:10], null, v5, s2, v[2:3]
	v_mad_u64_u32 v[10:11], null, v5, s3, v[3:4]
	v_dual_mov_b32 v2, v9 :: v_dual_mov_b32 v3, v10
.LBB6_42:
	v_cmp_ne_u32_e32 vcc_lo, 1, v6
	v_add_nc_u32_e32 v7, 0x100, v4
	s_cbranch_vccnz .LBB6_48
; %bb.43:
	v_dual_mov_b32 v4, 0 :: v_dual_mov_b32 v5, 0
	s_cmp_lg_u32 s26, 0
	s_mov_b32 s6, 0
	s_cbranch_scc0 .LBB6_52
; %bb.44:
	s_min_u32 s7, s27, 15
	v_mov_b32_e32 v4, 0
	s_add_i32 s7, s7, 1
	s_cmp_eq_u32 s27, 2
	s_mov_b32 s8, 0
	s_cbranch_scc1 .LBB6_49
; %bb.45:
	v_dual_mov_b32 v5, 0 :: v_dual_mov_b32 v4, 0
	v_mov_b32_e32 v9, v7
	s_add_u32 s2, s0, 0xc4
	s_addc_u32 s3, s1, 0
	s_and_b32 s8, s7, 28
	s_mov_b32 s9, 0
	s_mov_b64 s[4:5], s[0:1]
.LBB6_46:                               ; =>This Inner Loop Header: Depth=1
	s_clause 0x1
	s_load_b256 s[12:19], s[4:5], 0x4
	s_load_b128 s[20:23], s[4:5], 0x24
	s_load_b256 s[36:43], s[2:3], 0x0
	s_add_u32 s4, s4, 48
	s_addc_u32 s5, s5, 0
	s_add_i32 s9, s9, 4
	s_add_u32 s2, s2, 32
	s_addc_u32 s3, s3, 0
	s_cmp_lg_u32 s8, s9
	s_waitcnt lgkmcnt(0)
	v_mul_hi_u32 v10, s13, v9
	s_delay_alu instid0(VALU_DEP_1) | instskip(NEXT) | instid1(VALU_DEP_1)
	v_add_nc_u32_e32 v10, v9, v10
	v_lshrrev_b32_e32 v10, s14, v10
	s_delay_alu instid0(VALU_DEP_1) | instskip(SKIP_1) | instid1(VALU_DEP_2)
	v_mul_hi_u32 v11, s16, v10
	v_mul_lo_u32 v13, v10, s12
	v_add_nc_u32_e32 v11, v10, v11
	s_delay_alu instid0(VALU_DEP_2) | instskip(NEXT) | instid1(VALU_DEP_2)
	v_sub_nc_u32_e32 v9, v9, v13
	v_lshrrev_b32_e32 v11, s17, v11
	s_delay_alu instid0(VALU_DEP_2) | instskip(SKIP_1) | instid1(VALU_DEP_3)
	v_mul_lo_u32 v13, v9, s36
	v_mul_lo_u32 v15, v9, s37
	v_mul_hi_u32 v12, s19, v11
	s_delay_alu instid0(VALU_DEP_1) | instskip(NEXT) | instid1(VALU_DEP_1)
	v_add_nc_u32_e32 v12, v11, v12
	v_lshrrev_b32_e32 v12, s20, v12
	s_delay_alu instid0(VALU_DEP_1) | instskip(SKIP_1) | instid1(VALU_DEP_2)
	v_mul_hi_u32 v14, s22, v12
	v_mul_lo_u32 v16, v12, s18
	v_add_nc_u32_e32 v9, v12, v14
	v_mul_lo_u32 v14, v11, s15
	s_delay_alu instid0(VALU_DEP_3) | instskip(NEXT) | instid1(VALU_DEP_3)
	v_sub_nc_u32_e32 v11, v11, v16
	v_lshrrev_b32_e32 v9, s23, v9
	s_delay_alu instid0(VALU_DEP_2) | instskip(SKIP_2) | instid1(VALU_DEP_4)
	v_mul_lo_u32 v16, v11, s40
	v_mul_lo_u32 v11, v11, s41
	v_sub_nc_u32_e32 v10, v10, v14
	v_mul_lo_u32 v17, v9, s21
	s_delay_alu instid0(VALU_DEP_2) | instskip(SKIP_1) | instid1(VALU_DEP_3)
	v_mul_lo_u32 v14, v10, s38
	v_mul_lo_u32 v10, v10, s39
	v_sub_nc_u32_e32 v12, v12, v17
	s_delay_alu instid0(VALU_DEP_3) | instskip(NEXT) | instid1(VALU_DEP_2)
	v_add3_u32 v4, v13, v4, v14
	v_mul_lo_u32 v17, v12, s42
	v_mul_lo_u32 v12, v12, s43
	v_add3_u32 v5, v15, v5, v10
	s_delay_alu instid0(VALU_DEP_3) | instskip(NEXT) | instid1(VALU_DEP_2)
	v_add3_u32 v4, v16, v4, v17
	v_add3_u32 v5, v11, v5, v12
	s_cbranch_scc1 .LBB6_46
; %bb.47:
	s_and_b32 s7, s7, 3
	s_delay_alu instid0(SALU_CYCLE_1)
	s_cmp_eq_u32 s7, 0
	s_cbranch_scc0 .LBB6_50
	s_branch .LBB6_52
.LBB6_48:
	s_mov_b32 s6, -1
                                        ; implicit-def: $vgpr4
                                        ; implicit-def: $vgpr5
	s_branch .LBB6_52
.LBB6_49:
	v_mov_b32_e32 v9, v7
	v_mov_b32_e32 v5, 0
	s_and_b32 s7, s7, 3
	s_delay_alu instid0(SALU_CYCLE_1)
	s_cmp_eq_u32 s7, 0
	s_cbranch_scc1 .LBB6_52
.LBB6_50:
	s_lshl_b32 s2, s8, 3
	s_mul_i32 s4, s8, 12
	s_add_u32 s2, s2, s0
	s_addc_u32 s3, 0, s1
	s_add_u32 s2, s2, 0xc4
	s_addc_u32 s3, s3, 0
	;; [unrolled: 2-line block ×3, first 2 shown]
	.p2align	6
.LBB6_51:                               ; =>This Inner Loop Header: Depth=1
	s_clause 0x1
	s_load_b64 s[8:9], s[4:5], 0x4
	s_load_b32 s12, s[4:5], 0xc
	s_load_b64 s[10:11], s[2:3], 0x0
	s_add_u32 s4, s4, 12
	s_addc_u32 s5, s5, 0
	s_add_u32 s2, s2, 8
	s_addc_u32 s3, s3, 0
	s_add_i32 s7, s7, -1
	s_delay_alu instid0(SALU_CYCLE_1) | instskip(SKIP_2) | instid1(VALU_DEP_1)
	s_cmp_lg_u32 s7, 0
	s_waitcnt lgkmcnt(0)
	v_mul_hi_u32 v10, s9, v9
	v_add_nc_u32_e32 v10, v9, v10
	s_delay_alu instid0(VALU_DEP_1) | instskip(NEXT) | instid1(VALU_DEP_1)
	v_lshrrev_b32_e32 v13, s12, v10
	v_mul_lo_u32 v10, v13, s8
	s_delay_alu instid0(VALU_DEP_1) | instskip(NEXT) | instid1(VALU_DEP_1)
	v_sub_nc_u32_e32 v9, v9, v10
	v_mad_u64_u32 v[10:11], null, v9, s10, v[4:5]
	v_mad_u64_u32 v[11:12], null, v9, s11, v[5:6]
	s_delay_alu instid0(VALU_DEP_2) | instskip(NEXT) | instid1(VALU_DEP_2)
	v_dual_mov_b32 v9, v13 :: v_dual_mov_b32 v4, v10
	v_mov_b32_e32 v5, v11
	s_cbranch_scc1 .LBB6_51
.LBB6_52:
	s_and_not1_b32 vcc_lo, exec_lo, s6
	s_cbranch_vccnz .LBB6_55
; %bb.53:
	s_clause 0x1
	s_load_b128 s[4:7], s[0:1], 0x4
	s_load_b64 s[2:3], s[0:1], 0xc4
	s_cmp_lt_u32 s26, 2
	s_waitcnt lgkmcnt(0)
	v_mul_hi_u32 v4, s5, v7
	s_delay_alu instid0(VALU_DEP_1) | instskip(NEXT) | instid1(VALU_DEP_1)
	v_add_nc_u32_e32 v4, v7, v4
	v_lshrrev_b32_e32 v9, s6, v4
	s_delay_alu instid0(VALU_DEP_1) | instskip(NEXT) | instid1(VALU_DEP_1)
	v_mul_lo_u32 v4, v9, s4
	v_sub_nc_u32_e32 v5, v7, v4
	s_delay_alu instid0(VALU_DEP_1)
	v_mul_lo_u32 v4, v5, s2
	v_mul_lo_u32 v5, v5, s3
	s_cbranch_scc1 .LBB6_55
; %bb.54:
	s_clause 0x1
	s_load_b128 s[4:7], s[0:1], 0x10
	s_load_b64 s[2:3], s[0:1], 0xcc
	s_waitcnt lgkmcnt(0)
	v_mul_hi_u32 v7, s5, v9
	s_delay_alu instid0(VALU_DEP_1) | instskip(NEXT) | instid1(VALU_DEP_1)
	v_add_nc_u32_e32 v7, v9, v7
	v_lshrrev_b32_e32 v7, s6, v7
	s_delay_alu instid0(VALU_DEP_1) | instskip(NEXT) | instid1(VALU_DEP_1)
	v_mul_lo_u32 v7, v7, s4
	v_sub_nc_u32_e32 v7, v9, v7
	s_delay_alu instid0(VALU_DEP_1) | instskip(SKIP_1) | instid1(VALU_DEP_1)
	v_mad_u64_u32 v[9:10], null, v7, s2, v[4:5]
	v_mad_u64_u32 v[10:11], null, v7, s3, v[5:6]
	v_dual_mov_b32 v4, v9 :: v_dual_mov_b32 v5, v10
.LBB6_55:
	v_cmp_ne_u32_e32 vcc_lo, 1, v6
	s_cbranch_vccnz .LBB6_61
; %bb.56:
	v_dual_mov_b32 v6, 0 :: v_dual_mov_b32 v7, 0
	s_cmp_lg_u32 s26, 0
	s_mov_b32 s6, 0
	s_cbranch_scc0 .LBB6_65
; %bb.57:
	s_min_u32 s7, s27, 15
	v_mov_b32_e32 v6, 0
	s_add_i32 s7, s7, 1
	s_cmp_eq_u32 s27, 2
	s_mov_b32 s8, 0
	s_cbranch_scc1 .LBB6_62
; %bb.58:
	v_dual_mov_b32 v7, 0 :: v_dual_mov_b32 v6, 0
	v_mov_b32_e32 v9, v8
	s_add_u32 s2, s0, 0xc4
	s_addc_u32 s3, s1, 0
	s_and_b32 s8, s7, 28
	s_mov_b32 s9, 0
	s_mov_b64 s[4:5], s[0:1]
.LBB6_59:                               ; =>This Inner Loop Header: Depth=1
	s_clause 0x1
	s_load_b256 s[12:19], s[4:5], 0x4
	s_load_b128 s[20:23], s[4:5], 0x24
	s_load_b256 s[36:43], s[2:3], 0x0
	s_add_u32 s4, s4, 48
	s_addc_u32 s5, s5, 0
	s_add_i32 s9, s9, 4
	s_add_u32 s2, s2, 32
	s_addc_u32 s3, s3, 0
	s_cmp_lg_u32 s8, s9
	s_waitcnt lgkmcnt(0)
	v_mul_hi_u32 v10, s13, v9
	s_delay_alu instid0(VALU_DEP_1) | instskip(NEXT) | instid1(VALU_DEP_1)
	v_add_nc_u32_e32 v10, v9, v10
	v_lshrrev_b32_e32 v10, s14, v10
	s_delay_alu instid0(VALU_DEP_1) | instskip(SKIP_1) | instid1(VALU_DEP_2)
	v_mul_hi_u32 v11, s16, v10
	v_mul_lo_u32 v13, v10, s12
	v_add_nc_u32_e32 v11, v10, v11
	s_delay_alu instid0(VALU_DEP_2) | instskip(NEXT) | instid1(VALU_DEP_2)
	v_sub_nc_u32_e32 v9, v9, v13
	v_lshrrev_b32_e32 v11, s17, v11
	s_delay_alu instid0(VALU_DEP_2) | instskip(SKIP_1) | instid1(VALU_DEP_3)
	v_mul_lo_u32 v13, v9, s36
	v_mul_lo_u32 v15, v9, s37
	v_mul_hi_u32 v12, s19, v11
	s_delay_alu instid0(VALU_DEP_1) | instskip(NEXT) | instid1(VALU_DEP_1)
	v_add_nc_u32_e32 v12, v11, v12
	v_lshrrev_b32_e32 v12, s20, v12
	s_delay_alu instid0(VALU_DEP_1) | instskip(SKIP_1) | instid1(VALU_DEP_2)
	v_mul_hi_u32 v14, s22, v12
	v_mul_lo_u32 v16, v12, s18
	v_add_nc_u32_e32 v9, v12, v14
	v_mul_lo_u32 v14, v11, s15
	s_delay_alu instid0(VALU_DEP_3) | instskip(NEXT) | instid1(VALU_DEP_3)
	v_sub_nc_u32_e32 v11, v11, v16
	v_lshrrev_b32_e32 v9, s23, v9
	s_delay_alu instid0(VALU_DEP_2) | instskip(SKIP_2) | instid1(VALU_DEP_4)
	v_mul_lo_u32 v16, v11, s40
	v_mul_lo_u32 v11, v11, s41
	v_sub_nc_u32_e32 v10, v10, v14
	v_mul_lo_u32 v17, v9, s21
	s_delay_alu instid0(VALU_DEP_2) | instskip(SKIP_1) | instid1(VALU_DEP_3)
	v_mul_lo_u32 v14, v10, s38
	v_mul_lo_u32 v10, v10, s39
	v_sub_nc_u32_e32 v12, v12, v17
	s_delay_alu instid0(VALU_DEP_3) | instskip(NEXT) | instid1(VALU_DEP_2)
	v_add3_u32 v6, v13, v6, v14
	v_mul_lo_u32 v17, v12, s42
	v_mul_lo_u32 v12, v12, s43
	v_add3_u32 v7, v15, v7, v10
	s_delay_alu instid0(VALU_DEP_3) | instskip(NEXT) | instid1(VALU_DEP_2)
	v_add3_u32 v6, v16, v6, v17
	v_add3_u32 v7, v11, v7, v12
	s_cbranch_scc1 .LBB6_59
; %bb.60:
	s_and_b32 s7, s7, 3
	s_delay_alu instid0(SALU_CYCLE_1)
	s_cmp_eq_u32 s7, 0
	s_cbranch_scc0 .LBB6_63
	s_branch .LBB6_65
.LBB6_61:
	s_mov_b32 s6, -1
                                        ; implicit-def: $vgpr6
                                        ; implicit-def: $vgpr7
	s_branch .LBB6_65
.LBB6_62:
	v_mov_b32_e32 v9, v8
	v_mov_b32_e32 v7, 0
	s_and_b32 s7, s7, 3
	s_delay_alu instid0(SALU_CYCLE_1)
	s_cmp_eq_u32 s7, 0
	s_cbranch_scc1 .LBB6_65
.LBB6_63:
	s_lshl_b32 s2, s8, 3
	s_mul_i32 s4, s8, 12
	s_add_u32 s2, s2, s0
	s_addc_u32 s3, 0, s1
	s_add_u32 s2, s2, 0xc4
	s_addc_u32 s3, s3, 0
	;; [unrolled: 2-line block ×3, first 2 shown]
	.p2align	6
.LBB6_64:                               ; =>This Inner Loop Header: Depth=1
	s_clause 0x1
	s_load_b64 s[8:9], s[4:5], 0x4
	s_load_b32 s12, s[4:5], 0xc
	s_load_b64 s[10:11], s[2:3], 0x0
	s_add_u32 s4, s4, 12
	s_addc_u32 s5, s5, 0
	s_add_u32 s2, s2, 8
	s_addc_u32 s3, s3, 0
	s_add_i32 s7, s7, -1
	s_delay_alu instid0(SALU_CYCLE_1) | instskip(SKIP_2) | instid1(VALU_DEP_1)
	s_cmp_lg_u32 s7, 0
	s_waitcnt lgkmcnt(0)
	v_mul_hi_u32 v10, s9, v9
	v_add_nc_u32_e32 v10, v9, v10
	s_delay_alu instid0(VALU_DEP_1) | instskip(NEXT) | instid1(VALU_DEP_1)
	v_lshrrev_b32_e32 v13, s12, v10
	v_mul_lo_u32 v10, v13, s8
	s_delay_alu instid0(VALU_DEP_1) | instskip(NEXT) | instid1(VALU_DEP_1)
	v_sub_nc_u32_e32 v9, v9, v10
	v_mad_u64_u32 v[10:11], null, v9, s10, v[6:7]
	v_mad_u64_u32 v[11:12], null, v9, s11, v[7:8]
	s_delay_alu instid0(VALU_DEP_2) | instskip(NEXT) | instid1(VALU_DEP_2)
	v_dual_mov_b32 v9, v13 :: v_dual_mov_b32 v6, v10
	v_mov_b32_e32 v7, v11
	s_cbranch_scc1 .LBB6_64
.LBB6_65:
	s_and_not1_b32 vcc_lo, exec_lo, s6
	s_cbranch_vccnz .LBB6_68
; %bb.66:
	s_clause 0x1
	s_load_b128 s[4:7], s[0:1], 0x4
	s_load_b64 s[2:3], s[0:1], 0xc4
	s_cmp_lt_u32 s26, 2
	s_waitcnt lgkmcnt(0)
	v_mul_hi_u32 v6, s5, v8
	s_delay_alu instid0(VALU_DEP_1) | instskip(NEXT) | instid1(VALU_DEP_1)
	v_add_nc_u32_e32 v6, v8, v6
	v_lshrrev_b32_e32 v9, s6, v6
	s_delay_alu instid0(VALU_DEP_1) | instskip(NEXT) | instid1(VALU_DEP_1)
	v_mul_lo_u32 v6, v9, s4
	v_sub_nc_u32_e32 v7, v8, v6
	s_delay_alu instid0(VALU_DEP_1)
	v_mul_lo_u32 v6, v7, s2
	v_mul_lo_u32 v7, v7, s3
	s_cbranch_scc1 .LBB6_68
; %bb.67:
	s_clause 0x1
	s_load_b128 s[4:7], s[0:1], 0x10
	s_load_b64 s[2:3], s[0:1], 0xcc
	s_waitcnt lgkmcnt(0)
	v_mul_hi_u32 v8, s5, v9
	s_delay_alu instid0(VALU_DEP_1) | instskip(NEXT) | instid1(VALU_DEP_1)
	v_add_nc_u32_e32 v8, v9, v8
	v_lshrrev_b32_e32 v8, s6, v8
	s_delay_alu instid0(VALU_DEP_1) | instskip(NEXT) | instid1(VALU_DEP_1)
	v_mul_lo_u32 v8, v8, s4
	v_sub_nc_u32_e32 v11, v9, v8
	s_delay_alu instid0(VALU_DEP_1) | instskip(NEXT) | instid1(VALU_DEP_1)
	v_mad_u64_u32 v[8:9], null, v11, s2, v[6:7]
	v_mad_u64_u32 v[9:10], null, v11, s3, v[7:8]
	s_delay_alu instid0(VALU_DEP_1)
	v_dual_mov_b32 v6, v8 :: v_dual_mov_b32 v7, v9
.LBB6_68:
	s_clause 0x1
	s_load_b128 s[4:7], s[0:1], 0x148
	s_load_b64 s[2:3], s[0:1], 0x160
	s_mov_b32 s8, exec_lo
	s_waitcnt lgkmcnt(0)
	global_load_b64 v[8:9], v1, s[6:7]
	s_waitcnt vmcnt(0)
	v_cvt_f32_f64_e32 v1, v[8:9]
	s_delay_alu instid0(VALU_DEP_1)
	v_cmpx_nlg_f32_e64 0x7f800000, |v1|
	s_cbranch_execz .LBB6_70
; %bb.69:
	s_load_b64 s[10:11], s[0:1], 0x158
	v_dual_mov_b32 v1, 0 :: v_dual_mov_b32 v10, 1.0
	s_waitcnt lgkmcnt(0)
	global_store_b32 v1, v10, s[10:11]
.LBB6_70:
	s_or_b32 exec_lo, exec_lo, s8
	v_mov_b32_e32 v14, 0
	global_load_b64 v[10:11], v3, s[6:7]
	global_load_b32 v1, v14, s[2:3]
	s_waitcnt vmcnt(1)
	v_cvt_f32_f64_e32 v3, v[10:11]
	s_waitcnt vmcnt(0)
	v_cvt_f64_f32_e32 v[12:13], v1
	s_delay_alu instid0(VALU_DEP_2) | instskip(NEXT) | instid1(VALU_DEP_2)
	v_cmp_nlg_f32_e64 s9, 0x7f800000, |v3|
	v_dual_mov_b32 v17, v13 :: v_dual_mov_b32 v16, v12
	v_mov_b32_e32 v3, v1
	s_delay_alu instid0(VALU_DEP_3)
	s_and_saveexec_b32 s8, s9
	s_cbranch_execz .LBB6_72
; %bb.71:
	s_load_b64 s[10:11], s[0:1], 0x158
	v_mov_b32_e32 v3, 1.0
	s_waitcnt lgkmcnt(0)
	global_store_b32 v14, v3, s[10:11]
	global_load_b32 v3, v14, s[2:3]
	s_waitcnt vmcnt(0)
	v_cvt_f64_f32_e32 v[16:17], v3
.LBB6_72:
	s_or_b32 exec_lo, exec_lo, s8
	global_load_b64 v[14:15], v5, s[6:7]
	v_dual_mov_b32 v21, v17 :: v_dual_mov_b32 v20, v16
	s_waitcnt vmcnt(0)
	v_cvt_f32_f64_e32 v5, v[14:15]
	s_delay_alu instid0(VALU_DEP_1) | instskip(SKIP_1) | instid1(VALU_DEP_2)
	v_cmp_nlg_f32_e64 s9, 0x7f800000, |v5|
	v_mov_b32_e32 v5, v3
	s_and_saveexec_b32 s8, s9
	s_cbranch_execz .LBB6_74
; %bb.73:
	s_load_b64 s[10:11], s[0:1], 0x158
	v_dual_mov_b32 v5, 0 :: v_dual_mov_b32 v18, 1.0
	s_waitcnt lgkmcnt(0)
	global_store_b32 v5, v18, s[10:11]
	global_load_b32 v5, v5, s[2:3]
	s_waitcnt vmcnt(0)
	v_cvt_f64_f32_e32 v[20:21], v5
.LBB6_74:
	s_or_b32 exec_lo, exec_lo, s8
	global_load_b64 v[18:19], v7, s[6:7]
	v_dual_mov_b32 v23, v21 :: v_dual_mov_b32 v22, v20
	s_waitcnt vmcnt(0)
	v_cvt_f32_f64_e32 v7, v[18:19]
	s_delay_alu instid0(VALU_DEP_1) | instskip(SKIP_1) | instid1(VALU_DEP_2)
	v_cmp_nlg_f32_e64 s7, 0x7f800000, |v7|
	v_mov_b32_e32 v7, v5
	s_and_saveexec_b32 s6, s7
	s_cbranch_execz .LBB6_76
; %bb.75:
	s_load_b64 s[0:1], s[0:1], 0x158
	v_dual_mov_b32 v7, 0 :: v_dual_mov_b32 v22, 1.0
	s_waitcnt lgkmcnt(0)
	global_store_b32 v7, v22, s[0:1]
	global_load_b32 v7, v7, s[2:3]
	s_waitcnt vmcnt(0)
	v_cvt_f64_f32_e32 v[22:23], v7
.LBB6_76:
	s_or_b32 exec_lo, exec_lo, s6
	v_mul_f64 v[12:13], v[8:9], v[12:13]
	v_mul_f64 v[16:17], v[10:11], v[16:17]
	;; [unrolled: 1-line block ×3, first 2 shown]
	s_delay_alu instid0(VALU_DEP_4) | instskip(SKIP_4) | instid1(VALU_DEP_4)
	v_mul_f64 v[22:23], v[18:19], v[22:23]
	v_cmp_eq_f32_e64 s0, 1.0, v1
	v_cmp_eq_f32_e64 s2, 1.0, v3
	v_cmp_eq_f32_e32 vcc_lo, 1.0, v5
	v_cmp_eq_f32_e64 s1, 1.0, v7
	v_cndmask_b32_e64 v9, v13, v9, s0
	v_cndmask_b32_e64 v8, v12, v8, s0
	;; [unrolled: 1-line block ×4, first 2 shown]
	v_dual_cndmask_b32 v15, v21, v15 :: v_dual_cndmask_b32 v14, v20, v14
	v_cndmask_b32_e64 v13, v23, v19, s1
	v_cndmask_b32_e64 v12, v22, v18, s1
	s_clause 0x3
	global_store_b64 v0, v[8:9], s[4:5]
	global_store_b64 v2, v[10:11], s[4:5]
	;; [unrolled: 1-line block ×4, first 2 shown]
	s_nop 0
	s_sendmsg sendmsg(MSG_DEALLOC_VGPRS)
	s_endpgm
.LBB6_77:
	v_dual_mov_b32 v2, v4 :: v_dual_mov_b32 v1, 0
.LBB6_78:
	s_and_b32 s38, s38, 3
	s_delay_alu instid0(SALU_CYCLE_1)
	s_cmp_eq_u32 s38, 0
	s_cbranch_scc1 .LBB6_81
; %bb.79:
	s_lshl_b32 s22, s37, 3
	s_mul_i32 s24, s37, 12
	s_add_u32 s22, s22, s0
	s_addc_u32 s23, s1, 0
	s_add_u32 s22, s22, 0xc4
	s_addc_u32 s23, s23, 0
	;; [unrolled: 2-line block ×3, first 2 shown]
	.p2align	6
.LBB6_80:                               ; =>This Inner Loop Header: Depth=1
	s_clause 0x1
	s_load_b64 s[40:41], s[24:25], 0x4
	s_load_b32 s37, s[24:25], 0xc
	s_load_b64 s[42:43], s[22:23], 0x0
	s_add_u32 s24, s24, 12
	s_addc_u32 s25, s25, 0
	s_add_u32 s22, s22, 8
	s_addc_u32 s23, s23, 0
	s_add_i32 s38, s38, -1
	s_delay_alu instid0(SALU_CYCLE_1) | instskip(SKIP_2) | instid1(VALU_DEP_1)
	s_cmp_lg_u32 s38, 0
	s_waitcnt lgkmcnt(0)
	v_mul_hi_u32 v3, s41, v2
	v_add_nc_u32_e32 v3, v2, v3
	s_delay_alu instid0(VALU_DEP_1) | instskip(NEXT) | instid1(VALU_DEP_1)
	v_lshrrev_b32_e32 v3, s37, v3
	v_mul_lo_u32 v5, v3, s40
	s_delay_alu instid0(VALU_DEP_1) | instskip(NEXT) | instid1(VALU_DEP_1)
	v_sub_nc_u32_e32 v2, v2, v5
	v_mad_u64_u32 v[5:6], null, v2, s42, v[0:1]
	v_mad_u64_u32 v[6:7], null, v2, s43, v[1:2]
	v_mov_b32_e32 v2, v3
	s_delay_alu instid0(VALU_DEP_2)
	v_dual_mov_b32 v0, v5 :: v_dual_mov_b32 v1, v6
	s_cbranch_scc1 .LBB6_80
.LBB6_81:
	s_and_not1_b32 vcc_lo, exec_lo, s36
	s_cbranch_vccnz .LBB6_84
; %bb.82:
	s_waitcnt lgkmcnt(0)
	v_mul_hi_u32 v0, s17, v4
	s_and_not1_b32 vcc_lo, exec_lo, s30
	s_delay_alu instid0(VALU_DEP_1) | instskip(NEXT) | instid1(VALU_DEP_1)
	v_add_nc_u32_e32 v0, v4, v0
	v_lshrrev_b32_e32 v2, s18, v0
	s_delay_alu instid0(VALU_DEP_1) | instskip(NEXT) | instid1(VALU_DEP_1)
	v_mul_lo_u32 v0, v2, s16
	v_sub_nc_u32_e32 v1, v4, v0
	s_delay_alu instid0(VALU_DEP_1)
	v_mul_lo_u32 v0, v1, s12
	v_mul_lo_u32 v1, v1, s13
	s_cbranch_vccnz .LBB6_84
; %bb.83:
	v_mul_hi_u32 v3, s2, v2
	s_delay_alu instid0(VALU_DEP_1) | instskip(NEXT) | instid1(VALU_DEP_1)
	v_add_nc_u32_e32 v3, v2, v3
	v_lshrrev_b32_e32 v3, s3, v3
	s_delay_alu instid0(VALU_DEP_1) | instskip(NEXT) | instid1(VALU_DEP_1)
	v_mul_lo_u32 v3, v3, s19
	v_sub_nc_u32_e32 v7, v2, v3
	s_delay_alu instid0(VALU_DEP_1) | instskip(NEXT) | instid1(VALU_DEP_1)
	v_mad_u64_u32 v[2:3], null, v7, s14, v[0:1]
	v_mad_u64_u32 v[5:6], null, v7, s15, v[1:2]
	s_delay_alu instid0(VALU_DEP_1)
	v_dual_mov_b32 v0, v2 :: v_dual_mov_b32 v1, v5
.LBB6_84:
	s_waitcnt lgkmcnt(0)
	global_load_b64 v[1:2], v1, s[6:7]
	s_mov_b32 s22, exec_lo
	s_waitcnt vmcnt(0)
	v_cvt_f32_f64_e32 v3, v[1:2]
	s_delay_alu instid0(VALU_DEP_1)
	v_cmpx_nlg_f32_e64 0x7f800000, |v3|
	s_cbranch_execz .LBB6_86
; %bb.85:
	v_mov_b32_e32 v3, 0
	v_mov_b32_e32 v5, 1.0
	global_store_b32 v3, v5, s[8:9]
.LBB6_86:
	s_or_b32 exec_lo, exec_lo, s22
	v_dual_mov_b32 v3, 0 :: v_dual_add_nc_u32 v4, 0x80, v4
	global_load_b32 v3, v3, s[10:11]
	s_waitcnt vmcnt(0)
	v_cvt_f64_f32_e32 v[5:6], v3
	v_cmp_eq_f32_e32 vcc_lo, 1.0, v3
	s_delay_alu instid0(VALU_DEP_2) | instskip(NEXT) | instid1(VALU_DEP_1)
	v_mul_f64 v[5:6], v[1:2], v[5:6]
	v_dual_cndmask_b32 v2, v6, v2 :: v_dual_cndmask_b32 v1, v5, v1
	global_store_b64 v0, v[1:2], s[4:5]
	s_or_b32 exec_lo, exec_lo, s35
	s_delay_alu instid0(SALU_CYCLE_1)
	s_mov_b32 s35, exec_lo
	v_cmpx_gt_i32_e64 s31, v4
	s_cbranch_execnz .LBB6_15
.LBB6_87:
	s_or_b32 exec_lo, exec_lo, s35
	s_delay_alu instid0(SALU_CYCLE_1)
	s_mov_b32 s35, exec_lo
	v_cmpx_gt_i32_e64 s31, v4
	s_cbranch_execz .LBB6_104
.LBB6_88:
	s_and_not1_b32 vcc_lo, exec_lo, s28
	s_cbranch_vccnz .LBB6_93
; %bb.89:
	v_dual_mov_b32 v0, 0 :: v_dual_mov_b32 v1, 0
	s_and_not1_b32 vcc_lo, exec_lo, s34
	s_mov_b32 s36, 0
	s_cbranch_vccnz .LBB6_111
; %bb.90:
	v_mov_b32_e32 v0, 0
	s_add_i32 s38, s33, 1
	s_cmp_eq_u32 s27, 2
	s_mov_b32 s37, 0
	s_cbranch_scc1 .LBB6_107
; %bb.91:
	v_dual_mov_b32 v1, 0 :: v_dual_mov_b32 v0, 0
	v_mov_b32_e32 v2, v4
	s_and_b32 s37, s38, 28
	s_mov_b32 s39, 0
	s_mov_b64 s[22:23], s[20:21]
	s_mov_b64 s[24:25], s[0:1]
.LBB6_92:                               ; =>This Inner Loop Header: Depth=1
	s_clause 0x1
	s_load_b256 s[40:47], s[24:25], 0x4
	s_load_b128 s[56:59], s[24:25], 0x24
	s_load_b256 s[48:55], s[22:23], 0x0
	s_add_u32 s24, s24, 48
	s_addc_u32 s25, s25, 0
	s_add_i32 s39, s39, 4
	s_add_u32 s22, s22, 32
	s_addc_u32 s23, s23, 0
	s_cmp_eq_u32 s37, s39
	s_waitcnt lgkmcnt(0)
	v_mul_hi_u32 v3, s41, v2
	s_delay_alu instid0(VALU_DEP_1) | instskip(NEXT) | instid1(VALU_DEP_1)
	v_add_nc_u32_e32 v3, v2, v3
	v_lshrrev_b32_e32 v3, s42, v3
	s_delay_alu instid0(VALU_DEP_1) | instskip(SKIP_1) | instid1(VALU_DEP_2)
	v_mul_hi_u32 v5, s44, v3
	v_mul_lo_u32 v7, v3, s40
	v_add_nc_u32_e32 v5, v3, v5
	s_delay_alu instid0(VALU_DEP_2) | instskip(NEXT) | instid1(VALU_DEP_2)
	v_sub_nc_u32_e32 v2, v2, v7
	v_lshrrev_b32_e32 v5, s45, v5
	s_delay_alu instid0(VALU_DEP_2) | instskip(SKIP_1) | instid1(VALU_DEP_3)
	v_mul_lo_u32 v7, v2, s48
	v_mul_lo_u32 v9, v2, s49
	v_mul_hi_u32 v6, s47, v5
	s_delay_alu instid0(VALU_DEP_1) | instskip(NEXT) | instid1(VALU_DEP_1)
	v_add_nc_u32_e32 v6, v5, v6
	v_lshrrev_b32_e32 v6, s56, v6
	s_delay_alu instid0(VALU_DEP_1) | instskip(SKIP_1) | instid1(VALU_DEP_2)
	v_mul_hi_u32 v8, s58, v6
	v_mul_lo_u32 v10, v6, s46
	v_add_nc_u32_e32 v2, v6, v8
	v_mul_lo_u32 v8, v5, s43
	s_delay_alu instid0(VALU_DEP_3) | instskip(NEXT) | instid1(VALU_DEP_3)
	v_sub_nc_u32_e32 v5, v5, v10
	v_lshrrev_b32_e32 v2, s59, v2
	s_delay_alu instid0(VALU_DEP_2) | instskip(SKIP_2) | instid1(VALU_DEP_4)
	v_mul_lo_u32 v10, v5, s52
	v_mul_lo_u32 v5, v5, s53
	v_sub_nc_u32_e32 v3, v3, v8
	v_mul_lo_u32 v11, v2, s57
	s_delay_alu instid0(VALU_DEP_2) | instskip(SKIP_1) | instid1(VALU_DEP_3)
	v_mul_lo_u32 v8, v3, s50
	v_mul_lo_u32 v3, v3, s51
	v_sub_nc_u32_e32 v6, v6, v11
	s_delay_alu instid0(VALU_DEP_3) | instskip(NEXT) | instid1(VALU_DEP_2)
	v_add3_u32 v0, v7, v0, v8
	v_mul_lo_u32 v11, v6, s54
	v_mul_lo_u32 v6, v6, s55
	v_add3_u32 v1, v9, v1, v3
	s_delay_alu instid0(VALU_DEP_3) | instskip(NEXT) | instid1(VALU_DEP_2)
	v_add3_u32 v0, v10, v0, v11
	v_add3_u32 v1, v5, v1, v6
	s_cbranch_scc0 .LBB6_92
	s_branch .LBB6_108
.LBB6_93:
	s_mov_b32 s36, -1
                                        ; implicit-def: $vgpr0
                                        ; implicit-def: $vgpr1
	s_branch .LBB6_111
.LBB6_94:
	v_dual_mov_b32 v2, v4 :: v_dual_mov_b32 v1, 0
.LBB6_95:
	s_and_b32 s38, s38, 3
	s_delay_alu instid0(SALU_CYCLE_1)
	s_cmp_eq_u32 s38, 0
	s_cbranch_scc1 .LBB6_98
; %bb.96:
	s_lshl_b32 s22, s37, 3
	s_mul_i32 s24, s37, 12
	s_add_u32 s22, s22, s0
	s_addc_u32 s23, s1, 0
	s_add_u32 s22, s22, 0xc4
	s_addc_u32 s23, s23, 0
	s_add_u32 s24, s0, s24
	s_addc_u32 s25, s1, 0
	.p2align	6
.LBB6_97:                               ; =>This Inner Loop Header: Depth=1
	s_clause 0x1
	s_load_b64 s[40:41], s[24:25], 0x4
	s_load_b32 s37, s[24:25], 0xc
	s_load_b64 s[42:43], s[22:23], 0x0
	s_add_u32 s24, s24, 12
	s_addc_u32 s25, s25, 0
	s_add_u32 s22, s22, 8
	s_addc_u32 s23, s23, 0
	s_add_i32 s38, s38, -1
	s_delay_alu instid0(SALU_CYCLE_1) | instskip(SKIP_2) | instid1(VALU_DEP_1)
	s_cmp_lg_u32 s38, 0
	s_waitcnt lgkmcnt(0)
	v_mul_hi_u32 v3, s41, v2
	v_add_nc_u32_e32 v3, v2, v3
	s_delay_alu instid0(VALU_DEP_1) | instskip(NEXT) | instid1(VALU_DEP_1)
	v_lshrrev_b32_e32 v3, s37, v3
	v_mul_lo_u32 v5, v3, s40
	s_delay_alu instid0(VALU_DEP_1) | instskip(NEXT) | instid1(VALU_DEP_1)
	v_sub_nc_u32_e32 v2, v2, v5
	v_mad_u64_u32 v[5:6], null, v2, s42, v[0:1]
	v_mad_u64_u32 v[6:7], null, v2, s43, v[1:2]
	v_mov_b32_e32 v2, v3
	s_delay_alu instid0(VALU_DEP_2)
	v_dual_mov_b32 v0, v5 :: v_dual_mov_b32 v1, v6
	s_cbranch_scc1 .LBB6_97
.LBB6_98:
	s_and_not1_b32 vcc_lo, exec_lo, s36
	s_cbranch_vccnz .LBB6_101
; %bb.99:
	s_waitcnt lgkmcnt(0)
	v_mul_hi_u32 v0, s17, v4
	s_and_not1_b32 vcc_lo, exec_lo, s30
	s_delay_alu instid0(VALU_DEP_1) | instskip(NEXT) | instid1(VALU_DEP_1)
	v_add_nc_u32_e32 v0, v4, v0
	v_lshrrev_b32_e32 v2, s18, v0
	s_delay_alu instid0(VALU_DEP_1) | instskip(NEXT) | instid1(VALU_DEP_1)
	v_mul_lo_u32 v0, v2, s16
	v_sub_nc_u32_e32 v1, v4, v0
	s_delay_alu instid0(VALU_DEP_1)
	v_mul_lo_u32 v0, v1, s12
	v_mul_lo_u32 v1, v1, s13
	s_cbranch_vccnz .LBB6_101
; %bb.100:
	v_mul_hi_u32 v3, s2, v2
	s_delay_alu instid0(VALU_DEP_1) | instskip(NEXT) | instid1(VALU_DEP_1)
	v_add_nc_u32_e32 v3, v2, v3
	v_lshrrev_b32_e32 v3, s3, v3
	s_delay_alu instid0(VALU_DEP_1) | instskip(NEXT) | instid1(VALU_DEP_1)
	v_mul_lo_u32 v3, v3, s19
	v_sub_nc_u32_e32 v7, v2, v3
	s_delay_alu instid0(VALU_DEP_1) | instskip(NEXT) | instid1(VALU_DEP_1)
	v_mad_u64_u32 v[2:3], null, v7, s14, v[0:1]
	v_mad_u64_u32 v[5:6], null, v7, s15, v[1:2]
	s_delay_alu instid0(VALU_DEP_1)
	v_dual_mov_b32 v0, v2 :: v_dual_mov_b32 v1, v5
.LBB6_101:
	s_waitcnt lgkmcnt(0)
	global_load_b64 v[1:2], v1, s[6:7]
	s_mov_b32 s22, exec_lo
	s_waitcnt vmcnt(0)
	v_cvt_f32_f64_e32 v3, v[1:2]
	s_delay_alu instid0(VALU_DEP_1)
	v_cmpx_nlg_f32_e64 0x7f800000, |v3|
	s_cbranch_execz .LBB6_103
; %bb.102:
	v_mov_b32_e32 v3, 0
	v_mov_b32_e32 v5, 1.0
	global_store_b32 v3, v5, s[8:9]
.LBB6_103:
	s_or_b32 exec_lo, exec_lo, s22
	v_dual_mov_b32 v3, 0 :: v_dual_add_nc_u32 v4, 0x80, v4
	global_load_b32 v3, v3, s[10:11]
	s_waitcnt vmcnt(0)
	v_cvt_f64_f32_e32 v[5:6], v3
	v_cmp_eq_f32_e32 vcc_lo, 1.0, v3
	s_delay_alu instid0(VALU_DEP_2) | instskip(NEXT) | instid1(VALU_DEP_1)
	v_mul_f64 v[5:6], v[1:2], v[5:6]
	v_dual_cndmask_b32 v2, v6, v2 :: v_dual_cndmask_b32 v1, v5, v1
	global_store_b64 v0, v[1:2], s[4:5]
	s_or_b32 exec_lo, exec_lo, s35
	s_delay_alu instid0(SALU_CYCLE_1)
	s_mov_b32 s35, exec_lo
	v_cmpx_gt_i32_e64 s31, v4
	s_cbranch_execnz .LBB6_88
.LBB6_104:
	s_or_b32 exec_lo, exec_lo, s35
	s_delay_alu instid0(SALU_CYCLE_1)
	s_mov_b32 s24, exec_lo
	v_cmpx_gt_i32_e64 s31, v4
	s_cbranch_execnz .LBB6_117
.LBB6_105:
	s_or_b32 exec_lo, exec_lo, s24
                                        ; implicit-def: $vgpr8
                                        ; implicit-def: $vgpr4
	s_waitcnt lgkmcnt(0)
	s_and_not1_saveexec_b32 s2, s29
	s_cbranch_execnz .LBB6_8
.LBB6_106:
	s_nop 0
	s_sendmsg sendmsg(MSG_DEALLOC_VGPRS)
	s_endpgm
.LBB6_107:
	v_dual_mov_b32 v2, v4 :: v_dual_mov_b32 v1, 0
.LBB6_108:
	s_and_b32 s38, s38, 3
	s_delay_alu instid0(SALU_CYCLE_1)
	s_cmp_eq_u32 s38, 0
	s_cbranch_scc1 .LBB6_111
; %bb.109:
	s_lshl_b32 s22, s37, 3
	s_mul_i32 s24, s37, 12
	s_add_u32 s22, s22, s0
	s_addc_u32 s23, s1, 0
	s_add_u32 s22, s22, 0xc4
	s_addc_u32 s23, s23, 0
	;; [unrolled: 2-line block ×3, first 2 shown]
	.p2align	6
.LBB6_110:                              ; =>This Inner Loop Header: Depth=1
	s_clause 0x1
	s_load_b64 s[40:41], s[24:25], 0x4
	s_load_b32 s37, s[24:25], 0xc
	s_load_b64 s[42:43], s[22:23], 0x0
	s_add_u32 s24, s24, 12
	s_addc_u32 s25, s25, 0
	s_add_u32 s22, s22, 8
	s_addc_u32 s23, s23, 0
	s_add_i32 s38, s38, -1
	s_delay_alu instid0(SALU_CYCLE_1) | instskip(SKIP_2) | instid1(VALU_DEP_1)
	s_cmp_lg_u32 s38, 0
	s_waitcnt lgkmcnt(0)
	v_mul_hi_u32 v3, s41, v2
	v_add_nc_u32_e32 v3, v2, v3
	s_delay_alu instid0(VALU_DEP_1) | instskip(NEXT) | instid1(VALU_DEP_1)
	v_lshrrev_b32_e32 v3, s37, v3
	v_mul_lo_u32 v5, v3, s40
	s_delay_alu instid0(VALU_DEP_1) | instskip(NEXT) | instid1(VALU_DEP_1)
	v_sub_nc_u32_e32 v2, v2, v5
	v_mad_u64_u32 v[5:6], null, v2, s42, v[0:1]
	v_mad_u64_u32 v[6:7], null, v2, s43, v[1:2]
	v_mov_b32_e32 v2, v3
	s_delay_alu instid0(VALU_DEP_2)
	v_dual_mov_b32 v0, v5 :: v_dual_mov_b32 v1, v6
	s_cbranch_scc1 .LBB6_110
.LBB6_111:
	s_and_not1_b32 vcc_lo, exec_lo, s36
	s_cbranch_vccnz .LBB6_114
; %bb.112:
	s_waitcnt lgkmcnt(0)
	v_mul_hi_u32 v0, s17, v4
	s_and_not1_b32 vcc_lo, exec_lo, s30
	s_delay_alu instid0(VALU_DEP_1) | instskip(NEXT) | instid1(VALU_DEP_1)
	v_add_nc_u32_e32 v0, v4, v0
	v_lshrrev_b32_e32 v2, s18, v0
	s_delay_alu instid0(VALU_DEP_1) | instskip(NEXT) | instid1(VALU_DEP_1)
	v_mul_lo_u32 v0, v2, s16
	v_sub_nc_u32_e32 v1, v4, v0
	s_delay_alu instid0(VALU_DEP_1)
	v_mul_lo_u32 v0, v1, s12
	v_mul_lo_u32 v1, v1, s13
	s_cbranch_vccnz .LBB6_114
; %bb.113:
	v_mul_hi_u32 v3, s2, v2
	s_delay_alu instid0(VALU_DEP_1) | instskip(NEXT) | instid1(VALU_DEP_1)
	v_add_nc_u32_e32 v3, v2, v3
	v_lshrrev_b32_e32 v3, s3, v3
	s_delay_alu instid0(VALU_DEP_1) | instskip(NEXT) | instid1(VALU_DEP_1)
	v_mul_lo_u32 v3, v3, s19
	v_sub_nc_u32_e32 v7, v2, v3
	s_delay_alu instid0(VALU_DEP_1) | instskip(NEXT) | instid1(VALU_DEP_1)
	v_mad_u64_u32 v[2:3], null, v7, s14, v[0:1]
	v_mad_u64_u32 v[5:6], null, v7, s15, v[1:2]
	s_delay_alu instid0(VALU_DEP_1)
	v_dual_mov_b32 v0, v2 :: v_dual_mov_b32 v1, v5
.LBB6_114:
	s_waitcnt lgkmcnt(0)
	global_load_b64 v[1:2], v1, s[6:7]
	s_mov_b32 s22, exec_lo
	s_waitcnt vmcnt(0)
	v_cvt_f32_f64_e32 v3, v[1:2]
	s_delay_alu instid0(VALU_DEP_1)
	v_cmpx_nlg_f32_e64 0x7f800000, |v3|
	s_cbranch_execz .LBB6_116
; %bb.115:
	v_mov_b32_e32 v3, 0
	v_mov_b32_e32 v5, 1.0
	global_store_b32 v3, v5, s[8:9]
.LBB6_116:
	s_or_b32 exec_lo, exec_lo, s22
	v_dual_mov_b32 v3, 0 :: v_dual_add_nc_u32 v4, 0x80, v4
	global_load_b32 v3, v3, s[10:11]
	s_waitcnt vmcnt(0)
	v_cvt_f64_f32_e32 v[5:6], v3
	v_cmp_eq_f32_e32 vcc_lo, 1.0, v3
	s_delay_alu instid0(VALU_DEP_2) | instskip(NEXT) | instid1(VALU_DEP_1)
	v_mul_f64 v[5:6], v[1:2], v[5:6]
	v_dual_cndmask_b32 v2, v6, v2 :: v_dual_cndmask_b32 v1, v5, v1
	global_store_b64 v0, v[1:2], s[4:5]
	s_or_b32 exec_lo, exec_lo, s35
	s_delay_alu instid0(SALU_CYCLE_1)
	s_mov_b32 s24, exec_lo
	v_cmpx_gt_i32_e64 s31, v4
	s_cbranch_execz .LBB6_105
.LBB6_117:
	s_and_not1_b32 vcc_lo, exec_lo, s28
	s_cbranch_vccnz .LBB6_122
; %bb.118:
	v_dual_mov_b32 v0, 0 :: v_dual_mov_b32 v1, 0
	s_and_not1_b32 vcc_lo, exec_lo, s34
	s_mov_b32 s25, 0
	s_cbranch_vccnz .LBB6_127
; %bb.119:
	v_mov_b32_e32 v0, 0
	s_add_i32 s33, s33, 1
	s_cmp_eq_u32 s27, 2
	s_mov_b32 s31, 0
	s_cbranch_scc1 .LBB6_123
; %bb.120:
	v_dual_mov_b32 v1, 0 :: v_dual_mov_b32 v0, 0
	v_mov_b32_e32 v2, v4
	s_and_b32 s31, s33, 28
	s_mov_b32 s34, 0
	s_mov_b64 s[22:23], s[0:1]
.LBB6_121:                              ; =>This Inner Loop Header: Depth=1
	s_clause 0x1
	s_load_b256 s[36:43], s[22:23], 0x4
	s_load_b128 s[52:55], s[22:23], 0x24
	s_load_b256 s[44:51], s[20:21], 0x0
	s_add_u32 s22, s22, 48
	s_addc_u32 s23, s23, 0
	s_add_i32 s34, s34, 4
	s_add_u32 s20, s20, 32
	s_addc_u32 s21, s21, 0
	s_cmp_eq_u32 s31, s34
	s_waitcnt lgkmcnt(0)
	v_mul_hi_u32 v3, s37, v2
	s_delay_alu instid0(VALU_DEP_1) | instskip(NEXT) | instid1(VALU_DEP_1)
	v_add_nc_u32_e32 v3, v2, v3
	v_lshrrev_b32_e32 v3, s38, v3
	s_delay_alu instid0(VALU_DEP_1) | instskip(SKIP_1) | instid1(VALU_DEP_2)
	v_mul_hi_u32 v5, s40, v3
	v_mul_lo_u32 v7, v3, s36
	v_add_nc_u32_e32 v5, v3, v5
	s_delay_alu instid0(VALU_DEP_2) | instskip(NEXT) | instid1(VALU_DEP_2)
	v_sub_nc_u32_e32 v2, v2, v7
	v_lshrrev_b32_e32 v5, s41, v5
	s_delay_alu instid0(VALU_DEP_2) | instskip(SKIP_1) | instid1(VALU_DEP_3)
	v_mul_lo_u32 v7, v2, s44
	v_mul_lo_u32 v9, v2, s45
	v_mul_hi_u32 v6, s43, v5
	s_delay_alu instid0(VALU_DEP_1) | instskip(NEXT) | instid1(VALU_DEP_1)
	v_add_nc_u32_e32 v6, v5, v6
	v_lshrrev_b32_e32 v6, s52, v6
	s_delay_alu instid0(VALU_DEP_1) | instskip(SKIP_1) | instid1(VALU_DEP_2)
	v_mul_hi_u32 v8, s54, v6
	v_mul_lo_u32 v10, v6, s42
	v_add_nc_u32_e32 v2, v6, v8
	v_mul_lo_u32 v8, v5, s39
	s_delay_alu instid0(VALU_DEP_3) | instskip(NEXT) | instid1(VALU_DEP_3)
	v_sub_nc_u32_e32 v5, v5, v10
	v_lshrrev_b32_e32 v2, s55, v2
	s_delay_alu instid0(VALU_DEP_2) | instskip(SKIP_2) | instid1(VALU_DEP_4)
	v_mul_lo_u32 v10, v5, s48
	v_mul_lo_u32 v5, v5, s49
	v_sub_nc_u32_e32 v3, v3, v8
	v_mul_lo_u32 v11, v2, s53
	s_delay_alu instid0(VALU_DEP_2) | instskip(SKIP_1) | instid1(VALU_DEP_3)
	v_mul_lo_u32 v8, v3, s46
	v_mul_lo_u32 v3, v3, s47
	v_sub_nc_u32_e32 v6, v6, v11
	s_delay_alu instid0(VALU_DEP_3) | instskip(NEXT) | instid1(VALU_DEP_2)
	v_add3_u32 v0, v7, v0, v8
	v_mul_lo_u32 v11, v6, s50
	v_mul_lo_u32 v6, v6, s51
	v_add3_u32 v1, v9, v1, v3
	s_delay_alu instid0(VALU_DEP_3) | instskip(NEXT) | instid1(VALU_DEP_2)
	v_add3_u32 v0, v10, v0, v11
	v_add3_u32 v1, v5, v1, v6
	s_cbranch_scc0 .LBB6_121
	s_branch .LBB6_124
.LBB6_122:
	s_mov_b32 s25, -1
                                        ; implicit-def: $vgpr0
                                        ; implicit-def: $vgpr1
	s_branch .LBB6_127
.LBB6_123:
	v_dual_mov_b32 v2, v4 :: v_dual_mov_b32 v1, 0
.LBB6_124:
	s_and_b32 s33, s33, 3
	s_delay_alu instid0(SALU_CYCLE_1)
	s_cmp_eq_u32 s33, 0
	s_cbranch_scc1 .LBB6_127
; %bb.125:
	s_lshl_b32 s20, s31, 3
	s_mul_i32 s22, s31, 12
	s_add_u32 s20, s20, s0
	s_addc_u32 s21, s1, 0
	s_add_u32 s20, s20, 0xc4
	s_addc_u32 s21, s21, 0
	;; [unrolled: 2-line block ×3, first 2 shown]
	.p2align	6
.LBB6_126:                              ; =>This Inner Loop Header: Depth=1
	s_clause 0x1
	s_load_b64 s[34:35], s[22:23], 0x4
	s_load_b32 s31, s[22:23], 0xc
	s_load_b64 s[36:37], s[20:21], 0x0
	s_add_u32 s22, s22, 12
	s_addc_u32 s23, s23, 0
	s_add_u32 s20, s20, 8
	s_addc_u32 s21, s21, 0
	s_add_i32 s33, s33, -1
	s_delay_alu instid0(SALU_CYCLE_1) | instskip(SKIP_2) | instid1(VALU_DEP_1)
	s_cmp_lg_u32 s33, 0
	s_waitcnt lgkmcnt(0)
	v_mul_hi_u32 v3, s35, v2
	v_add_nc_u32_e32 v3, v2, v3
	s_delay_alu instid0(VALU_DEP_1) | instskip(NEXT) | instid1(VALU_DEP_1)
	v_lshrrev_b32_e32 v3, s31, v3
	v_mul_lo_u32 v5, v3, s34
	s_delay_alu instid0(VALU_DEP_1) | instskip(NEXT) | instid1(VALU_DEP_1)
	v_sub_nc_u32_e32 v2, v2, v5
	v_mad_u64_u32 v[5:6], null, v2, s36, v[0:1]
	v_mad_u64_u32 v[6:7], null, v2, s37, v[1:2]
	v_mov_b32_e32 v2, v3
	s_delay_alu instid0(VALU_DEP_2)
	v_dual_mov_b32 v0, v5 :: v_dual_mov_b32 v1, v6
	s_cbranch_scc1 .LBB6_126
.LBB6_127:
	s_and_not1_b32 vcc_lo, exec_lo, s25
	s_cbranch_vccnz .LBB6_130
; %bb.128:
	s_waitcnt lgkmcnt(0)
	v_mul_hi_u32 v0, s17, v4
	s_and_not1_b32 vcc_lo, exec_lo, s30
	s_delay_alu instid0(VALU_DEP_1) | instskip(NEXT) | instid1(VALU_DEP_1)
	v_add_nc_u32_e32 v0, v4, v0
	v_lshrrev_b32_e32 v2, s18, v0
	s_delay_alu instid0(VALU_DEP_1) | instskip(NEXT) | instid1(VALU_DEP_1)
	v_mul_lo_u32 v0, v2, s16
	v_sub_nc_u32_e32 v1, v4, v0
	s_delay_alu instid0(VALU_DEP_1)
	v_mul_lo_u32 v0, v1, s12
	v_mul_lo_u32 v1, v1, s13
	s_cbranch_vccnz .LBB6_130
; %bb.129:
	v_mul_hi_u32 v3, s2, v2
	s_delay_alu instid0(VALU_DEP_1) | instskip(NEXT) | instid1(VALU_DEP_1)
	v_add_nc_u32_e32 v3, v2, v3
	v_lshrrev_b32_e32 v3, s3, v3
	s_delay_alu instid0(VALU_DEP_1) | instskip(NEXT) | instid1(VALU_DEP_1)
	v_mul_lo_u32 v3, v3, s19
	v_sub_nc_u32_e32 v5, v2, v3
	s_delay_alu instid0(VALU_DEP_1) | instskip(NEXT) | instid1(VALU_DEP_1)
	v_mad_u64_u32 v[2:3], null, v5, s14, v[0:1]
	v_mad_u64_u32 v[3:4], null, v5, s15, v[1:2]
	s_delay_alu instid0(VALU_DEP_1)
	v_dual_mov_b32 v0, v2 :: v_dual_mov_b32 v1, v3
.LBB6_130:
	s_waitcnt lgkmcnt(0)
	global_load_b64 v[1:2], v1, s[6:7]
	s_mov_b32 s2, exec_lo
	s_waitcnt vmcnt(0)
	v_cvt_f32_f64_e32 v3, v[1:2]
	s_delay_alu instid0(VALU_DEP_1)
	v_cmpx_nlg_f32_e64 0x7f800000, |v3|
	s_cbranch_execz .LBB6_132
; %bb.131:
	v_dual_mov_b32 v3, 0 :: v_dual_mov_b32 v4, 1.0
	global_store_b32 v3, v4, s[8:9]
.LBB6_132:
	s_or_b32 exec_lo, exec_lo, s2
	v_mov_b32_e32 v3, 0
	global_load_b32 v5, v3, s[10:11]
	s_waitcnt vmcnt(0)
	v_cvt_f64_f32_e32 v[3:4], v5
	v_cmp_eq_f32_e32 vcc_lo, 1.0, v5
	s_delay_alu instid0(VALU_DEP_2) | instskip(NEXT) | instid1(VALU_DEP_1)
	v_mul_f64 v[3:4], v[1:2], v[3:4]
	v_dual_cndmask_b32 v2, v4, v2 :: v_dual_cndmask_b32 v1, v3, v1
	global_store_b64 v0, v[1:2], s[4:5]
	s_or_b32 exec_lo, exec_lo, s24
                                        ; implicit-def: $vgpr8
                                        ; implicit-def: $vgpr4
	s_and_not1_saveexec_b32 s2, s29
	s_cbranch_execz .LBB6_106
	s_branch .LBB6_8
	.section	.rodata,"a",@progbits
	.p2align	6, 0x0
	.amdhsa_kernel _ZN2at6native32elementwise_kernel_manual_unrollILi128ELi4EZNS0_22gpu_kernel_impl_nocastIZZZNS0_12_GLOBAL__N_139_amp_non_finite_check_and_unscale_cuda_ERNS_6TensorES5_RKS4_ENKUlvE_clEvENKUlvE_clEvEUldE_EEvRNS_18TensorIteratorBaseERKT_EUlibE_EEviT1_
		.amdhsa_group_segment_fixed_size 0
		.amdhsa_private_segment_fixed_size 0
		.amdhsa_kernarg_size 368
		.amdhsa_user_sgpr_count 15
		.amdhsa_user_sgpr_dispatch_ptr 0
		.amdhsa_user_sgpr_queue_ptr 0
		.amdhsa_user_sgpr_kernarg_segment_ptr 1
		.amdhsa_user_sgpr_dispatch_id 0
		.amdhsa_user_sgpr_private_segment_size 0
		.amdhsa_wavefront_size32 1
		.amdhsa_uses_dynamic_stack 0
		.amdhsa_enable_private_segment 0
		.amdhsa_system_sgpr_workgroup_id_x 1
		.amdhsa_system_sgpr_workgroup_id_y 0
		.amdhsa_system_sgpr_workgroup_id_z 0
		.amdhsa_system_sgpr_workgroup_info 0
		.amdhsa_system_vgpr_workitem_id 0
		.amdhsa_next_free_vgpr 24
		.amdhsa_next_free_sgpr 60
		.amdhsa_reserve_vcc 1
		.amdhsa_float_round_mode_32 0
		.amdhsa_float_round_mode_16_64 0
		.amdhsa_float_denorm_mode_32 3
		.amdhsa_float_denorm_mode_16_64 3
		.amdhsa_dx10_clamp 1
		.amdhsa_ieee_mode 1
		.amdhsa_fp16_overflow 0
		.amdhsa_workgroup_processor_mode 1
		.amdhsa_memory_ordered 1
		.amdhsa_forward_progress 0
		.amdhsa_shared_vgpr_count 0
		.amdhsa_exception_fp_ieee_invalid_op 0
		.amdhsa_exception_fp_denorm_src 0
		.amdhsa_exception_fp_ieee_div_zero 0
		.amdhsa_exception_fp_ieee_overflow 0
		.amdhsa_exception_fp_ieee_underflow 0
		.amdhsa_exception_fp_ieee_inexact 0
		.amdhsa_exception_int_div_zero 0
	.end_amdhsa_kernel
	.section	.text._ZN2at6native32elementwise_kernel_manual_unrollILi128ELi4EZNS0_22gpu_kernel_impl_nocastIZZZNS0_12_GLOBAL__N_139_amp_non_finite_check_and_unscale_cuda_ERNS_6TensorES5_RKS4_ENKUlvE_clEvENKUlvE_clEvEUldE_EEvRNS_18TensorIteratorBaseERKT_EUlibE_EEviT1_,"axG",@progbits,_ZN2at6native32elementwise_kernel_manual_unrollILi128ELi4EZNS0_22gpu_kernel_impl_nocastIZZZNS0_12_GLOBAL__N_139_amp_non_finite_check_and_unscale_cuda_ERNS_6TensorES5_RKS4_ENKUlvE_clEvENKUlvE_clEvEUldE_EEvRNS_18TensorIteratorBaseERKT_EUlibE_EEviT1_,comdat
.Lfunc_end6:
	.size	_ZN2at6native32elementwise_kernel_manual_unrollILi128ELi4EZNS0_22gpu_kernel_impl_nocastIZZZNS0_12_GLOBAL__N_139_amp_non_finite_check_and_unscale_cuda_ERNS_6TensorES5_RKS4_ENKUlvE_clEvENKUlvE_clEvEUldE_EEvRNS_18TensorIteratorBaseERKT_EUlibE_EEviT1_, .Lfunc_end6-_ZN2at6native32elementwise_kernel_manual_unrollILi128ELi4EZNS0_22gpu_kernel_impl_nocastIZZZNS0_12_GLOBAL__N_139_amp_non_finite_check_and_unscale_cuda_ERNS_6TensorES5_RKS4_ENKUlvE_clEvENKUlvE_clEvEUldE_EEvRNS_18TensorIteratorBaseERKT_EUlibE_EEviT1_
                                        ; -- End function
	.section	.AMDGPU.csdata,"",@progbits
; Kernel info:
; codeLenInByte = 7620
; NumSgprs: 62
; NumVgprs: 24
; ScratchSize: 0
; MemoryBound: 0
; FloatMode: 240
; IeeeMode: 1
; LDSByteSize: 0 bytes/workgroup (compile time only)
; SGPRBlocks: 7
; VGPRBlocks: 2
; NumSGPRsForWavesPerEU: 62
; NumVGPRsForWavesPerEU: 24
; Occupancy: 16
; WaveLimiterHint : 1
; COMPUTE_PGM_RSRC2:SCRATCH_EN: 0
; COMPUTE_PGM_RSRC2:USER_SGPR: 15
; COMPUTE_PGM_RSRC2:TRAP_HANDLER: 0
; COMPUTE_PGM_RSRC2:TGID_X_EN: 1
; COMPUTE_PGM_RSRC2:TGID_Y_EN: 0
; COMPUTE_PGM_RSRC2:TGID_Z_EN: 0
; COMPUTE_PGM_RSRC2:TIDIG_COMP_CNT: 0
	.section	.text._ZN2at6native32elementwise_kernel_manual_unrollILi128ELi4EZNS0_15gpu_kernel_implIZZZNS0_12_GLOBAL__N_139_amp_non_finite_check_and_unscale_cuda_ERNS_6TensorES5_RKS4_ENKUlvE_clEvENKUlvE_clEvEUldE_EEvRNS_18TensorIteratorBaseERKT_EUlibE_EEviT1_,"axG",@progbits,_ZN2at6native32elementwise_kernel_manual_unrollILi128ELi4EZNS0_15gpu_kernel_implIZZZNS0_12_GLOBAL__N_139_amp_non_finite_check_and_unscale_cuda_ERNS_6TensorES5_RKS4_ENKUlvE_clEvENKUlvE_clEvEUldE_EEvRNS_18TensorIteratorBaseERKT_EUlibE_EEviT1_,comdat
	.globl	_ZN2at6native32elementwise_kernel_manual_unrollILi128ELi4EZNS0_15gpu_kernel_implIZZZNS0_12_GLOBAL__N_139_amp_non_finite_check_and_unscale_cuda_ERNS_6TensorES5_RKS4_ENKUlvE_clEvENKUlvE_clEvEUldE_EEvRNS_18TensorIteratorBaseERKT_EUlibE_EEviT1_ ; -- Begin function _ZN2at6native32elementwise_kernel_manual_unrollILi128ELi4EZNS0_15gpu_kernel_implIZZZNS0_12_GLOBAL__N_139_amp_non_finite_check_and_unscale_cuda_ERNS_6TensorES5_RKS4_ENKUlvE_clEvENKUlvE_clEvEUldE_EEvRNS_18TensorIteratorBaseERKT_EUlibE_EEviT1_
	.p2align	8
	.type	_ZN2at6native32elementwise_kernel_manual_unrollILi128ELi4EZNS0_15gpu_kernel_implIZZZNS0_12_GLOBAL__N_139_amp_non_finite_check_and_unscale_cuda_ERNS_6TensorES5_RKS4_ENKUlvE_clEvENKUlvE_clEvEUldE_EEvRNS_18TensorIteratorBaseERKT_EUlibE_EEviT1_,@function
_ZN2at6native32elementwise_kernel_manual_unrollILi128ELi4EZNS0_15gpu_kernel_implIZZZNS0_12_GLOBAL__N_139_amp_non_finite_check_and_unscale_cuda_ERNS_6TensorES5_RKS4_ENKUlvE_clEvENKUlvE_clEvEUldE_EEvRNS_18TensorIteratorBaseERKT_EUlibE_EEviT1_: ; @_ZN2at6native32elementwise_kernel_manual_unrollILi128ELi4EZNS0_15gpu_kernel_implIZZZNS0_12_GLOBAL__N_139_amp_non_finite_check_and_unscale_cuda_ERNS_6TensorES5_RKS4_ENKUlvE_clEvENKUlvE_clEvEUldE_EEvRNS_18TensorIteratorBaseERKT_EUlibE_EEviT1_
; %bb.0:
	s_clause 0x4
	s_load_b32 s12, s[0:1], 0x30
	s_load_b32 s16, s[0:1], 0x0
	s_load_b128 s[4:7], s[0:1], 0x8
	s_load_b64 s[2:3], s[0:1], 0x18
	s_load_b128 s[8:11], s[0:1], 0x20
	v_lshl_or_b32 v16, s15, 9, v0
	s_mov_b32 s13, 0
	s_mov_b32 s15, 0
	s_mov_b32 s0, exec_lo
	s_delay_alu instid0(VALU_DEP_1) | instskip(SKIP_2) | instid1(VALU_DEP_2)
	v_or_b32_e32 v0, 0x180, v16
	s_waitcnt lgkmcnt(0)
	v_lshrrev_b16 v17, 8, s12
	v_cmpx_le_i32_e64 s16, v0
	s_xor_b32 s14, exec_lo, s0
	s_cbranch_execz .LBB7_1040
; %bb.1:
	s_mov_b32 s1, -1
	s_mov_b32 s19, 0
	s_mov_b32 s17, 0
	s_mov_b32 s18, exec_lo
	v_cmpx_gt_i32_e64 s16, v16
	s_cbranch_execz .LBB7_253
; %bb.2:
	v_mul_lo_u32 v0, v16, s3
	v_cmp_gt_i16_e32 vcc_lo, 11, v17
	s_delay_alu instid0(VALU_DEP_2) | instskip(SKIP_1) | instid1(VALU_DEP_1)
	v_ashrrev_i32_e32 v1, 31, v0
	v_add_co_u32 v0, s0, s6, v0
	v_add_co_ci_u32_e64 v1, s0, s7, v1, s0
	s_cbranch_vccnz .LBB7_9
; %bb.3:
	v_cmp_lt_i16_e32 vcc_lo, 25, v17
	s_cbranch_vccz .LBB7_20
; %bb.4:
	v_cmp_lt_i16_e32 vcc_lo, 28, v17
	s_cbranch_vccz .LBB7_23
; %bb.5:
	v_cmp_lt_i16_e32 vcc_lo, 43, v17
	s_cbranch_vccz .LBB7_25
; %bb.6:
	v_cmp_lt_i16_e32 vcc_lo, 45, v17
	s_cbranch_vccz .LBB7_29
; %bb.7:
	v_cmp_eq_u16_e32 vcc_lo, 46, v17
	s_mov_b32 s1, 0
	s_cbranch_vccz .LBB7_28
; %bb.8:
	global_load_b32 v2, v[0:1], off
	s_mov_b32 s0, -1
	s_waitcnt vmcnt(0)
	v_lshlrev_b32_e32 v2, 16, v2
	s_delay_alu instid0(VALU_DEP_1)
	v_cvt_f64_f32_e32 v[2:3], v2
	s_branch .LBB7_30
.LBB7_9:
	s_mov_b32 s0, 0
                                        ; implicit-def: $vgpr2_vgpr3
	s_and_b32 vcc_lo, exec_lo, s1
	s_cbranch_vccnz .LBB7_203
.LBB7_10:
	s_and_not1_b32 vcc_lo, exec_lo, s0
	s_cbranch_vccnz .LBB7_250
.LBB7_11:
	s_waitcnt vmcnt(0)
	s_delay_alu instid0(VALU_DEP_1) | instskip(SKIP_1) | instid1(VALU_DEP_1)
	v_cvt_f32_f64_e32 v0, v[2:3]
	s_mov_b32 s0, exec_lo
	v_cmpx_nlg_f32_e64 0x7f800000, |v0|
	s_cbranch_execz .LBB7_13
; %bb.12:
	v_dual_mov_b32 v0, 0 :: v_dual_mov_b32 v1, 1.0
	global_store_b32 v0, v1, s[8:9]
.LBB7_13:
	s_or_b32 exec_lo, exec_lo, s0
	v_mov_b32_e32 v0, 0
	v_mul_lo_u32 v5, v16, s2
	v_and_b32_e64 v6, 0xff, s12
	global_load_b32 v4, v0, s[10:11]
	v_cmp_gt_i16_e32 vcc_lo, 11, v6
	v_ashrrev_i32_e32 v7, 31, v5
	s_and_b32 vcc_lo, exec_lo, vcc_lo
	s_waitcnt vmcnt(0)
	v_cvt_f64_f32_e32 v[0:1], v4
	v_cmp_eq_f32_e64 s0, 1.0, v4
	v_add_co_u32 v4, s1, s4, v5
	s_delay_alu instid0(VALU_DEP_1) | instskip(NEXT) | instid1(VALU_DEP_4)
	v_add_co_ci_u32_e64 v5, s1, s5, v7, s1
	v_mul_f64 v[0:1], v[2:3], v[0:1]
	s_delay_alu instid0(VALU_DEP_1) | instskip(NEXT) | instid1(VALU_DEP_2)
	v_cndmask_b32_e64 v1, v1, v3, s0
	v_cndmask_b32_e64 v0, v0, v2, s0
	s_cbranch_vccnz .LBB7_21
; %bb.14:
	v_cmp_lt_i16_e32 vcc_lo, 25, v6
	s_cbranch_vccz .LBB7_24
; %bb.15:
	v_cmp_lt_i16_e32 vcc_lo, 28, v6
	s_cbranch_vccz .LBB7_26
	;; [unrolled: 3-line block ×4, first 2 shown]
; %bb.18:
	v_cmp_eq_u16_e32 vcc_lo, 46, v6
	s_mov_b32 s15, 0
	s_mov_b32 s0, -1
	s_mov_b32 s1, 0
	s_cbranch_vccz .LBB7_34
; %bb.19:
	v_cvt_f32_f64_e32 v2, v[0:1]
	s_mov_b32 s1, -1
	s_mov_b32 s0, 0
	s_delay_alu instid0(VALU_DEP_1) | instskip(SKIP_1) | instid1(VALU_DEP_2)
	v_bfe_u32 v3, v2, 16, 1
	v_cmp_o_f32_e32 vcc_lo, v2, v2
	v_add3_u32 v3, v2, v3, 0x7fff
	s_delay_alu instid0(VALU_DEP_1) | instskip(NEXT) | instid1(VALU_DEP_1)
	v_lshrrev_b32_e32 v3, 16, v3
	v_cndmask_b32_e32 v2, 0x7fc0, v3, vcc_lo
	global_store_b32 v[4:5], v2, off
	s_branch .LBB7_34
.LBB7_20:
	s_mov_b32 s0, 0
                                        ; implicit-def: $vgpr2_vgpr3
	s_and_b32 vcc_lo, exec_lo, s1
	s_cbranch_vccnz .LBB7_170
	s_branch .LBB7_202
.LBB7_21:
	s_mov_b32 s0, 0
	s_mov_b32 s1, 0
	s_cbranch_execnz .LBB7_103
.LBB7_22:
	s_and_not1_b32 vcc_lo, exec_lo, s1
	s_cbranch_vccnz .LBB7_251
	s_branch .LBB7_141
.LBB7_23:
	s_mov_b32 s0, 0
                                        ; implicit-def: $vgpr2_vgpr3
	s_branch .LBB7_149
.LBB7_24:
	s_mov_b32 s15, -1
	s_mov_b32 s0, 0
	s_mov_b32 s1, 0
	s_branch .LBB7_61
.LBB7_25:
	s_mov_b32 s0, 0
                                        ; implicit-def: $vgpr2_vgpr3
	s_branch .LBB7_144
.LBB7_26:
	s_mov_b32 s15, -1
	s_mov_b32 s0, 0
	s_mov_b32 s1, 0
	s_branch .LBB7_44
.LBB7_27:
	s_mov_b32 s15, -1
	s_mov_b32 s0, 0
	s_mov_b32 s1, 0
	s_branch .LBB7_40
.LBB7_28:
	s_mov_b32 s17, -1
.LBB7_29:
	s_mov_b32 s0, 0
                                        ; implicit-def: $vgpr2_vgpr3
.LBB7_30:
	s_and_b32 vcc_lo, exec_lo, s1
	s_cbranch_vccz .LBB7_143
; %bb.31:
	v_cmp_eq_u16_e32 vcc_lo, 44, v17
	s_cbranch_vccz .LBB7_142
; %bb.32:
	global_load_u8 v4, v[0:1], off
	s_mov_b32 s17, 0
	s_mov_b32 s0, -1
	s_waitcnt vmcnt(0)
	v_cmp_ne_u32_e32 vcc_lo, 0xff, v4
	v_lshlrev_b32_e32 v2, 23, v4
	s_delay_alu instid0(VALU_DEP_1) | instskip(NEXT) | instid1(VALU_DEP_1)
	v_cvt_f64_f32_e32 v[2:3], v2
	v_cndmask_b32_e32 v3, 0x7ff80000, v3, vcc_lo
	s_delay_alu instid0(VALU_DEP_2) | instskip(SKIP_1) | instid1(VALU_DEP_3)
	v_cndmask_b32_e32 v2, 0x20000000, v2, vcc_lo
	v_cmp_ne_u32_e32 vcc_lo, 0, v4
	v_cndmask_b32_e32 v3, 0x38000000, v3, vcc_lo
	s_delay_alu instid0(VALU_DEP_3)
	v_cndmask_b32_e32 v2, 0, v2, vcc_lo
	s_branch .LBB7_143
.LBB7_33:
	s_mov_b32 s15, -1
	s_mov_b32 s0, 0
	s_mov_b32 s1, 0
.LBB7_34:
	s_and_b32 vcc_lo, exec_lo, s15
	s_cbranch_vccz .LBB7_39
; %bb.35:
	v_cmp_eq_u16_e32 vcc_lo, 44, v6
	s_mov_b32 s0, -1
	s_cbranch_vccz .LBB7_39
; %bb.36:
	v_cvt_f32_f64_e32 v2, v[0:1]
	v_mov_b32_e32 v3, 0xff
	s_mov_b32 s1, exec_lo
	s_delay_alu instid0(VALU_DEP_2) | instskip(NEXT) | instid1(VALU_DEP_1)
	v_bfe_u32 v7, v2, 23, 8
	v_cmpx_ne_u32_e32 0xff, v7
; %bb.37:
	v_and_b32_e32 v3, 0x400000, v2
	v_and_or_b32 v7, 0x3fffff, v2, v7
	v_lshrrev_b32_e32 v2, 23, v2
	s_delay_alu instid0(VALU_DEP_3) | instskip(NEXT) | instid1(VALU_DEP_3)
	v_cmp_ne_u32_e32 vcc_lo, 0, v3
	v_cmp_ne_u32_e64 s0, 0, v7
	s_delay_alu instid0(VALU_DEP_1) | instskip(NEXT) | instid1(SALU_CYCLE_1)
	s_and_b32 s0, vcc_lo, s0
	v_cndmask_b32_e64 v3, 0, 1, s0
	s_delay_alu instid0(VALU_DEP_1)
	v_add_nc_u32_e32 v3, v2, v3
; %bb.38:
	s_or_b32 exec_lo, exec_lo, s1
	s_mov_b32 s1, -1
	s_mov_b32 s0, 0
	global_store_b8 v[4:5], v3, off
.LBB7_39:
	s_mov_b32 s15, 0
.LBB7_40:
	s_delay_alu instid0(SALU_CYCLE_1)
	s_and_b32 vcc_lo, exec_lo, s15
	s_cbranch_vccz .LBB7_43
; %bb.41:
	v_cmp_eq_u16_e32 vcc_lo, 29, v6
	s_mov_b32 s0, -1
	s_cbranch_vccz .LBB7_43
; %bb.42:
	v_trunc_f64_e32 v[2:3], v[0:1]
	s_mov_b32 s1, -1
	s_mov_b32 s0, 0
	s_mov_b32 s15, 0
	s_delay_alu instid0(VALU_DEP_1) | instskip(NEXT) | instid1(VALU_DEP_1)
	v_ldexp_f64 v[7:8], v[2:3], 0xffffffe0
	v_floor_f64_e32 v[7:8], v[7:8]
	s_delay_alu instid0(VALU_DEP_1) | instskip(SKIP_1) | instid1(VALU_DEP_2)
	v_fma_f64 v[2:3], 0xc1f00000, v[7:8], v[2:3]
	v_cvt_u32_f64_e32 v8, v[7:8]
	v_cvt_u32_f64_e32 v7, v[2:3]
	global_store_b64 v[4:5], v[7:8], off
	s_branch .LBB7_44
.LBB7_43:
	s_mov_b32 s15, 0
.LBB7_44:
	s_delay_alu instid0(SALU_CYCLE_1)
	s_and_b32 vcc_lo, exec_lo, s15
	s_cbranch_vccz .LBB7_60
; %bb.45:
	v_cmp_gt_i16_e32 vcc_lo, 27, v6
	s_mov_b32 s1, -1
	s_cbranch_vccnz .LBB7_51
; %bb.46:
	v_cmp_lt_i16_e32 vcc_lo, 27, v6
	s_cbranch_vccz .LBB7_48
; %bb.47:
	v_cvt_u32_f64_e32 v2, v[0:1]
	s_mov_b32 s1, 0
	global_store_b32 v[4:5], v2, off
.LBB7_48:
	s_and_not1_b32 vcc_lo, exec_lo, s1
	s_cbranch_vccnz .LBB7_50
; %bb.49:
	v_cvt_u32_f64_e32 v2, v[0:1]
	global_store_b16 v[4:5], v2, off
.LBB7_50:
	s_mov_b32 s1, 0
.LBB7_51:
	s_delay_alu instid0(SALU_CYCLE_1)
	s_and_not1_b32 vcc_lo, exec_lo, s1
	s_cbranch_vccnz .LBB7_59
; %bb.52:
	v_cvt_f32_f64_e32 v2, v[0:1]
	v_mov_b32_e32 v7, 0x80
	s_mov_b32 s1, exec_lo
	s_delay_alu instid0(VALU_DEP_2) | instskip(NEXT) | instid1(VALU_DEP_1)
	v_and_b32_e32 v3, 0x7fffffff, v2
	v_cmpx_gt_u32_e32 0x43800000, v3
	s_cbranch_execz .LBB7_58
; %bb.53:
	v_cmp_lt_u32_e32 vcc_lo, 0x3bffffff, v3
	s_mov_b32 s15, 0
                                        ; implicit-def: $vgpr3
	s_and_saveexec_b32 s20, vcc_lo
	s_delay_alu instid0(SALU_CYCLE_1)
	s_xor_b32 s20, exec_lo, s20
	s_cbranch_execz .LBB7_279
; %bb.54:
	v_bfe_u32 v3, v2, 20, 1
	s_mov_b32 s15, exec_lo
	s_delay_alu instid0(VALU_DEP_1) | instskip(NEXT) | instid1(VALU_DEP_1)
	v_add3_u32 v3, v2, v3, 0x487ffff
	v_lshrrev_b32_e32 v3, 20, v3
	s_or_saveexec_b32 s20, s20
                                        ; implicit-def: $sgpr21
	s_delay_alu instid0(SALU_CYCLE_1)
	s_xor_b32 exec_lo, exec_lo, s20
	s_cbranch_execnz .LBB7_280
.LBB7_55:
	s_or_b32 exec_lo, exec_lo, s20
	v_mov_b32_e32 v7, s21
	s_and_saveexec_b32 s20, s15
.LBB7_56:
	v_lshrrev_b32_e32 v2, 24, v2
	s_delay_alu instid0(VALU_DEP_1)
	v_and_or_b32 v7, 0x80, v2, v3
.LBB7_57:
	s_or_b32 exec_lo, exec_lo, s20
.LBB7_58:
	s_delay_alu instid0(SALU_CYCLE_1)
	s_or_b32 exec_lo, exec_lo, s1
	global_store_b8 v[4:5], v7, off
.LBB7_59:
	s_mov_b32 s1, -1
.LBB7_60:
	s_mov_b32 s15, 0
.LBB7_61:
	s_delay_alu instid0(SALU_CYCLE_1)
	s_and_b32 vcc_lo, exec_lo, s15
	s_cbranch_vccz .LBB7_102
; %bb.62:
	v_cmp_lt_i16_e32 vcc_lo, 22, v6
	s_mov_b32 s15, -1
	s_cbranch_vccz .LBB7_94
; %bb.63:
	v_cmp_gt_i16_e32 vcc_lo, 24, v6
	s_mov_b32 s1, -1
	s_cbranch_vccnz .LBB7_83
; %bb.64:
	v_cmp_lt_i16_e32 vcc_lo, 24, v6
	s_cbranch_vccz .LBB7_72
; %bb.65:
	v_cvt_f32_f64_e32 v2, v[0:1]
	v_mov_b32_e32 v7, 0x80
	s_mov_b32 s1, exec_lo
	s_delay_alu instid0(VALU_DEP_2) | instskip(NEXT) | instid1(VALU_DEP_1)
	v_and_b32_e32 v3, 0x7fffffff, v2
	v_cmpx_gt_u32_e32 0x47800000, v3
	s_cbranch_execz .LBB7_71
; %bb.66:
	v_cmp_lt_u32_e32 vcc_lo, 0x37ffffff, v3
	s_mov_b32 s15, 0
                                        ; implicit-def: $vgpr3
	s_and_saveexec_b32 s20, vcc_lo
	s_delay_alu instid0(SALU_CYCLE_1)
	s_xor_b32 s20, exec_lo, s20
	s_cbranch_execz .LBB7_283
; %bb.67:
	v_bfe_u32 v3, v2, 21, 1
	s_mov_b32 s15, exec_lo
	s_delay_alu instid0(VALU_DEP_1) | instskip(NEXT) | instid1(VALU_DEP_1)
	v_add3_u32 v3, v2, v3, 0x88fffff
	v_lshrrev_b32_e32 v3, 21, v3
	s_or_saveexec_b32 s20, s20
                                        ; implicit-def: $sgpr21
	s_delay_alu instid0(SALU_CYCLE_1)
	s_xor_b32 exec_lo, exec_lo, s20
	s_cbranch_execnz .LBB7_284
.LBB7_68:
	s_or_b32 exec_lo, exec_lo, s20
	v_mov_b32_e32 v7, s21
	s_and_saveexec_b32 s20, s15
.LBB7_69:
	v_lshrrev_b32_e32 v2, 24, v2
	s_delay_alu instid0(VALU_DEP_1)
	v_and_or_b32 v7, 0x80, v2, v3
.LBB7_70:
	s_or_b32 exec_lo, exec_lo, s20
.LBB7_71:
	s_delay_alu instid0(SALU_CYCLE_1)
	s_or_b32 exec_lo, exec_lo, s1
	s_mov_b32 s1, 0
	global_store_b8 v[4:5], v7, off
.LBB7_72:
	s_and_b32 vcc_lo, exec_lo, s1
	s_cbranch_vccz .LBB7_82
; %bb.73:
	v_cvt_f32_f64_e32 v2, v[0:1]
	s_mov_b32 s1, exec_lo
                                        ; implicit-def: $vgpr3
	s_delay_alu instid0(VALU_DEP_1) | instskip(NEXT) | instid1(VALU_DEP_1)
	v_and_b32_e32 v7, 0x7fffffff, v2
	v_cmpx_gt_u32_e32 0x43f00000, v7
	s_xor_b32 s1, exec_lo, s1
	s_cbranch_execz .LBB7_79
; %bb.74:
	s_mov_b32 s15, exec_lo
                                        ; implicit-def: $vgpr3
	v_cmpx_lt_u32_e32 0x3c7fffff, v7
	s_xor_b32 s15, exec_lo, s15
; %bb.75:
	v_bfe_u32 v3, v2, 20, 1
	s_delay_alu instid0(VALU_DEP_1) | instskip(NEXT) | instid1(VALU_DEP_1)
	v_add3_u32 v3, v2, v3, 0x407ffff
	v_and_b32_e32 v7, 0xff00000, v3
	v_lshrrev_b32_e32 v3, 20, v3
	s_delay_alu instid0(VALU_DEP_2) | instskip(NEXT) | instid1(VALU_DEP_2)
	v_cmp_ne_u32_e32 vcc_lo, 0x7f00000, v7
	v_cndmask_b32_e32 v3, 0x7e, v3, vcc_lo
; %bb.76:
	s_and_not1_saveexec_b32 s15, s15
; %bb.77:
	v_add_f32_e64 v3, 0x46800000, |v2|
; %bb.78:
	s_or_b32 exec_lo, exec_lo, s15
                                        ; implicit-def: $vgpr7
.LBB7_79:
	s_and_not1_saveexec_b32 s1, s1
; %bb.80:
	v_mov_b32_e32 v3, 0x7f
	v_cmp_lt_u32_e32 vcc_lo, 0x7f800000, v7
	s_delay_alu instid0(VALU_DEP_2)
	v_cndmask_b32_e32 v3, 0x7e, v3, vcc_lo
; %bb.81:
	s_or_b32 exec_lo, exec_lo, s1
	v_lshrrev_b32_e32 v2, 24, v2
	s_delay_alu instid0(VALU_DEP_1)
	v_and_or_b32 v2, 0x80, v2, v3
	global_store_b8 v[4:5], v2, off
.LBB7_82:
	s_mov_b32 s1, 0
.LBB7_83:
	s_delay_alu instid0(SALU_CYCLE_1)
	s_and_not1_b32 vcc_lo, exec_lo, s1
	s_cbranch_vccnz .LBB7_93
; %bb.84:
	v_cvt_f32_f64_e32 v2, v[0:1]
	s_mov_b32 s1, exec_lo
                                        ; implicit-def: $vgpr3
	s_delay_alu instid0(VALU_DEP_1) | instskip(NEXT) | instid1(VALU_DEP_1)
	v_and_b32_e32 v7, 0x7fffffff, v2
	v_cmpx_gt_u32_e32 0x47800000, v7
	s_xor_b32 s1, exec_lo, s1
	s_cbranch_execz .LBB7_90
; %bb.85:
	s_mov_b32 s15, exec_lo
                                        ; implicit-def: $vgpr3
	v_cmpx_lt_u32_e32 0x387fffff, v7
	s_xor_b32 s15, exec_lo, s15
; %bb.86:
	v_bfe_u32 v3, v2, 21, 1
	s_delay_alu instid0(VALU_DEP_1) | instskip(NEXT) | instid1(VALU_DEP_1)
	v_add3_u32 v3, v2, v3, 0x80fffff
	v_lshrrev_b32_e32 v3, 21, v3
; %bb.87:
	s_and_not1_saveexec_b32 s15, s15
; %bb.88:
	v_add_f32_e64 v3, 0x43000000, |v2|
; %bb.89:
	s_or_b32 exec_lo, exec_lo, s15
                                        ; implicit-def: $vgpr7
.LBB7_90:
	s_and_not1_saveexec_b32 s1, s1
; %bb.91:
	v_mov_b32_e32 v3, 0x7f
	v_cmp_lt_u32_e32 vcc_lo, 0x7f800000, v7
	s_delay_alu instid0(VALU_DEP_2)
	v_cndmask_b32_e32 v3, 0x7c, v3, vcc_lo
; %bb.92:
	s_or_b32 exec_lo, exec_lo, s1
	v_lshrrev_b32_e32 v2, 24, v2
	s_delay_alu instid0(VALU_DEP_1)
	v_and_or_b32 v2, 0x80, v2, v3
	global_store_b8 v[4:5], v2, off
.LBB7_93:
	s_mov_b32 s15, 0
	s_mov_b32 s1, -1
.LBB7_94:
	s_and_not1_b32 vcc_lo, exec_lo, s15
	s_cbranch_vccnz .LBB7_102
; %bb.95:
	v_cmp_lt_i16_e32 vcc_lo, 14, v6
	s_mov_b32 s15, -1
	s_cbranch_vccz .LBB7_99
; %bb.96:
	v_cmp_eq_u16_e32 vcc_lo, 15, v6
	s_mov_b32 s0, -1
	s_cbranch_vccz .LBB7_98
; %bb.97:
	v_cvt_f32_f64_e32 v2, v[0:1]
	s_mov_b32 s1, -1
	s_mov_b32 s0, 0
	s_delay_alu instid0(VALU_DEP_1) | instskip(SKIP_1) | instid1(VALU_DEP_2)
	v_bfe_u32 v3, v2, 16, 1
	v_cmp_o_f32_e32 vcc_lo, v2, v2
	v_add3_u32 v3, v2, v3, 0x7fff
	s_delay_alu instid0(VALU_DEP_1) | instskip(NEXT) | instid1(VALU_DEP_1)
	v_lshrrev_b32_e32 v3, 16, v3
	v_cndmask_b32_e32 v2, 0x7fc0, v3, vcc_lo
	global_store_b16 v[4:5], v2, off
.LBB7_98:
	s_mov_b32 s15, 0
.LBB7_99:
	s_delay_alu instid0(SALU_CYCLE_1)
	s_and_b32 vcc_lo, exec_lo, s15
	s_cbranch_vccz .LBB7_102
; %bb.100:
	v_cmp_eq_u16_e32 vcc_lo, 11, v6
	s_mov_b32 s0, -1
	s_cbranch_vccz .LBB7_102
; %bb.101:
	v_cmp_neq_f64_e32 vcc_lo, 0, v[0:1]
	s_mov_b32 s1, -1
	s_mov_b32 s0, 0
	v_cndmask_b32_e64 v2, 0, 1, vcc_lo
	global_store_b8 v[4:5], v2, off
.LBB7_102:
	s_branch .LBB7_22
.LBB7_103:
	v_cmp_gt_i16_e32 vcc_lo, 5, v6
	s_mov_b32 s1, -1
	s_cbranch_vccnz .LBB7_124
; %bb.104:
	v_cmp_gt_i16_e32 vcc_lo, 8, v6
	s_cbranch_vccnz .LBB7_114
; %bb.105:
	v_cmp_gt_i16_e32 vcc_lo, 9, v6
	s_cbranch_vccnz .LBB7_111
; %bb.106:
	v_cmp_lt_i16_e32 vcc_lo, 9, v6
	s_cbranch_vccz .LBB7_108
; %bb.107:
	v_mov_b32_e32 v2, 0
	s_mov_b32 s1, 0
	s_delay_alu instid0(VALU_DEP_1)
	v_mov_b32_e32 v3, v2
	global_store_b128 v[4:5], v[0:3], off
.LBB7_108:
	s_and_not1_b32 vcc_lo, exec_lo, s1
	s_cbranch_vccnz .LBB7_110
; %bb.109:
	v_cvt_f32_f64_e32 v2, v[0:1]
	v_mov_b32_e32 v3, 0
	global_store_b64 v[4:5], v[2:3], off
.LBB7_110:
	s_mov_b32 s1, 0
.LBB7_111:
	s_delay_alu instid0(SALU_CYCLE_1)
	s_and_not1_b32 vcc_lo, exec_lo, s1
	s_cbranch_vccnz .LBB7_113
; %bb.112:
	v_cvt_f32_f64_e32 v2, v[0:1]
	s_delay_alu instid0(VALU_DEP_1) | instskip(NEXT) | instid1(VALU_DEP_1)
	v_cvt_f16_f32_e32 v2, v2
	v_and_b32_e32 v2, 0xffff, v2
	global_store_b32 v[4:5], v2, off
.LBB7_113:
	s_mov_b32 s1, 0
.LBB7_114:
	s_delay_alu instid0(SALU_CYCLE_1)
	s_and_not1_b32 vcc_lo, exec_lo, s1
	s_cbranch_vccnz .LBB7_123
; %bb.115:
	v_cmp_gt_i16_e32 vcc_lo, 6, v6
	s_mov_b32 s1, -1
	s_cbranch_vccnz .LBB7_121
; %bb.116:
	v_cmp_lt_i16_e32 vcc_lo, 6, v6
	s_cbranch_vccz .LBB7_118
; %bb.117:
	s_mov_b32 s1, 0
	global_store_b64 v[4:5], v[0:1], off
.LBB7_118:
	s_and_not1_b32 vcc_lo, exec_lo, s1
	s_cbranch_vccnz .LBB7_120
; %bb.119:
	v_cvt_f32_f64_e32 v2, v[0:1]
	global_store_b32 v[4:5], v2, off
.LBB7_120:
	s_mov_b32 s1, 0
.LBB7_121:
	s_delay_alu instid0(SALU_CYCLE_1)
	s_and_not1_b32 vcc_lo, exec_lo, s1
	s_cbranch_vccnz .LBB7_123
; %bb.122:
	v_cvt_f32_f64_e32 v2, v[0:1]
	s_delay_alu instid0(VALU_DEP_1)
	v_cvt_f16_f32_e32 v2, v2
	global_store_b16 v[4:5], v2, off
.LBB7_123:
	s_mov_b32 s1, 0
.LBB7_124:
	s_delay_alu instid0(SALU_CYCLE_1)
	s_and_not1_b32 vcc_lo, exec_lo, s1
	s_cbranch_vccnz .LBB7_140
; %bb.125:
	v_cmp_gt_i16_e32 vcc_lo, 2, v6
	s_mov_b32 s1, -1
	s_cbranch_vccnz .LBB7_135
; %bb.126:
	v_cmp_gt_i16_e32 vcc_lo, 3, v6
	s_cbranch_vccnz .LBB7_132
; %bb.127:
	v_cmp_lt_i16_e32 vcc_lo, 3, v6
	s_cbranch_vccz .LBB7_129
; %bb.128:
	v_trunc_f64_e32 v[2:3], v[0:1]
	s_mov_b32 s1, 0
	s_delay_alu instid0(VALU_DEP_1) | instskip(NEXT) | instid1(VALU_DEP_1)
	v_ldexp_f64 v[7:8], v[2:3], 0xffffffe0
	v_floor_f64_e32 v[7:8], v[7:8]
	s_delay_alu instid0(VALU_DEP_1) | instskip(SKIP_1) | instid1(VALU_DEP_2)
	v_fma_f64 v[2:3], 0xc1f00000, v[7:8], v[2:3]
	v_cvt_i32_f64_e32 v8, v[7:8]
	v_cvt_u32_f64_e32 v7, v[2:3]
	global_store_b64 v[4:5], v[7:8], off
.LBB7_129:
	s_and_not1_b32 vcc_lo, exec_lo, s1
	s_cbranch_vccnz .LBB7_131
; %bb.130:
	v_cvt_i32_f64_e32 v2, v[0:1]
	global_store_b32 v[4:5], v2, off
.LBB7_131:
	s_mov_b32 s1, 0
.LBB7_132:
	s_delay_alu instid0(SALU_CYCLE_1)
	s_and_not1_b32 vcc_lo, exec_lo, s1
	s_cbranch_vccnz .LBB7_134
; %bb.133:
	v_cvt_i32_f64_e32 v2, v[0:1]
	global_store_b16 v[4:5], v2, off
.LBB7_134:
	s_mov_b32 s1, 0
.LBB7_135:
	s_delay_alu instid0(SALU_CYCLE_1)
	s_and_not1_b32 vcc_lo, exec_lo, s1
	s_cbranch_vccnz .LBB7_140
; %bb.136:
	v_cmp_lt_i16_e32 vcc_lo, 0, v6
	s_mov_b32 s1, -1
	s_cbranch_vccz .LBB7_138
; %bb.137:
	v_cvt_i32_f64_e32 v2, v[0:1]
	s_mov_b32 s1, 0
	global_store_b8 v[4:5], v2, off
.LBB7_138:
	s_and_not1_b32 vcc_lo, exec_lo, s1
	s_cbranch_vccnz .LBB7_140
; %bb.139:
	v_trunc_f64_e32 v[0:1], v[0:1]
	s_delay_alu instid0(VALU_DEP_1) | instskip(NEXT) | instid1(VALU_DEP_1)
	v_ldexp_f64 v[2:3], v[0:1], 0xffffffe0
	v_floor_f64_e32 v[2:3], v[2:3]
	s_delay_alu instid0(VALU_DEP_1) | instskip(NEXT) | instid1(VALU_DEP_1)
	v_fma_f64 v[0:1], 0xc1f00000, v[2:3], v[0:1]
	v_cvt_u32_f64_e32 v0, v[0:1]
	global_store_b8 v[4:5], v0, off
.LBB7_140:
.LBB7_141:
	v_add_nc_u32_e32 v16, 0x80, v16
	s_mov_b32 s1, -1
	s_branch .LBB7_252
.LBB7_142:
	s_mov_b32 s17, -1
                                        ; implicit-def: $vgpr2_vgpr3
.LBB7_143:
	s_mov_b32 s1, 0
.LBB7_144:
	s_delay_alu instid0(SALU_CYCLE_1)
	s_and_b32 vcc_lo, exec_lo, s1
	s_cbranch_vccz .LBB7_148
; %bb.145:
	v_cmp_eq_u16_e32 vcc_lo, 29, v17
	s_cbranch_vccz .LBB7_147
; %bb.146:
	global_load_b64 v[2:3], v[0:1], off
	s_mov_b32 s0, -1
	s_mov_b32 s17, 0
	s_mov_b32 s1, 0
	s_waitcnt vmcnt(0)
	v_cvt_f64_u32_e32 v[3:4], v3
	v_cvt_f64_u32_e32 v[5:6], v2
	s_delay_alu instid0(VALU_DEP_2) | instskip(NEXT) | instid1(VALU_DEP_1)
	v_ldexp_f64 v[3:4], v[3:4], 32
	v_add_f64 v[2:3], v[3:4], v[5:6]
	s_branch .LBB7_149
.LBB7_147:
	s_mov_b32 s17, -1
                                        ; implicit-def: $vgpr2_vgpr3
.LBB7_148:
	s_mov_b32 s1, 0
.LBB7_149:
	s_delay_alu instid0(SALU_CYCLE_1)
	s_and_b32 vcc_lo, exec_lo, s1
	s_cbranch_vccz .LBB7_169
; %bb.150:
	v_cmp_gt_i16_e32 vcc_lo, 27, v17
	s_cbranch_vccnz .LBB7_153
; %bb.151:
	v_cmp_lt_i16_e32 vcc_lo, 27, v17
	s_cbranch_vccz .LBB7_154
; %bb.152:
	global_load_b32 v2, v[0:1], off
	s_mov_b32 s0, 0
	s_waitcnt vmcnt(0)
	v_cvt_f64_u32_e32 v[2:3], v2
	s_branch .LBB7_155
.LBB7_153:
	s_mov_b32 s0, -1
                                        ; implicit-def: $vgpr2_vgpr3
	s_branch .LBB7_158
.LBB7_154:
	s_mov_b32 s0, -1
                                        ; implicit-def: $vgpr2_vgpr3
.LBB7_155:
	s_delay_alu instid0(SALU_CYCLE_1)
	s_and_not1_b32 vcc_lo, exec_lo, s0
	s_cbranch_vccnz .LBB7_157
; %bb.156:
	global_load_u16 v2, v[0:1], off
	s_waitcnt vmcnt(0)
	v_cvt_f64_u32_e32 v[2:3], v2
.LBB7_157:
	s_mov_b32 s0, 0
.LBB7_158:
	s_delay_alu instid0(SALU_CYCLE_1)
	s_and_not1_b32 vcc_lo, exec_lo, s0
	s_cbranch_vccnz .LBB7_168
; %bb.159:
	global_load_u8 v4, v[0:1], off
	s_mov_b32 s20, exec_lo
                                        ; implicit-def: $sgpr0_sgpr1
	s_waitcnt vmcnt(0)
	v_cmpx_lt_i16_e32 0x7f, v4
	s_xor_b32 s20, exec_lo, s20
	s_cbranch_execz .LBB7_163
; %bb.160:
	s_mov_b32 s21, -1
	s_mov_b32 s15, exec_lo
                                        ; implicit-def: $sgpr0_sgpr1
	v_cmpx_eq_u16_e32 0x80, v4
; %bb.161:
	s_mov_b32 s1, 0x7ff80000
	s_brev_b32 s0, 4
	s_xor_b32 s21, exec_lo, -1
; %bb.162:
	s_or_b32 exec_lo, exec_lo, s15
	s_delay_alu instid0(SALU_CYCLE_1)
	s_and_b32 s15, s21, exec_lo
.LBB7_163:
	s_or_saveexec_b32 s20, s20
	v_dual_mov_b32 v3, s1 :: v_dual_mov_b32 v2, s0
	s_xor_b32 exec_lo, exec_lo, s20
; %bb.164:
	v_cmp_ne_u16_e32 vcc_lo, 0, v4
	v_mov_b32_e32 v2, 0
	v_mov_b32_e32 v3, 0
	s_and_not1_b32 s0, s15, exec_lo
	s_and_b32 s1, vcc_lo, exec_lo
	s_delay_alu instid0(SALU_CYCLE_1)
	s_or_b32 s15, s0, s1
; %bb.165:
	s_or_b32 exec_lo, exec_lo, s20
	s_and_saveexec_b32 s0, s15
	s_cbranch_execz .LBB7_167
; %bb.166:
	v_and_b32_e32 v2, 0xffff, v4
	v_lshlrev_b32_e32 v4, 24, v4
	s_delay_alu instid0(VALU_DEP_2) | instskip(NEXT) | instid1(VALU_DEP_2)
	v_and_b32_e32 v3, 7, v2
	v_and_b32_e32 v4, 0x80000000, v4
	s_delay_alu instid0(VALU_DEP_2) | instskip(NEXT) | instid1(VALU_DEP_1)
	v_clz_i32_u32_e32 v5, v3
	v_min_u32_e32 v5, 32, v5
	s_delay_alu instid0(VALU_DEP_1) | instskip(SKIP_1) | instid1(VALU_DEP_2)
	v_subrev_nc_u32_e32 v6, 28, v5
	v_sub_nc_u32_e32 v5, 29, v5
	v_lshlrev_b32_e32 v6, v6, v2
	v_bfe_u32 v2, v2, 3, 4
	s_delay_alu instid0(VALU_DEP_2) | instskip(NEXT) | instid1(VALU_DEP_2)
	v_and_b32_e32 v6, 7, v6
	v_cmp_eq_u32_e32 vcc_lo, 0, v2
	s_delay_alu instid0(VALU_DEP_2) | instskip(NEXT) | instid1(VALU_DEP_1)
	v_dual_cndmask_b32 v2, v2, v5 :: v_dual_cndmask_b32 v3, v3, v6
	v_lshl_add_u32 v2, v2, 23, 0x3b800000
	s_delay_alu instid0(VALU_DEP_2) | instskip(NEXT) | instid1(VALU_DEP_1)
	v_lshlrev_b32_e32 v3, 20, v3
	v_or3_b32 v2, v4, v2, v3
	s_delay_alu instid0(VALU_DEP_1)
	v_cvt_f64_f32_e32 v[2:3], v2
.LBB7_167:
	s_or_b32 exec_lo, exec_lo, s0
.LBB7_168:
	s_mov_b32 s0, -1
.LBB7_169:
	s_branch .LBB7_202
.LBB7_170:
	v_cmp_lt_i16_e32 vcc_lo, 22, v17
	s_cbranch_vccz .LBB7_182
; %bb.171:
	v_cmp_gt_i16_e32 vcc_lo, 24, v17
	s_cbranch_vccnz .LBB7_183
; %bb.172:
	v_cmp_lt_i16_e32 vcc_lo, 24, v17
	s_cbranch_vccz .LBB7_184
; %bb.173:
	global_load_u8 v4, v[0:1], off
	s_mov_b32 s15, 0
	s_mov_b32 s20, exec_lo
                                        ; implicit-def: $sgpr0_sgpr1
	s_waitcnt vmcnt(0)
	v_cmpx_lt_i16_e32 0x7f, v4
	s_xor_b32 s20, exec_lo, s20
	s_cbranch_execz .LBB7_177
; %bb.174:
	s_mov_b32 s21, -1
	s_mov_b32 s15, exec_lo
                                        ; implicit-def: $sgpr0_sgpr1
	v_cmpx_eq_u16_e32 0x80, v4
; %bb.175:
	s_mov_b32 s1, 0x7ff80000
	s_brev_b32 s0, 4
	s_xor_b32 s21, exec_lo, -1
; %bb.176:
	s_or_b32 exec_lo, exec_lo, s15
	s_delay_alu instid0(SALU_CYCLE_1)
	s_and_b32 s15, s21, exec_lo
.LBB7_177:
	s_or_saveexec_b32 s20, s20
	v_dual_mov_b32 v3, s1 :: v_dual_mov_b32 v2, s0
	s_xor_b32 exec_lo, exec_lo, s20
; %bb.178:
	v_cmp_ne_u16_e32 vcc_lo, 0, v4
	v_mov_b32_e32 v2, 0
	v_mov_b32_e32 v3, 0
	s_and_not1_b32 s0, s15, exec_lo
	s_and_b32 s1, vcc_lo, exec_lo
	s_delay_alu instid0(SALU_CYCLE_1)
	s_or_b32 s15, s0, s1
; %bb.179:
	s_or_b32 exec_lo, exec_lo, s20
	s_and_saveexec_b32 s0, s15
	s_cbranch_execz .LBB7_181
; %bb.180:
	v_and_b32_e32 v2, 0xffff, v4
	v_lshlrev_b32_e32 v4, 24, v4
	s_delay_alu instid0(VALU_DEP_2) | instskip(NEXT) | instid1(VALU_DEP_2)
	v_and_b32_e32 v3, 3, v2
	v_and_b32_e32 v4, 0x80000000, v4
	s_delay_alu instid0(VALU_DEP_2) | instskip(NEXT) | instid1(VALU_DEP_1)
	v_clz_i32_u32_e32 v5, v3
	v_min_u32_e32 v5, 32, v5
	s_delay_alu instid0(VALU_DEP_1) | instskip(SKIP_1) | instid1(VALU_DEP_2)
	v_subrev_nc_u32_e32 v6, 29, v5
	v_sub_nc_u32_e32 v5, 30, v5
	v_lshlrev_b32_e32 v6, v6, v2
	v_bfe_u32 v2, v2, 2, 5
	s_delay_alu instid0(VALU_DEP_2) | instskip(NEXT) | instid1(VALU_DEP_2)
	v_and_b32_e32 v6, 3, v6
	v_cmp_eq_u32_e32 vcc_lo, 0, v2
	s_delay_alu instid0(VALU_DEP_2) | instskip(NEXT) | instid1(VALU_DEP_1)
	v_dual_cndmask_b32 v2, v2, v5 :: v_dual_cndmask_b32 v3, v3, v6
	v_lshl_add_u32 v2, v2, 23, 0x37800000
	s_delay_alu instid0(VALU_DEP_2) | instskip(NEXT) | instid1(VALU_DEP_1)
	v_lshlrev_b32_e32 v3, 21, v3
	v_or3_b32 v2, v4, v2, v3
	s_delay_alu instid0(VALU_DEP_1)
	v_cvt_f64_f32_e32 v[2:3], v2
.LBB7_181:
	s_or_b32 exec_lo, exec_lo, s0
	s_mov_b32 s0, 0
	s_branch .LBB7_185
.LBB7_182:
	s_mov_b32 s1, -1
                                        ; implicit-def: $vgpr2_vgpr3
	s_branch .LBB7_191
.LBB7_183:
	s_mov_b32 s0, -1
                                        ; implicit-def: $vgpr2_vgpr3
	s_branch .LBB7_188
.LBB7_184:
	s_mov_b32 s0, -1
                                        ; implicit-def: $vgpr2_vgpr3
.LBB7_185:
	s_delay_alu instid0(SALU_CYCLE_1)
	s_and_b32 vcc_lo, exec_lo, s0
	s_cbranch_vccz .LBB7_187
; %bb.186:
	global_load_u8 v2, v[0:1], off
	s_waitcnt vmcnt(0)
	v_lshlrev_b32_e32 v2, 24, v2
	s_delay_alu instid0(VALU_DEP_1) | instskip(NEXT) | instid1(VALU_DEP_1)
	v_and_b32_e32 v3, 0x7f000000, v2
	v_clz_i32_u32_e32 v4, v3
	v_add_nc_u32_e32 v6, 0x1000000, v3
	v_cmp_ne_u32_e32 vcc_lo, 0, v3
	s_delay_alu instid0(VALU_DEP_3) | instskip(NEXT) | instid1(VALU_DEP_1)
	v_min_u32_e32 v4, 32, v4
	v_sub_nc_u32_e64 v4, v4, 4 clamp
	s_delay_alu instid0(VALU_DEP_1) | instskip(SKIP_1) | instid1(VALU_DEP_2)
	v_lshlrev_b32_e32 v5, v4, v3
	v_lshlrev_b32_e32 v4, 23, v4
	v_lshrrev_b32_e32 v5, 4, v5
	s_delay_alu instid0(VALU_DEP_1) | instskip(SKIP_1) | instid1(VALU_DEP_2)
	v_sub_nc_u32_e32 v4, v5, v4
	v_ashrrev_i32_e32 v5, 8, v6
	v_add_nc_u32_e32 v4, 0x3c000000, v4
	s_delay_alu instid0(VALU_DEP_1) | instskip(NEXT) | instid1(VALU_DEP_1)
	v_and_or_b32 v4, 0x7f800000, v5, v4
	v_cndmask_b32_e32 v3, 0, v4, vcc_lo
	s_delay_alu instid0(VALU_DEP_1) | instskip(NEXT) | instid1(VALU_DEP_1)
	v_and_or_b32 v2, 0x80000000, v2, v3
	v_cvt_f64_f32_e32 v[2:3], v2
.LBB7_187:
	s_mov_b32 s0, 0
.LBB7_188:
	s_delay_alu instid0(SALU_CYCLE_1)
	s_and_not1_b32 vcc_lo, exec_lo, s0
	s_cbranch_vccnz .LBB7_190
; %bb.189:
	global_load_u8 v2, v[0:1], off
	s_waitcnt vmcnt(0)
	v_lshlrev_b32_e32 v3, 25, v2
	v_lshlrev_b16 v2, 8, v2
	s_delay_alu instid0(VALU_DEP_2) | instskip(NEXT) | instid1(VALU_DEP_2)
	v_lshrrev_b32_e32 v4, 4, v3
	v_and_or_b32 v5, 0x7f00, v2, 0.5
	v_bfe_i32 v2, v2, 0, 16
	s_delay_alu instid0(VALU_DEP_3) | instskip(NEXT) | instid1(VALU_DEP_1)
	v_or_b32_e32 v4, 0x70000000, v4
	v_dual_add_f32 v5, -0.5, v5 :: v_dual_mul_f32 v4, 0x7800000, v4
	v_cmp_gt_u32_e32 vcc_lo, 0x8000000, v3
	s_delay_alu instid0(VALU_DEP_2) | instskip(NEXT) | instid1(VALU_DEP_1)
	v_cndmask_b32_e32 v3, v4, v5, vcc_lo
	v_and_or_b32 v2, 0x80000000, v2, v3
	s_delay_alu instid0(VALU_DEP_1)
	v_cvt_f64_f32_e32 v[2:3], v2
.LBB7_190:
	s_mov_b32 s1, 0
	s_mov_b32 s0, -1
.LBB7_191:
	s_and_not1_b32 vcc_lo, exec_lo, s1
	s_cbranch_vccnz .LBB7_202
; %bb.192:
	v_cmp_lt_i16_e32 vcc_lo, 14, v17
	s_cbranch_vccz .LBB7_195
; %bb.193:
	v_cmp_eq_u16_e32 vcc_lo, 15, v17
	s_cbranch_vccz .LBB7_196
; %bb.194:
	global_load_u16 v2, v[0:1], off
	s_mov_b32 s0, -1
	s_mov_b32 s17, 0
	s_waitcnt vmcnt(0)
	v_lshlrev_b32_e32 v2, 16, v2
	s_delay_alu instid0(VALU_DEP_1)
	v_cvt_f64_f32_e32 v[2:3], v2
	s_branch .LBB7_197
.LBB7_195:
	s_mov_b32 s1, -1
                                        ; implicit-def: $vgpr2_vgpr3
	s_branch .LBB7_198
.LBB7_196:
	s_mov_b32 s17, -1
                                        ; implicit-def: $vgpr2_vgpr3
.LBB7_197:
	s_mov_b32 s1, 0
.LBB7_198:
	s_delay_alu instid0(SALU_CYCLE_1)
	s_and_b32 vcc_lo, exec_lo, s1
	s_cbranch_vccz .LBB7_202
; %bb.199:
	v_cmp_eq_u16_e32 vcc_lo, 11, v17
	s_cbranch_vccz .LBB7_201
; %bb.200:
	global_load_u8 v2, v[0:1], off
	s_mov_b32 s17, 0
	s_mov_b32 s0, -1
	s_waitcnt vmcnt(0)
	v_cmp_ne_u16_e32 vcc_lo, 0, v2
	v_mov_b32_e32 v2, 0
	v_cndmask_b32_e64 v3, 0, 0x3ff00000, vcc_lo
	s_branch .LBB7_202
.LBB7_201:
	s_mov_b32 s17, -1
                                        ; implicit-def: $vgpr2_vgpr3
.LBB7_202:
	s_branch .LBB7_10
.LBB7_203:
	v_cmp_gt_i16_e32 vcc_lo, 5, v17
	s_cbranch_vccnz .LBB7_208
; %bb.204:
	v_cmp_gt_i16_e32 vcc_lo, 8, v17
	s_cbranch_vccnz .LBB7_209
; %bb.205:
	;; [unrolled: 3-line block ×3, first 2 shown]
	v_cmp_lt_i16_e32 vcc_lo, 9, v17
	s_cbranch_vccz .LBB7_211
; %bb.207:
	global_load_b64 v[2:3], v[0:1], off
	s_mov_b32 s0, 0
	s_branch .LBB7_212
.LBB7_208:
                                        ; implicit-def: $vgpr2_vgpr3
	s_branch .LBB7_230
.LBB7_209:
	s_mov_b32 s0, -1
                                        ; implicit-def: $vgpr2_vgpr3
	s_branch .LBB7_218
.LBB7_210:
	s_mov_b32 s0, -1
                                        ; implicit-def: $vgpr2_vgpr3
	s_branch .LBB7_215
.LBB7_211:
	s_mov_b32 s0, -1
                                        ; implicit-def: $vgpr2_vgpr3
.LBB7_212:
	s_delay_alu instid0(SALU_CYCLE_1)
	s_and_not1_b32 vcc_lo, exec_lo, s0
	s_cbranch_vccnz .LBB7_214
; %bb.213:
	global_load_b32 v2, v[0:1], off
	s_waitcnt vmcnt(0)
	v_cvt_f64_f32_e32 v[2:3], v2
.LBB7_214:
	s_mov_b32 s0, 0
.LBB7_215:
	s_delay_alu instid0(SALU_CYCLE_1)
	s_and_not1_b32 vcc_lo, exec_lo, s0
	s_cbranch_vccnz .LBB7_217
; %bb.216:
	global_load_b32 v2, v[0:1], off
	s_waitcnt vmcnt(0)
	v_cvt_f32_f16_e32 v2, v2
	s_delay_alu instid0(VALU_DEP_1)
	v_cvt_f64_f32_e32 v[2:3], v2
.LBB7_217:
	s_mov_b32 s0, 0
.LBB7_218:
	s_delay_alu instid0(SALU_CYCLE_1)
	s_and_not1_b32 vcc_lo, exec_lo, s0
	s_cbranch_vccnz .LBB7_229
; %bb.219:
	v_cmp_gt_i16_e32 vcc_lo, 6, v17
	s_cbranch_vccnz .LBB7_222
; %bb.220:
	v_cmp_lt_i16_e32 vcc_lo, 6, v17
	s_cbranch_vccz .LBB7_223
; %bb.221:
	global_load_b64 v[2:3], v[0:1], off
	s_mov_b32 s0, 0
	s_branch .LBB7_224
.LBB7_222:
	s_mov_b32 s0, -1
                                        ; implicit-def: $vgpr2_vgpr3
	s_branch .LBB7_227
.LBB7_223:
	s_mov_b32 s0, -1
                                        ; implicit-def: $vgpr2_vgpr3
.LBB7_224:
	s_delay_alu instid0(SALU_CYCLE_1)
	s_and_not1_b32 vcc_lo, exec_lo, s0
	s_cbranch_vccnz .LBB7_226
; %bb.225:
	global_load_b32 v2, v[0:1], off
	s_waitcnt vmcnt(0)
	v_cvt_f64_f32_e32 v[2:3], v2
.LBB7_226:
	s_mov_b32 s0, 0
.LBB7_227:
	s_delay_alu instid0(SALU_CYCLE_1)
	s_and_not1_b32 vcc_lo, exec_lo, s0
	s_cbranch_vccnz .LBB7_229
; %bb.228:
	global_load_u16 v2, v[0:1], off
	s_waitcnt vmcnt(0)
	v_cvt_f32_f16_e32 v2, v2
	s_delay_alu instid0(VALU_DEP_1)
	v_cvt_f64_f32_e32 v[2:3], v2
.LBB7_229:
	s_cbranch_execnz .LBB7_249
.LBB7_230:
	v_cmp_gt_i16_e32 vcc_lo, 2, v17
	s_cbranch_vccnz .LBB7_234
; %bb.231:
	v_cmp_gt_i16_e32 vcc_lo, 3, v17
	s_cbranch_vccnz .LBB7_235
; %bb.232:
	v_cmp_lt_i16_e32 vcc_lo, 3, v17
	s_cbranch_vccz .LBB7_236
; %bb.233:
	global_load_b64 v[2:3], v[0:1], off
	s_mov_b32 s0, 0
	s_waitcnt vmcnt(0)
	v_cvt_f64_i32_e32 v[3:4], v3
	v_cvt_f64_u32_e32 v[5:6], v2
	s_delay_alu instid0(VALU_DEP_2) | instskip(NEXT) | instid1(VALU_DEP_1)
	v_ldexp_f64 v[3:4], v[3:4], 32
	v_add_f64 v[2:3], v[3:4], v[5:6]
	s_branch .LBB7_237
.LBB7_234:
	s_mov_b32 s0, -1
                                        ; implicit-def: $vgpr2_vgpr3
	s_branch .LBB7_243
.LBB7_235:
	s_mov_b32 s0, -1
                                        ; implicit-def: $vgpr2_vgpr3
	s_branch .LBB7_240
.LBB7_236:
	s_mov_b32 s0, -1
                                        ; implicit-def: $vgpr2_vgpr3
.LBB7_237:
	s_delay_alu instid0(SALU_CYCLE_1)
	s_and_not1_b32 vcc_lo, exec_lo, s0
	s_cbranch_vccnz .LBB7_239
; %bb.238:
	global_load_b32 v2, v[0:1], off
	s_waitcnt vmcnt(0)
	v_cvt_f64_i32_e32 v[2:3], v2
.LBB7_239:
	s_mov_b32 s0, 0
.LBB7_240:
	s_delay_alu instid0(SALU_CYCLE_1)
	s_and_not1_b32 vcc_lo, exec_lo, s0
	s_cbranch_vccnz .LBB7_242
; %bb.241:
	global_load_i16 v2, v[0:1], off
	s_waitcnt vmcnt(0)
	v_cvt_f64_i32_e32 v[2:3], v2
.LBB7_242:
	s_mov_b32 s0, 0
.LBB7_243:
	s_delay_alu instid0(SALU_CYCLE_1)
	s_and_not1_b32 vcc_lo, exec_lo, s0
	s_cbranch_vccnz .LBB7_249
; %bb.244:
	v_cmp_lt_i16_e32 vcc_lo, 0, v17
	s_mov_b32 s0, 0
	s_cbranch_vccz .LBB7_246
; %bb.245:
	global_load_i8 v2, v[0:1], off
	s_waitcnt vmcnt(0)
	v_cvt_f64_i32_e32 v[2:3], v2
	s_branch .LBB7_247
.LBB7_246:
	s_mov_b32 s0, -1
                                        ; implicit-def: $vgpr2_vgpr3
.LBB7_247:
	s_delay_alu instid0(SALU_CYCLE_1)
	s_and_not1_b32 vcc_lo, exec_lo, s0
	s_cbranch_vccnz .LBB7_249
; %bb.248:
	global_load_u8 v0, v[0:1], off
	s_waitcnt vmcnt(0)
	v_cvt_f64_u32_e32 v[2:3], v0
.LBB7_249:
	s_branch .LBB7_11
.LBB7_250:
	s_mov_b32 s0, 0
.LBB7_251:
	s_mov_b32 s1, 0
                                        ; implicit-def: $vgpr16
.LBB7_252:
	s_and_b32 s15, s0, exec_lo
	s_and_b32 s17, s17, exec_lo
	s_or_not1_b32 s1, s1, exec_lo
.LBB7_253:
	s_or_b32 exec_lo, exec_lo, s18
	s_mov_b32 s20, 0
	s_mov_b32 s0, 0
                                        ; implicit-def: $vgpr0_vgpr1
                                        ; implicit-def: $vgpr2_vgpr3
	s_and_saveexec_b32 s18, s1
	s_cbranch_execz .LBB7_865
; %bb.254:
	s_mov_b32 s23, -1
	s_mov_b32 s19, s17
	s_mov_b32 s20, s15
	s_mov_b32 s21, exec_lo
	v_cmpx_gt_i32_e64 s16, v16
	s_cbranch_execz .LBB7_515
; %bb.255:
	v_mul_lo_u32 v0, v16, s3
	v_cmp_gt_i16_e32 vcc_lo, 11, v17
	s_delay_alu instid0(VALU_DEP_2) | instskip(SKIP_1) | instid1(VALU_DEP_1)
	v_ashrrev_i32_e32 v1, 31, v0
	v_add_co_u32 v0, s0, s6, v0
	v_add_co_ci_u32_e64 v1, s0, s7, v1, s0
	s_cbranch_vccnz .LBB7_262
; %bb.256:
	v_cmp_lt_i16_e32 vcc_lo, 25, v17
	s_cbranch_vccz .LBB7_273
; %bb.257:
	v_cmp_lt_i16_e32 vcc_lo, 28, v17
	s_cbranch_vccz .LBB7_275
	;; [unrolled: 3-line block ×4, first 2 shown]
; %bb.260:
	v_cmp_eq_u16_e32 vcc_lo, 46, v17
	s_mov_b32 s1, 0
	s_cbranch_vccz .LBB7_285
; %bb.261:
	global_load_b32 v2, v[0:1], off
	s_mov_b32 s0, -1
	s_mov_b32 s19, 0
	s_waitcnt vmcnt(0)
	v_lshlrev_b32_e32 v2, 16, v2
	s_delay_alu instid0(VALU_DEP_1)
	v_cvt_f64_f32_e32 v[2:3], v2
	s_branch .LBB7_287
.LBB7_262:
	s_mov_b32 s0, 0
	s_mov_b32 s19, s17
                                        ; implicit-def: $vgpr2_vgpr3
	s_cbranch_execnz .LBB7_464
.LBB7_263:
	s_and_not1_b32 vcc_lo, exec_lo, s0
	s_cbranch_vccnz .LBB7_512
.LBB7_264:
	s_waitcnt vmcnt(0)
	s_delay_alu instid0(VALU_DEP_1) | instskip(SKIP_1) | instid1(VALU_DEP_1)
	v_cvt_f32_f64_e32 v0, v[2:3]
	s_mov_b32 s0, exec_lo
	v_cmpx_nlg_f32_e64 0x7f800000, |v0|
	s_cbranch_execz .LBB7_266
; %bb.265:
	v_dual_mov_b32 v0, 0 :: v_dual_mov_b32 v1, 1.0
	global_store_b32 v0, v1, s[8:9]
.LBB7_266:
	s_or_b32 exec_lo, exec_lo, s0
	v_mov_b32_e32 v0, 0
	v_mul_lo_u32 v5, v16, s2
	v_and_b32_e64 v6, 0xff, s12
	global_load_b32 v4, v0, s[10:11]
	v_cmp_gt_i16_e32 vcc_lo, 11, v6
	v_ashrrev_i32_e32 v7, 31, v5
	s_and_b32 vcc_lo, exec_lo, vcc_lo
	s_waitcnt vmcnt(0)
	v_cvt_f64_f32_e32 v[0:1], v4
	v_cmp_eq_f32_e64 s0, 1.0, v4
	v_add_co_u32 v4, s1, s4, v5
	s_delay_alu instid0(VALU_DEP_1) | instskip(NEXT) | instid1(VALU_DEP_4)
	v_add_co_ci_u32_e64 v5, s1, s5, v7, s1
	v_mul_f64 v[0:1], v[2:3], v[0:1]
	s_delay_alu instid0(VALU_DEP_1) | instskip(NEXT) | instid1(VALU_DEP_2)
	v_cndmask_b32_e64 v1, v1, v3, s0
	v_cndmask_b32_e64 v0, v0, v2, s0
	s_cbranch_vccnz .LBB7_274
; %bb.267:
	v_cmp_lt_i16_e32 vcc_lo, 25, v6
	s_cbranch_vccz .LBB7_276
; %bb.268:
	v_cmp_lt_i16_e32 vcc_lo, 28, v6
	s_cbranch_vccz .LBB7_278
	;; [unrolled: 3-line block ×4, first 2 shown]
; %bb.271:
	v_cmp_eq_u16_e32 vcc_lo, 46, v6
	s_mov_b32 s20, 0
	s_mov_b32 s0, -1
	s_mov_b32 s1, 0
	s_cbranch_vccz .LBB7_291
; %bb.272:
	v_cvt_f32_f64_e32 v2, v[0:1]
	s_mov_b32 s1, -1
	s_mov_b32 s0, 0
	s_delay_alu instid0(VALU_DEP_1) | instskip(SKIP_1) | instid1(VALU_DEP_2)
	v_bfe_u32 v3, v2, 16, 1
	v_cmp_o_f32_e32 vcc_lo, v2, v2
	v_add3_u32 v3, v2, v3, 0x7fff
	s_delay_alu instid0(VALU_DEP_1) | instskip(NEXT) | instid1(VALU_DEP_1)
	v_lshrrev_b32_e32 v3, 16, v3
	v_cndmask_b32_e32 v2, 0x7fc0, v3, vcc_lo
	global_store_b32 v[4:5], v2, off
	s_branch .LBB7_291
.LBB7_273:
	s_mov_b32 s1, -1
	s_mov_b32 s0, 0
	s_mov_b32 s19, s17
                                        ; implicit-def: $vgpr2_vgpr3
	s_branch .LBB7_430
.LBB7_274:
	s_mov_b32 s20, -1
	s_mov_b32 s1, 0
	s_mov_b32 s0, s15
	s_branch .LBB7_360
.LBB7_275:
	s_mov_b32 s1, -1
	s_mov_b32 s0, 0
	s_mov_b32 s19, s17
                                        ; implicit-def: $vgpr2_vgpr3
	s_branch .LBB7_409
.LBB7_276:
	s_mov_b32 s20, -1
	s_mov_b32 s1, 0
	s_mov_b32 s0, s15
	s_branch .LBB7_318
.LBB7_277:
	s_mov_b32 s1, -1
	s_mov_b32 s0, 0
	s_mov_b32 s19, s17
                                        ; implicit-def: $vgpr2_vgpr3
	s_branch .LBB7_404
.LBB7_278:
	s_mov_b32 s20, -1
	s_mov_b32 s1, 0
	s_mov_b32 s0, s15
	s_branch .LBB7_301
.LBB7_279:
	s_or_saveexec_b32 s20, s20
                                        ; implicit-def: $sgpr21
	s_delay_alu instid0(SALU_CYCLE_1)
	s_xor_b32 exec_lo, exec_lo, s20
	s_cbranch_execz .LBB7_55
.LBB7_280:
	v_add_f32_e64 v3, 0x46000000, |v2|
	s_and_not1_b32 s15, s15, exec_lo
	s_mov_b32 s21, 0
	s_delay_alu instid0(VALU_DEP_1) | instskip(NEXT) | instid1(VALU_DEP_1)
	v_and_b32_e32 v3, 0xff, v3
	v_cmp_ne_u32_e32 vcc_lo, 0, v3
	s_and_b32 s22, vcc_lo, exec_lo
	s_delay_alu instid0(SALU_CYCLE_1)
	s_or_b32 s15, s15, s22
	s_or_b32 exec_lo, exec_lo, s20
	v_mov_b32_e32 v7, s21
	s_and_saveexec_b32 s20, s15
	s_cbranch_execnz .LBB7_56
	s_branch .LBB7_57
.LBB7_281:
	s_mov_b32 s1, -1
	s_mov_b32 s0, 0
	s_mov_b32 s19, s17
	s_branch .LBB7_286
.LBB7_282:
	s_mov_b32 s20, -1
	s_mov_b32 s1, 0
	s_mov_b32 s0, s15
	s_branch .LBB7_297
.LBB7_283:
	s_or_saveexec_b32 s20, s20
                                        ; implicit-def: $sgpr21
	s_delay_alu instid0(SALU_CYCLE_1)
	s_xor_b32 exec_lo, exec_lo, s20
	s_cbranch_execz .LBB7_68
.LBB7_284:
	v_add_f32_e64 v3, 0x42800000, |v2|
	s_and_not1_b32 s15, s15, exec_lo
	s_mov_b32 s21, 0
	s_delay_alu instid0(VALU_DEP_1) | instskip(NEXT) | instid1(VALU_DEP_1)
	v_and_b32_e32 v3, 0xff, v3
	v_cmp_ne_u32_e32 vcc_lo, 0, v3
	s_and_b32 s22, vcc_lo, exec_lo
	s_delay_alu instid0(SALU_CYCLE_1)
	s_or_b32 s15, s15, s22
	s_or_b32 exec_lo, exec_lo, s20
	v_mov_b32_e32 v7, s21
	s_and_saveexec_b32 s20, s15
	s_cbranch_execnz .LBB7_69
	s_branch .LBB7_70
.LBB7_285:
	s_mov_b32 s19, -1
	s_mov_b32 s0, 0
.LBB7_286:
                                        ; implicit-def: $vgpr2_vgpr3
.LBB7_287:
	s_and_b32 vcc_lo, exec_lo, s1
	s_cbranch_vccz .LBB7_403
; %bb.288:
	v_cmp_eq_u16_e32 vcc_lo, 44, v17
	s_cbranch_vccz .LBB7_402
; %bb.289:
	global_load_u8 v4, v[0:1], off
	s_mov_b32 s19, 0
	s_mov_b32 s0, -1
	s_waitcnt vmcnt(0)
	v_cmp_ne_u32_e32 vcc_lo, 0xff, v4
	v_lshlrev_b32_e32 v2, 23, v4
	s_delay_alu instid0(VALU_DEP_1) | instskip(NEXT) | instid1(VALU_DEP_1)
	v_cvt_f64_f32_e32 v[2:3], v2
	v_cndmask_b32_e32 v3, 0x7ff80000, v3, vcc_lo
	s_delay_alu instid0(VALU_DEP_2) | instskip(SKIP_1) | instid1(VALU_DEP_3)
	v_cndmask_b32_e32 v2, 0x20000000, v2, vcc_lo
	v_cmp_ne_u32_e32 vcc_lo, 0, v4
	v_cndmask_b32_e32 v3, 0x38000000, v3, vcc_lo
	s_delay_alu instid0(VALU_DEP_3)
	v_cndmask_b32_e32 v2, 0, v2, vcc_lo
	s_branch .LBB7_403
.LBB7_290:
	s_mov_b32 s20, -1
	s_mov_b32 s1, 0
	s_mov_b32 s0, s15
.LBB7_291:
	s_and_b32 vcc_lo, exec_lo, s20
	s_cbranch_vccz .LBB7_296
; %bb.292:
	v_cmp_eq_u16_e32 vcc_lo, 44, v6
	s_mov_b32 s0, -1
	s_cbranch_vccz .LBB7_296
; %bb.293:
	v_cvt_f32_f64_e32 v2, v[0:1]
	v_mov_b32_e32 v3, 0xff
	s_mov_b32 s1, exec_lo
	s_delay_alu instid0(VALU_DEP_2) | instskip(NEXT) | instid1(VALU_DEP_1)
	v_bfe_u32 v7, v2, 23, 8
	v_cmpx_ne_u32_e32 0xff, v7
; %bb.294:
	v_and_b32_e32 v3, 0x400000, v2
	v_and_or_b32 v7, 0x3fffff, v2, v7
	v_lshrrev_b32_e32 v2, 23, v2
	s_delay_alu instid0(VALU_DEP_3) | instskip(NEXT) | instid1(VALU_DEP_3)
	v_cmp_ne_u32_e32 vcc_lo, 0, v3
	v_cmp_ne_u32_e64 s0, 0, v7
	s_delay_alu instid0(VALU_DEP_1) | instskip(NEXT) | instid1(SALU_CYCLE_1)
	s_and_b32 s0, vcc_lo, s0
	v_cndmask_b32_e64 v3, 0, 1, s0
	s_delay_alu instid0(VALU_DEP_1)
	v_add_nc_u32_e32 v3, v2, v3
; %bb.295:
	s_or_b32 exec_lo, exec_lo, s1
	s_mov_b32 s1, -1
	s_mov_b32 s0, 0
	global_store_b8 v[4:5], v3, off
.LBB7_296:
	s_mov_b32 s20, 0
.LBB7_297:
	s_delay_alu instid0(SALU_CYCLE_1)
	s_and_b32 vcc_lo, exec_lo, s20
	s_cbranch_vccz .LBB7_300
; %bb.298:
	v_cmp_eq_u16_e32 vcc_lo, 29, v6
	s_mov_b32 s0, -1
	s_cbranch_vccz .LBB7_300
; %bb.299:
	v_trunc_f64_e32 v[2:3], v[0:1]
	s_mov_b32 s1, -1
	s_mov_b32 s0, 0
	s_mov_b32 s20, 0
	s_delay_alu instid0(VALU_DEP_1) | instskip(NEXT) | instid1(VALU_DEP_1)
	v_ldexp_f64 v[7:8], v[2:3], 0xffffffe0
	v_floor_f64_e32 v[7:8], v[7:8]
	s_delay_alu instid0(VALU_DEP_1) | instskip(SKIP_1) | instid1(VALU_DEP_2)
	v_fma_f64 v[2:3], 0xc1f00000, v[7:8], v[2:3]
	v_cvt_u32_f64_e32 v8, v[7:8]
	v_cvt_u32_f64_e32 v7, v[2:3]
	global_store_b64 v[4:5], v[7:8], off
	s_branch .LBB7_301
.LBB7_300:
	s_mov_b32 s20, 0
.LBB7_301:
	s_delay_alu instid0(SALU_CYCLE_1)
	s_and_b32 vcc_lo, exec_lo, s20
	s_cbranch_vccz .LBB7_317
; %bb.302:
	v_cmp_gt_i16_e32 vcc_lo, 27, v6
	s_mov_b32 s1, -1
	s_cbranch_vccnz .LBB7_308
; %bb.303:
	v_cmp_lt_i16_e32 vcc_lo, 27, v6
	s_cbranch_vccz .LBB7_305
; %bb.304:
	v_cvt_u32_f64_e32 v2, v[0:1]
	s_mov_b32 s1, 0
	global_store_b32 v[4:5], v2, off
.LBB7_305:
	s_and_not1_b32 vcc_lo, exec_lo, s1
	s_cbranch_vccnz .LBB7_307
; %bb.306:
	v_cvt_u32_f64_e32 v2, v[0:1]
	global_store_b16 v[4:5], v2, off
.LBB7_307:
	s_mov_b32 s1, 0
.LBB7_308:
	s_delay_alu instid0(SALU_CYCLE_1)
	s_and_not1_b32 vcc_lo, exec_lo, s1
	s_cbranch_vccnz .LBB7_316
; %bb.309:
	v_cvt_f32_f64_e32 v2, v[0:1]
	v_mov_b32_e32 v7, 0x80
	s_mov_b32 s1, exec_lo
	s_delay_alu instid0(VALU_DEP_2) | instskip(NEXT) | instid1(VALU_DEP_1)
	v_and_b32_e32 v3, 0x7fffffff, v2
	v_cmpx_gt_u32_e32 0x43800000, v3
	s_cbranch_execz .LBB7_315
; %bb.310:
	v_cmp_lt_u32_e32 vcc_lo, 0x3bffffff, v3
	s_mov_b32 s20, 0
                                        ; implicit-def: $vgpr3
	s_and_saveexec_b32 s22, vcc_lo
	s_delay_alu instid0(SALU_CYCLE_1)
	s_xor_b32 s22, exec_lo, s22
	s_cbranch_execz .LBB7_528
; %bb.311:
	v_bfe_u32 v3, v2, 20, 1
	s_mov_b32 s20, exec_lo
	s_delay_alu instid0(VALU_DEP_1) | instskip(NEXT) | instid1(VALU_DEP_1)
	v_add3_u32 v3, v2, v3, 0x487ffff
	v_lshrrev_b32_e32 v3, 20, v3
	s_or_saveexec_b32 s22, s22
                                        ; implicit-def: $sgpr23
	s_delay_alu instid0(SALU_CYCLE_1)
	s_xor_b32 exec_lo, exec_lo, s22
	s_cbranch_execnz .LBB7_529
.LBB7_312:
	s_or_b32 exec_lo, exec_lo, s22
	v_mov_b32_e32 v7, s23
	s_and_saveexec_b32 s22, s20
.LBB7_313:
	v_lshrrev_b32_e32 v2, 24, v2
	s_delay_alu instid0(VALU_DEP_1)
	v_and_or_b32 v7, 0x80, v2, v3
.LBB7_314:
	s_or_b32 exec_lo, exec_lo, s22
.LBB7_315:
	s_delay_alu instid0(SALU_CYCLE_1)
	s_or_b32 exec_lo, exec_lo, s1
	global_store_b8 v[4:5], v7, off
.LBB7_316:
	s_mov_b32 s1, -1
.LBB7_317:
	s_mov_b32 s20, 0
.LBB7_318:
	s_delay_alu instid0(SALU_CYCLE_1)
	s_and_b32 vcc_lo, exec_lo, s20
	s_cbranch_vccz .LBB7_359
; %bb.319:
	v_cmp_lt_i16_e32 vcc_lo, 22, v6
	s_mov_b32 s20, -1
	s_cbranch_vccz .LBB7_351
; %bb.320:
	v_cmp_gt_i16_e32 vcc_lo, 24, v6
	s_mov_b32 s1, -1
	s_cbranch_vccnz .LBB7_340
; %bb.321:
	v_cmp_lt_i16_e32 vcc_lo, 24, v6
	s_cbranch_vccz .LBB7_329
; %bb.322:
	v_cvt_f32_f64_e32 v2, v[0:1]
	v_mov_b32_e32 v7, 0x80
	s_mov_b32 s1, exec_lo
	s_delay_alu instid0(VALU_DEP_2) | instskip(NEXT) | instid1(VALU_DEP_1)
	v_and_b32_e32 v3, 0x7fffffff, v2
	v_cmpx_gt_u32_e32 0x47800000, v3
	s_cbranch_execz .LBB7_328
; %bb.323:
	v_cmp_lt_u32_e32 vcc_lo, 0x37ffffff, v3
	s_mov_b32 s20, 0
                                        ; implicit-def: $vgpr3
	s_and_saveexec_b32 s22, vcc_lo
	s_delay_alu instid0(SALU_CYCLE_1)
	s_xor_b32 s22, exec_lo, s22
	s_cbranch_execz .LBB7_531
; %bb.324:
	v_bfe_u32 v3, v2, 21, 1
	s_mov_b32 s20, exec_lo
	s_delay_alu instid0(VALU_DEP_1) | instskip(NEXT) | instid1(VALU_DEP_1)
	v_add3_u32 v3, v2, v3, 0x88fffff
	v_lshrrev_b32_e32 v3, 21, v3
	s_or_saveexec_b32 s22, s22
                                        ; implicit-def: $sgpr23
	s_delay_alu instid0(SALU_CYCLE_1)
	s_xor_b32 exec_lo, exec_lo, s22
	s_cbranch_execnz .LBB7_532
.LBB7_325:
	s_or_b32 exec_lo, exec_lo, s22
	v_mov_b32_e32 v7, s23
	s_and_saveexec_b32 s22, s20
.LBB7_326:
	v_lshrrev_b32_e32 v2, 24, v2
	s_delay_alu instid0(VALU_DEP_1)
	v_and_or_b32 v7, 0x80, v2, v3
.LBB7_327:
	s_or_b32 exec_lo, exec_lo, s22
.LBB7_328:
	s_delay_alu instid0(SALU_CYCLE_1)
	s_or_b32 exec_lo, exec_lo, s1
	s_mov_b32 s1, 0
	global_store_b8 v[4:5], v7, off
.LBB7_329:
	s_and_b32 vcc_lo, exec_lo, s1
	s_cbranch_vccz .LBB7_339
; %bb.330:
	v_cvt_f32_f64_e32 v2, v[0:1]
	s_mov_b32 s1, exec_lo
                                        ; implicit-def: $vgpr3
	s_delay_alu instid0(VALU_DEP_1) | instskip(NEXT) | instid1(VALU_DEP_1)
	v_and_b32_e32 v7, 0x7fffffff, v2
	v_cmpx_gt_u32_e32 0x43f00000, v7
	s_xor_b32 s1, exec_lo, s1
	s_cbranch_execz .LBB7_336
; %bb.331:
	s_mov_b32 s20, exec_lo
                                        ; implicit-def: $vgpr3
	v_cmpx_lt_u32_e32 0x3c7fffff, v7
	s_xor_b32 s20, exec_lo, s20
; %bb.332:
	v_bfe_u32 v3, v2, 20, 1
	s_delay_alu instid0(VALU_DEP_1) | instskip(NEXT) | instid1(VALU_DEP_1)
	v_add3_u32 v3, v2, v3, 0x407ffff
	v_and_b32_e32 v7, 0xff00000, v3
	v_lshrrev_b32_e32 v3, 20, v3
	s_delay_alu instid0(VALU_DEP_2) | instskip(NEXT) | instid1(VALU_DEP_2)
	v_cmp_ne_u32_e32 vcc_lo, 0x7f00000, v7
	v_cndmask_b32_e32 v3, 0x7e, v3, vcc_lo
; %bb.333:
	s_and_not1_saveexec_b32 s20, s20
; %bb.334:
	v_add_f32_e64 v3, 0x46800000, |v2|
; %bb.335:
	s_or_b32 exec_lo, exec_lo, s20
                                        ; implicit-def: $vgpr7
.LBB7_336:
	s_and_not1_saveexec_b32 s1, s1
; %bb.337:
	v_mov_b32_e32 v3, 0x7f
	v_cmp_lt_u32_e32 vcc_lo, 0x7f800000, v7
	s_delay_alu instid0(VALU_DEP_2)
	v_cndmask_b32_e32 v3, 0x7e, v3, vcc_lo
; %bb.338:
	s_or_b32 exec_lo, exec_lo, s1
	v_lshrrev_b32_e32 v2, 24, v2
	s_delay_alu instid0(VALU_DEP_1)
	v_and_or_b32 v2, 0x80, v2, v3
	global_store_b8 v[4:5], v2, off
.LBB7_339:
	s_mov_b32 s1, 0
.LBB7_340:
	s_delay_alu instid0(SALU_CYCLE_1)
	s_and_not1_b32 vcc_lo, exec_lo, s1
	s_cbranch_vccnz .LBB7_350
; %bb.341:
	v_cvt_f32_f64_e32 v2, v[0:1]
	s_mov_b32 s1, exec_lo
                                        ; implicit-def: $vgpr3
	s_delay_alu instid0(VALU_DEP_1) | instskip(NEXT) | instid1(VALU_DEP_1)
	v_and_b32_e32 v7, 0x7fffffff, v2
	v_cmpx_gt_u32_e32 0x47800000, v7
	s_xor_b32 s1, exec_lo, s1
	s_cbranch_execz .LBB7_347
; %bb.342:
	s_mov_b32 s20, exec_lo
                                        ; implicit-def: $vgpr3
	v_cmpx_lt_u32_e32 0x387fffff, v7
	s_xor_b32 s20, exec_lo, s20
; %bb.343:
	v_bfe_u32 v3, v2, 21, 1
	s_delay_alu instid0(VALU_DEP_1) | instskip(NEXT) | instid1(VALU_DEP_1)
	v_add3_u32 v3, v2, v3, 0x80fffff
	v_lshrrev_b32_e32 v3, 21, v3
; %bb.344:
	s_and_not1_saveexec_b32 s20, s20
; %bb.345:
	v_add_f32_e64 v3, 0x43000000, |v2|
; %bb.346:
	s_or_b32 exec_lo, exec_lo, s20
                                        ; implicit-def: $vgpr7
.LBB7_347:
	s_and_not1_saveexec_b32 s1, s1
; %bb.348:
	v_mov_b32_e32 v3, 0x7f
	v_cmp_lt_u32_e32 vcc_lo, 0x7f800000, v7
	s_delay_alu instid0(VALU_DEP_2)
	v_cndmask_b32_e32 v3, 0x7c, v3, vcc_lo
; %bb.349:
	s_or_b32 exec_lo, exec_lo, s1
	v_lshrrev_b32_e32 v2, 24, v2
	s_delay_alu instid0(VALU_DEP_1)
	v_and_or_b32 v2, 0x80, v2, v3
	global_store_b8 v[4:5], v2, off
.LBB7_350:
	s_mov_b32 s20, 0
	s_mov_b32 s1, -1
.LBB7_351:
	s_and_not1_b32 vcc_lo, exec_lo, s20
	s_cbranch_vccnz .LBB7_359
; %bb.352:
	v_cmp_lt_i16_e32 vcc_lo, 14, v6
	s_mov_b32 s20, -1
	s_cbranch_vccz .LBB7_356
; %bb.353:
	v_cmp_eq_u16_e32 vcc_lo, 15, v6
	s_mov_b32 s0, -1
	s_cbranch_vccz .LBB7_355
; %bb.354:
	v_cvt_f32_f64_e32 v2, v[0:1]
	s_mov_b32 s1, -1
	s_mov_b32 s0, 0
	s_delay_alu instid0(VALU_DEP_1) | instskip(SKIP_1) | instid1(VALU_DEP_2)
	v_bfe_u32 v3, v2, 16, 1
	v_cmp_o_f32_e32 vcc_lo, v2, v2
	v_add3_u32 v3, v2, v3, 0x7fff
	s_delay_alu instid0(VALU_DEP_1) | instskip(NEXT) | instid1(VALU_DEP_1)
	v_lshrrev_b32_e32 v3, 16, v3
	v_cndmask_b32_e32 v2, 0x7fc0, v3, vcc_lo
	global_store_b16 v[4:5], v2, off
.LBB7_355:
	s_mov_b32 s20, 0
.LBB7_356:
	s_delay_alu instid0(SALU_CYCLE_1)
	s_and_b32 vcc_lo, exec_lo, s20
	s_cbranch_vccz .LBB7_359
; %bb.357:
	v_cmp_eq_u16_e32 vcc_lo, 11, v6
	s_mov_b32 s0, -1
	s_cbranch_vccz .LBB7_359
; %bb.358:
	v_cmp_neq_f64_e32 vcc_lo, 0, v[0:1]
	s_mov_b32 s1, -1
	s_mov_b32 s0, 0
	v_cndmask_b32_e64 v2, 0, 1, vcc_lo
	global_store_b8 v[4:5], v2, off
.LBB7_359:
	s_mov_b32 s20, 0
.LBB7_360:
	s_delay_alu instid0(SALU_CYCLE_1)
	s_and_b32 vcc_lo, exec_lo, s20
	s_cbranch_vccz .LBB7_399
; %bb.361:
	v_cmp_gt_i16_e32 vcc_lo, 5, v6
	s_mov_b32 s1, -1
	s_cbranch_vccnz .LBB7_382
; %bb.362:
	v_cmp_gt_i16_e32 vcc_lo, 8, v6
	s_cbranch_vccnz .LBB7_372
; %bb.363:
	v_cmp_gt_i16_e32 vcc_lo, 9, v6
	s_cbranch_vccnz .LBB7_369
; %bb.364:
	v_cmp_lt_i16_e32 vcc_lo, 9, v6
	s_cbranch_vccz .LBB7_366
; %bb.365:
	v_mov_b32_e32 v2, 0
	s_mov_b32 s1, 0
	s_delay_alu instid0(VALU_DEP_1)
	v_mov_b32_e32 v3, v2
	global_store_b128 v[4:5], v[0:3], off
.LBB7_366:
	s_and_not1_b32 vcc_lo, exec_lo, s1
	s_cbranch_vccnz .LBB7_368
; %bb.367:
	v_cvt_f32_f64_e32 v2, v[0:1]
	v_mov_b32_e32 v3, 0
	global_store_b64 v[4:5], v[2:3], off
.LBB7_368:
	s_mov_b32 s1, 0
.LBB7_369:
	s_delay_alu instid0(SALU_CYCLE_1)
	s_and_not1_b32 vcc_lo, exec_lo, s1
	s_cbranch_vccnz .LBB7_371
; %bb.370:
	v_cvt_f32_f64_e32 v2, v[0:1]
	s_delay_alu instid0(VALU_DEP_1) | instskip(NEXT) | instid1(VALU_DEP_1)
	v_cvt_f16_f32_e32 v2, v2
	v_and_b32_e32 v2, 0xffff, v2
	global_store_b32 v[4:5], v2, off
.LBB7_371:
	s_mov_b32 s1, 0
.LBB7_372:
	s_delay_alu instid0(SALU_CYCLE_1)
	s_and_not1_b32 vcc_lo, exec_lo, s1
	s_cbranch_vccnz .LBB7_381
; %bb.373:
	v_cmp_gt_i16_e32 vcc_lo, 6, v6
	s_mov_b32 s1, -1
	s_cbranch_vccnz .LBB7_379
; %bb.374:
	v_cmp_lt_i16_e32 vcc_lo, 6, v6
	s_cbranch_vccz .LBB7_376
; %bb.375:
	s_mov_b32 s1, 0
	global_store_b64 v[4:5], v[0:1], off
.LBB7_376:
	s_and_not1_b32 vcc_lo, exec_lo, s1
	s_cbranch_vccnz .LBB7_378
; %bb.377:
	v_cvt_f32_f64_e32 v2, v[0:1]
	global_store_b32 v[4:5], v2, off
.LBB7_378:
	s_mov_b32 s1, 0
.LBB7_379:
	s_delay_alu instid0(SALU_CYCLE_1)
	s_and_not1_b32 vcc_lo, exec_lo, s1
	s_cbranch_vccnz .LBB7_381
; %bb.380:
	v_cvt_f32_f64_e32 v2, v[0:1]
	s_delay_alu instid0(VALU_DEP_1)
	v_cvt_f16_f32_e32 v2, v2
	global_store_b16 v[4:5], v2, off
.LBB7_381:
	s_mov_b32 s1, 0
.LBB7_382:
	s_delay_alu instid0(SALU_CYCLE_1)
	s_and_not1_b32 vcc_lo, exec_lo, s1
	s_cbranch_vccnz .LBB7_398
; %bb.383:
	v_cmp_gt_i16_e32 vcc_lo, 2, v6
	s_mov_b32 s1, -1
	s_cbranch_vccnz .LBB7_393
; %bb.384:
	v_cmp_gt_i16_e32 vcc_lo, 3, v6
	s_cbranch_vccnz .LBB7_390
; %bb.385:
	v_cmp_lt_i16_e32 vcc_lo, 3, v6
	s_cbranch_vccz .LBB7_387
; %bb.386:
	v_trunc_f64_e32 v[2:3], v[0:1]
	s_mov_b32 s1, 0
	s_delay_alu instid0(VALU_DEP_1) | instskip(NEXT) | instid1(VALU_DEP_1)
	v_ldexp_f64 v[7:8], v[2:3], 0xffffffe0
	v_floor_f64_e32 v[7:8], v[7:8]
	s_delay_alu instid0(VALU_DEP_1) | instskip(SKIP_1) | instid1(VALU_DEP_2)
	v_fma_f64 v[2:3], 0xc1f00000, v[7:8], v[2:3]
	v_cvt_i32_f64_e32 v8, v[7:8]
	v_cvt_u32_f64_e32 v7, v[2:3]
	global_store_b64 v[4:5], v[7:8], off
.LBB7_387:
	s_and_not1_b32 vcc_lo, exec_lo, s1
	s_cbranch_vccnz .LBB7_389
; %bb.388:
	v_cvt_i32_f64_e32 v2, v[0:1]
	global_store_b32 v[4:5], v2, off
.LBB7_389:
	s_mov_b32 s1, 0
.LBB7_390:
	s_delay_alu instid0(SALU_CYCLE_1)
	s_and_not1_b32 vcc_lo, exec_lo, s1
	s_cbranch_vccnz .LBB7_392
; %bb.391:
	v_cvt_i32_f64_e32 v2, v[0:1]
	global_store_b16 v[4:5], v2, off
.LBB7_392:
	s_mov_b32 s1, 0
.LBB7_393:
	s_delay_alu instid0(SALU_CYCLE_1)
	s_and_not1_b32 vcc_lo, exec_lo, s1
	s_cbranch_vccnz .LBB7_398
; %bb.394:
	v_cmp_lt_i16_e32 vcc_lo, 0, v6
	s_mov_b32 s1, -1
	s_cbranch_vccz .LBB7_396
; %bb.395:
	v_cvt_i32_f64_e32 v2, v[0:1]
	s_mov_b32 s1, 0
	global_store_b8 v[4:5], v2, off
.LBB7_396:
	s_and_not1_b32 vcc_lo, exec_lo, s1
	s_cbranch_vccnz .LBB7_398
; %bb.397:
	v_trunc_f64_e32 v[0:1], v[0:1]
	s_delay_alu instid0(VALU_DEP_1) | instskip(NEXT) | instid1(VALU_DEP_1)
	v_ldexp_f64 v[2:3], v[0:1], 0xffffffe0
	v_floor_f64_e32 v[2:3], v[2:3]
	s_delay_alu instid0(VALU_DEP_1) | instskip(NEXT) | instid1(VALU_DEP_1)
	v_fma_f64 v[0:1], 0xc1f00000, v[2:3], v[0:1]
	v_cvt_u32_f64_e32 v0, v[0:1]
	global_store_b8 v[4:5], v0, off
.LBB7_398:
	s_mov_b32 s1, -1
.LBB7_399:
	s_delay_alu instid0(SALU_CYCLE_1)
	s_and_not1_b32 vcc_lo, exec_lo, s1
	s_cbranch_vccnz .LBB7_401
; %bb.400:
	v_add_nc_u32_e32 v16, 0x80, v16
	s_mov_b32 s1, -1
	s_branch .LBB7_514
.LBB7_401:
	s_mov_b32 s1, 0
	s_branch .LBB7_513
.LBB7_402:
	s_mov_b32 s19, -1
                                        ; implicit-def: $vgpr2_vgpr3
.LBB7_403:
	s_mov_b32 s1, 0
.LBB7_404:
	s_delay_alu instid0(SALU_CYCLE_1)
	s_and_b32 vcc_lo, exec_lo, s1
	s_cbranch_vccz .LBB7_408
; %bb.405:
	v_cmp_eq_u16_e32 vcc_lo, 29, v17
	s_cbranch_vccz .LBB7_407
; %bb.406:
	global_load_b64 v[2:3], v[0:1], off
	s_mov_b32 s0, -1
	s_mov_b32 s19, 0
	s_mov_b32 s1, 0
	s_waitcnt vmcnt(0)
	v_cvt_f64_u32_e32 v[3:4], v3
	v_cvt_f64_u32_e32 v[5:6], v2
	s_delay_alu instid0(VALU_DEP_2) | instskip(NEXT) | instid1(VALU_DEP_1)
	v_ldexp_f64 v[3:4], v[3:4], 32
	v_add_f64 v[2:3], v[3:4], v[5:6]
	s_branch .LBB7_409
.LBB7_407:
	s_mov_b32 s19, -1
                                        ; implicit-def: $vgpr2_vgpr3
.LBB7_408:
	s_mov_b32 s1, 0
.LBB7_409:
	s_delay_alu instid0(SALU_CYCLE_1)
	s_and_b32 vcc_lo, exec_lo, s1
	s_cbranch_vccz .LBB7_429
; %bb.410:
	v_cmp_gt_i16_e32 vcc_lo, 27, v17
	s_cbranch_vccnz .LBB7_413
; %bb.411:
	v_cmp_lt_i16_e32 vcc_lo, 27, v17
	s_cbranch_vccz .LBB7_414
; %bb.412:
	global_load_b32 v2, v[0:1], off
	s_mov_b32 s0, 0
	s_waitcnt vmcnt(0)
	v_cvt_f64_u32_e32 v[2:3], v2
	s_branch .LBB7_415
.LBB7_413:
	s_mov_b32 s0, -1
                                        ; implicit-def: $vgpr2_vgpr3
	s_branch .LBB7_418
.LBB7_414:
	s_mov_b32 s0, -1
                                        ; implicit-def: $vgpr2_vgpr3
.LBB7_415:
	s_delay_alu instid0(SALU_CYCLE_1)
	s_and_not1_b32 vcc_lo, exec_lo, s0
	s_cbranch_vccnz .LBB7_417
; %bb.416:
	global_load_u16 v2, v[0:1], off
	s_waitcnt vmcnt(0)
	v_cvt_f64_u32_e32 v[2:3], v2
.LBB7_417:
	s_mov_b32 s0, 0
.LBB7_418:
	s_delay_alu instid0(SALU_CYCLE_1)
	s_and_not1_b32 vcc_lo, exec_lo, s0
	s_cbranch_vccnz .LBB7_428
; %bb.419:
	global_load_u8 v4, v[0:1], off
	s_mov_b32 s20, 0
	s_mov_b32 s22, exec_lo
                                        ; implicit-def: $sgpr0_sgpr1
	s_waitcnt vmcnt(0)
	v_cmpx_lt_i16_e32 0x7f, v4
	s_xor_b32 s22, exec_lo, s22
	s_cbranch_execz .LBB7_423
; %bb.420:
	s_mov_b32 s20, exec_lo
                                        ; implicit-def: $sgpr0_sgpr1
	v_cmpx_eq_u16_e32 0x80, v4
; %bb.421:
	s_mov_b32 s1, 0x7ff80000
	s_brev_b32 s0, 4
	s_xor_b32 s23, exec_lo, -1
; %bb.422:
	s_or_b32 exec_lo, exec_lo, s20
	s_delay_alu instid0(SALU_CYCLE_1)
	s_and_b32 s20, s23, exec_lo
.LBB7_423:
	s_or_saveexec_b32 s22, s22
	v_dual_mov_b32 v3, s1 :: v_dual_mov_b32 v2, s0
	s_xor_b32 exec_lo, exec_lo, s22
; %bb.424:
	v_cmp_ne_u16_e32 vcc_lo, 0, v4
	v_mov_b32_e32 v2, 0
	v_mov_b32_e32 v3, 0
	s_and_not1_b32 s0, s20, exec_lo
	s_and_b32 s1, vcc_lo, exec_lo
	s_delay_alu instid0(SALU_CYCLE_1)
	s_or_b32 s20, s0, s1
; %bb.425:
	s_or_b32 exec_lo, exec_lo, s22
	s_and_saveexec_b32 s0, s20
	s_cbranch_execz .LBB7_427
; %bb.426:
	v_and_b32_e32 v2, 0xffff, v4
	v_lshlrev_b32_e32 v4, 24, v4
	s_delay_alu instid0(VALU_DEP_2) | instskip(NEXT) | instid1(VALU_DEP_2)
	v_and_b32_e32 v3, 7, v2
	v_and_b32_e32 v4, 0x80000000, v4
	s_delay_alu instid0(VALU_DEP_2) | instskip(NEXT) | instid1(VALU_DEP_1)
	v_clz_i32_u32_e32 v5, v3
	v_min_u32_e32 v5, 32, v5
	s_delay_alu instid0(VALU_DEP_1) | instskip(SKIP_1) | instid1(VALU_DEP_2)
	v_subrev_nc_u32_e32 v6, 28, v5
	v_sub_nc_u32_e32 v5, 29, v5
	v_lshlrev_b32_e32 v6, v6, v2
	v_bfe_u32 v2, v2, 3, 4
	s_delay_alu instid0(VALU_DEP_2) | instskip(NEXT) | instid1(VALU_DEP_2)
	v_and_b32_e32 v6, 7, v6
	v_cmp_eq_u32_e32 vcc_lo, 0, v2
	s_delay_alu instid0(VALU_DEP_2) | instskip(NEXT) | instid1(VALU_DEP_1)
	v_dual_cndmask_b32 v2, v2, v5 :: v_dual_cndmask_b32 v3, v3, v6
	v_lshl_add_u32 v2, v2, 23, 0x3b800000
	s_delay_alu instid0(VALU_DEP_2) | instskip(NEXT) | instid1(VALU_DEP_1)
	v_lshlrev_b32_e32 v3, 20, v3
	v_or3_b32 v2, v4, v2, v3
	s_delay_alu instid0(VALU_DEP_1)
	v_cvt_f64_f32_e32 v[2:3], v2
.LBB7_427:
	s_or_b32 exec_lo, exec_lo, s0
.LBB7_428:
	s_mov_b32 s0, -1
.LBB7_429:
	s_mov_b32 s1, 0
.LBB7_430:
	s_delay_alu instid0(SALU_CYCLE_1)
	s_and_b32 vcc_lo, exec_lo, s1
	s_cbranch_vccz .LBB7_463
; %bb.431:
	v_cmp_lt_i16_e32 vcc_lo, 22, v17
	s_cbranch_vccz .LBB7_443
; %bb.432:
	v_cmp_gt_i16_e32 vcc_lo, 24, v17
	s_cbranch_vccnz .LBB7_444
; %bb.433:
	v_cmp_lt_i16_e32 vcc_lo, 24, v17
	s_cbranch_vccz .LBB7_445
; %bb.434:
	global_load_u8 v4, v[0:1], off
	s_mov_b32 s20, 0
	s_mov_b32 s22, exec_lo
                                        ; implicit-def: $sgpr0_sgpr1
	s_waitcnt vmcnt(0)
	v_cmpx_lt_i16_e32 0x7f, v4
	s_xor_b32 s22, exec_lo, s22
	s_cbranch_execz .LBB7_438
; %bb.435:
	s_mov_b32 s23, -1
	s_mov_b32 s20, exec_lo
                                        ; implicit-def: $sgpr0_sgpr1
	v_cmpx_eq_u16_e32 0x80, v4
; %bb.436:
	s_mov_b32 s1, 0x7ff80000
	s_brev_b32 s0, 4
	s_xor_b32 s23, exec_lo, -1
; %bb.437:
	s_or_b32 exec_lo, exec_lo, s20
	s_delay_alu instid0(SALU_CYCLE_1)
	s_and_b32 s20, s23, exec_lo
.LBB7_438:
	s_or_saveexec_b32 s22, s22
	v_dual_mov_b32 v3, s1 :: v_dual_mov_b32 v2, s0
	s_xor_b32 exec_lo, exec_lo, s22
; %bb.439:
	v_cmp_ne_u16_e32 vcc_lo, 0, v4
	v_mov_b32_e32 v2, 0
	v_mov_b32_e32 v3, 0
	s_and_not1_b32 s0, s20, exec_lo
	s_and_b32 s1, vcc_lo, exec_lo
	s_delay_alu instid0(SALU_CYCLE_1)
	s_or_b32 s20, s0, s1
; %bb.440:
	s_or_b32 exec_lo, exec_lo, s22
	s_and_saveexec_b32 s0, s20
	s_cbranch_execz .LBB7_442
; %bb.441:
	v_and_b32_e32 v2, 0xffff, v4
	v_lshlrev_b32_e32 v4, 24, v4
	s_delay_alu instid0(VALU_DEP_2) | instskip(NEXT) | instid1(VALU_DEP_2)
	v_and_b32_e32 v3, 3, v2
	v_and_b32_e32 v4, 0x80000000, v4
	s_delay_alu instid0(VALU_DEP_2) | instskip(NEXT) | instid1(VALU_DEP_1)
	v_clz_i32_u32_e32 v5, v3
	v_min_u32_e32 v5, 32, v5
	s_delay_alu instid0(VALU_DEP_1) | instskip(SKIP_1) | instid1(VALU_DEP_2)
	v_subrev_nc_u32_e32 v6, 29, v5
	v_sub_nc_u32_e32 v5, 30, v5
	v_lshlrev_b32_e32 v6, v6, v2
	v_bfe_u32 v2, v2, 2, 5
	s_delay_alu instid0(VALU_DEP_2) | instskip(NEXT) | instid1(VALU_DEP_2)
	v_and_b32_e32 v6, 3, v6
	v_cmp_eq_u32_e32 vcc_lo, 0, v2
	s_delay_alu instid0(VALU_DEP_2) | instskip(NEXT) | instid1(VALU_DEP_1)
	v_dual_cndmask_b32 v2, v2, v5 :: v_dual_cndmask_b32 v3, v3, v6
	v_lshl_add_u32 v2, v2, 23, 0x37800000
	s_delay_alu instid0(VALU_DEP_2) | instskip(NEXT) | instid1(VALU_DEP_1)
	v_lshlrev_b32_e32 v3, 21, v3
	v_or3_b32 v2, v4, v2, v3
	s_delay_alu instid0(VALU_DEP_1)
	v_cvt_f64_f32_e32 v[2:3], v2
.LBB7_442:
	s_or_b32 exec_lo, exec_lo, s0
	s_mov_b32 s0, 0
	s_branch .LBB7_446
.LBB7_443:
	s_mov_b32 s1, -1
                                        ; implicit-def: $vgpr2_vgpr3
	s_branch .LBB7_452
.LBB7_444:
	s_mov_b32 s0, -1
                                        ; implicit-def: $vgpr2_vgpr3
	s_branch .LBB7_449
.LBB7_445:
	s_mov_b32 s0, -1
                                        ; implicit-def: $vgpr2_vgpr3
.LBB7_446:
	s_delay_alu instid0(SALU_CYCLE_1)
	s_and_b32 vcc_lo, exec_lo, s0
	s_cbranch_vccz .LBB7_448
; %bb.447:
	global_load_u8 v2, v[0:1], off
	s_waitcnt vmcnt(0)
	v_lshlrev_b32_e32 v2, 24, v2
	s_delay_alu instid0(VALU_DEP_1) | instskip(NEXT) | instid1(VALU_DEP_1)
	v_and_b32_e32 v3, 0x7f000000, v2
	v_clz_i32_u32_e32 v4, v3
	v_add_nc_u32_e32 v6, 0x1000000, v3
	v_cmp_ne_u32_e32 vcc_lo, 0, v3
	s_delay_alu instid0(VALU_DEP_3) | instskip(NEXT) | instid1(VALU_DEP_1)
	v_min_u32_e32 v4, 32, v4
	v_sub_nc_u32_e64 v4, v4, 4 clamp
	s_delay_alu instid0(VALU_DEP_1) | instskip(SKIP_1) | instid1(VALU_DEP_2)
	v_lshlrev_b32_e32 v5, v4, v3
	v_lshlrev_b32_e32 v4, 23, v4
	v_lshrrev_b32_e32 v5, 4, v5
	s_delay_alu instid0(VALU_DEP_1) | instskip(SKIP_1) | instid1(VALU_DEP_2)
	v_sub_nc_u32_e32 v4, v5, v4
	v_ashrrev_i32_e32 v5, 8, v6
	v_add_nc_u32_e32 v4, 0x3c000000, v4
	s_delay_alu instid0(VALU_DEP_1) | instskip(NEXT) | instid1(VALU_DEP_1)
	v_and_or_b32 v4, 0x7f800000, v5, v4
	v_cndmask_b32_e32 v3, 0, v4, vcc_lo
	s_delay_alu instid0(VALU_DEP_1) | instskip(NEXT) | instid1(VALU_DEP_1)
	v_and_or_b32 v2, 0x80000000, v2, v3
	v_cvt_f64_f32_e32 v[2:3], v2
.LBB7_448:
	s_mov_b32 s0, 0
.LBB7_449:
	s_delay_alu instid0(SALU_CYCLE_1)
	s_and_not1_b32 vcc_lo, exec_lo, s0
	s_cbranch_vccnz .LBB7_451
; %bb.450:
	global_load_u8 v2, v[0:1], off
	s_waitcnt vmcnt(0)
	v_lshlrev_b32_e32 v3, 25, v2
	v_lshlrev_b16 v2, 8, v2
	s_delay_alu instid0(VALU_DEP_2) | instskip(NEXT) | instid1(VALU_DEP_2)
	v_lshrrev_b32_e32 v4, 4, v3
	v_and_or_b32 v5, 0x7f00, v2, 0.5
	v_bfe_i32 v2, v2, 0, 16
	s_delay_alu instid0(VALU_DEP_3) | instskip(NEXT) | instid1(VALU_DEP_1)
	v_or_b32_e32 v4, 0x70000000, v4
	v_dual_add_f32 v5, -0.5, v5 :: v_dual_mul_f32 v4, 0x7800000, v4
	v_cmp_gt_u32_e32 vcc_lo, 0x8000000, v3
	s_delay_alu instid0(VALU_DEP_2) | instskip(NEXT) | instid1(VALU_DEP_1)
	v_cndmask_b32_e32 v3, v4, v5, vcc_lo
	v_and_or_b32 v2, 0x80000000, v2, v3
	s_delay_alu instid0(VALU_DEP_1)
	v_cvt_f64_f32_e32 v[2:3], v2
.LBB7_451:
	s_mov_b32 s1, 0
	s_mov_b32 s0, -1
.LBB7_452:
	s_and_not1_b32 vcc_lo, exec_lo, s1
	s_cbranch_vccnz .LBB7_463
; %bb.453:
	v_cmp_lt_i16_e32 vcc_lo, 14, v17
	s_cbranch_vccz .LBB7_456
; %bb.454:
	v_cmp_eq_u16_e32 vcc_lo, 15, v17
	s_cbranch_vccz .LBB7_457
; %bb.455:
	global_load_u16 v2, v[0:1], off
	s_mov_b32 s0, -1
	s_mov_b32 s19, 0
	s_waitcnt vmcnt(0)
	v_lshlrev_b32_e32 v2, 16, v2
	s_delay_alu instid0(VALU_DEP_1)
	v_cvt_f64_f32_e32 v[2:3], v2
	s_branch .LBB7_458
.LBB7_456:
	s_mov_b32 s1, -1
                                        ; implicit-def: $vgpr2_vgpr3
	s_branch .LBB7_459
.LBB7_457:
	s_mov_b32 s19, -1
                                        ; implicit-def: $vgpr2_vgpr3
.LBB7_458:
	s_mov_b32 s1, 0
.LBB7_459:
	s_delay_alu instid0(SALU_CYCLE_1)
	s_and_b32 vcc_lo, exec_lo, s1
	s_cbranch_vccz .LBB7_463
; %bb.460:
	v_cmp_eq_u16_e32 vcc_lo, 11, v17
	s_cbranch_vccz .LBB7_462
; %bb.461:
	global_load_u8 v2, v[0:1], off
	s_mov_b32 s19, 0
	s_mov_b32 s0, -1
	s_waitcnt vmcnt(0)
	v_cmp_ne_u16_e32 vcc_lo, 0, v2
	v_mov_b32_e32 v2, 0
	v_cndmask_b32_e64 v3, 0, 0x3ff00000, vcc_lo
	s_branch .LBB7_463
.LBB7_462:
	s_mov_b32 s19, -1
                                        ; implicit-def: $vgpr2_vgpr3
.LBB7_463:
	s_branch .LBB7_263
.LBB7_464:
	v_cmp_gt_i16_e32 vcc_lo, 5, v17
	s_cbranch_vccnz .LBB7_469
; %bb.465:
	v_cmp_gt_i16_e32 vcc_lo, 8, v17
	s_cbranch_vccnz .LBB7_470
; %bb.466:
	;; [unrolled: 3-line block ×3, first 2 shown]
	v_cmp_lt_i16_e32 vcc_lo, 9, v17
	s_cbranch_vccz .LBB7_472
; %bb.468:
	global_load_b64 v[2:3], v[0:1], off
	s_mov_b32 s0, 0
	s_branch .LBB7_473
.LBB7_469:
	s_mov_b32 s0, -1
                                        ; implicit-def: $vgpr2_vgpr3
	s_branch .LBB7_491
.LBB7_470:
	s_mov_b32 s0, -1
                                        ; implicit-def: $vgpr2_vgpr3
	s_branch .LBB7_479
.LBB7_471:
	s_mov_b32 s0, -1
                                        ; implicit-def: $vgpr2_vgpr3
	s_branch .LBB7_476
.LBB7_472:
	s_mov_b32 s0, -1
                                        ; implicit-def: $vgpr2_vgpr3
.LBB7_473:
	s_delay_alu instid0(SALU_CYCLE_1)
	s_and_not1_b32 vcc_lo, exec_lo, s0
	s_cbranch_vccnz .LBB7_475
; %bb.474:
	global_load_b32 v2, v[0:1], off
	s_waitcnt vmcnt(0)
	v_cvt_f64_f32_e32 v[2:3], v2
.LBB7_475:
	s_mov_b32 s0, 0
.LBB7_476:
	s_delay_alu instid0(SALU_CYCLE_1)
	s_and_not1_b32 vcc_lo, exec_lo, s0
	s_cbranch_vccnz .LBB7_478
; %bb.477:
	global_load_b32 v2, v[0:1], off
	s_waitcnt vmcnt(0)
	v_cvt_f32_f16_e32 v2, v2
	s_delay_alu instid0(VALU_DEP_1)
	v_cvt_f64_f32_e32 v[2:3], v2
.LBB7_478:
	s_mov_b32 s0, 0
.LBB7_479:
	s_delay_alu instid0(SALU_CYCLE_1)
	s_and_not1_b32 vcc_lo, exec_lo, s0
	s_cbranch_vccnz .LBB7_490
; %bb.480:
	v_cmp_gt_i16_e32 vcc_lo, 6, v17
	s_cbranch_vccnz .LBB7_483
; %bb.481:
	v_cmp_lt_i16_e32 vcc_lo, 6, v17
	s_cbranch_vccz .LBB7_484
; %bb.482:
	global_load_b64 v[2:3], v[0:1], off
	s_mov_b32 s0, 0
	s_branch .LBB7_485
.LBB7_483:
	s_mov_b32 s0, -1
                                        ; implicit-def: $vgpr2_vgpr3
	s_branch .LBB7_488
.LBB7_484:
	s_mov_b32 s0, -1
                                        ; implicit-def: $vgpr2_vgpr3
.LBB7_485:
	s_delay_alu instid0(SALU_CYCLE_1)
	s_and_not1_b32 vcc_lo, exec_lo, s0
	s_cbranch_vccnz .LBB7_487
; %bb.486:
	global_load_b32 v2, v[0:1], off
	s_waitcnt vmcnt(0)
	v_cvt_f64_f32_e32 v[2:3], v2
.LBB7_487:
	s_mov_b32 s0, 0
.LBB7_488:
	s_delay_alu instid0(SALU_CYCLE_1)
	s_and_not1_b32 vcc_lo, exec_lo, s0
	s_cbranch_vccnz .LBB7_490
; %bb.489:
	global_load_u16 v2, v[0:1], off
	s_waitcnt vmcnt(0)
	v_cvt_f32_f16_e32 v2, v2
	s_delay_alu instid0(VALU_DEP_1)
	v_cvt_f64_f32_e32 v[2:3], v2
.LBB7_490:
	s_mov_b32 s0, 0
.LBB7_491:
	s_delay_alu instid0(SALU_CYCLE_1)
	s_and_not1_b32 vcc_lo, exec_lo, s0
	s_cbranch_vccnz .LBB7_511
; %bb.492:
	v_cmp_gt_i16_e32 vcc_lo, 2, v17
	s_cbranch_vccnz .LBB7_496
; %bb.493:
	v_cmp_gt_i16_e32 vcc_lo, 3, v17
	s_cbranch_vccnz .LBB7_497
; %bb.494:
	v_cmp_lt_i16_e32 vcc_lo, 3, v17
	s_cbranch_vccz .LBB7_498
; %bb.495:
	global_load_b64 v[2:3], v[0:1], off
	s_mov_b32 s0, 0
	s_waitcnt vmcnt(0)
	v_cvt_f64_i32_e32 v[3:4], v3
	v_cvt_f64_u32_e32 v[5:6], v2
	s_delay_alu instid0(VALU_DEP_2) | instskip(NEXT) | instid1(VALU_DEP_1)
	v_ldexp_f64 v[3:4], v[3:4], 32
	v_add_f64 v[2:3], v[3:4], v[5:6]
	s_branch .LBB7_499
.LBB7_496:
	s_mov_b32 s0, -1
                                        ; implicit-def: $vgpr2_vgpr3
	s_branch .LBB7_505
.LBB7_497:
	s_mov_b32 s0, -1
                                        ; implicit-def: $vgpr2_vgpr3
	s_branch .LBB7_502
.LBB7_498:
	s_mov_b32 s0, -1
                                        ; implicit-def: $vgpr2_vgpr3
.LBB7_499:
	s_delay_alu instid0(SALU_CYCLE_1)
	s_and_not1_b32 vcc_lo, exec_lo, s0
	s_cbranch_vccnz .LBB7_501
; %bb.500:
	global_load_b32 v2, v[0:1], off
	s_waitcnt vmcnt(0)
	v_cvt_f64_i32_e32 v[2:3], v2
.LBB7_501:
	s_mov_b32 s0, 0
.LBB7_502:
	s_delay_alu instid0(SALU_CYCLE_1)
	s_and_not1_b32 vcc_lo, exec_lo, s0
	s_cbranch_vccnz .LBB7_504
; %bb.503:
	global_load_i16 v2, v[0:1], off
	s_waitcnt vmcnt(0)
	v_cvt_f64_i32_e32 v[2:3], v2
.LBB7_504:
	s_mov_b32 s0, 0
.LBB7_505:
	s_delay_alu instid0(SALU_CYCLE_1)
	s_and_not1_b32 vcc_lo, exec_lo, s0
	s_cbranch_vccnz .LBB7_511
; %bb.506:
	v_cmp_lt_i16_e32 vcc_lo, 0, v17
	s_mov_b32 s0, 0
	s_cbranch_vccz .LBB7_508
; %bb.507:
	global_load_i8 v2, v[0:1], off
	s_waitcnt vmcnt(0)
	v_cvt_f64_i32_e32 v[2:3], v2
	s_branch .LBB7_509
.LBB7_508:
	s_mov_b32 s0, -1
                                        ; implicit-def: $vgpr2_vgpr3
.LBB7_509:
	s_delay_alu instid0(SALU_CYCLE_1)
	s_and_not1_b32 vcc_lo, exec_lo, s0
	s_cbranch_vccnz .LBB7_511
; %bb.510:
	global_load_u8 v0, v[0:1], off
	s_waitcnt vmcnt(0)
	v_cvt_f64_u32_e32 v[2:3], v0
.LBB7_511:
	s_branch .LBB7_264
.LBB7_512:
	s_mov_b32 s1, 0
	s_mov_b32 s0, s15
.LBB7_513:
                                        ; implicit-def: $vgpr16
.LBB7_514:
	s_and_not1_b32 s20, s15, exec_lo
	s_and_b32 s0, s0, exec_lo
	s_and_not1_b32 s22, s17, exec_lo
	s_and_b32 s19, s19, exec_lo
	s_or_b32 s20, s20, s0
	s_or_b32 s19, s22, s19
	s_or_not1_b32 s23, s1, exec_lo
.LBB7_515:
	s_or_b32 exec_lo, exec_lo, s21
	s_mov_b32 s1, 0
	s_mov_b32 s22, 0
	;; [unrolled: 1-line block ×3, first 2 shown]
                                        ; implicit-def: $vgpr0_vgpr1
                                        ; implicit-def: $vgpr2_vgpr3
	s_and_saveexec_b32 s21, s23
	s_cbranch_execz .LBB7_864
; %bb.516:
	s_mov_b32 s0, -1
	s_mov_b32 s23, s19
	s_mov_b32 s24, s20
	s_mov_b32 s22, exec_lo
	v_cmpx_gt_i32_e64 s16, v16
	s_cbranch_execz .LBB7_778
; %bb.517:
	v_mul_lo_u32 v0, v16, s3
	v_cmp_gt_i16_e32 vcc_lo, 11, v17
	s_delay_alu instid0(VALU_DEP_2) | instskip(SKIP_1) | instid1(VALU_DEP_1)
	v_ashrrev_i32_e32 v1, 31, v0
	v_add_co_u32 v0, s0, s6, v0
	v_add_co_ci_u32_e64 v1, s0, s7, v1, s0
	s_cbranch_vccnz .LBB7_524
; %bb.518:
	v_cmp_lt_i16_e32 vcc_lo, 25, v17
	s_cbranch_vccz .LBB7_525
; %bb.519:
	v_cmp_lt_i16_e32 vcc_lo, 28, v17
	s_cbranch_vccz .LBB7_526
	;; [unrolled: 3-line block ×4, first 2 shown]
; %bb.522:
	v_cmp_eq_u16_e32 vcc_lo, 46, v17
	s_cbranch_vccz .LBB7_533
; %bb.523:
	global_load_b32 v2, v[0:1], off
	s_mov_b32 s0, -1
	s_mov_b32 s23, 0
	s_waitcnt vmcnt(0)
	v_lshlrev_b32_e32 v2, 16, v2
	s_delay_alu instid0(VALU_DEP_1)
	v_cvt_f64_f32_e32 v[2:3], v2
	s_branch .LBB7_535
.LBB7_524:
	s_mov_b32 s1, -1
	s_mov_b32 s0, 0
	s_mov_b32 s23, s19
                                        ; implicit-def: $vgpr2_vgpr3
	s_branch .LBB7_600
.LBB7_525:
	s_mov_b32 s1, -1
	s_mov_b32 s0, 0
	s_mov_b32 s23, s19
                                        ; implicit-def: $vgpr2_vgpr3
	s_branch .LBB7_566
.LBB7_526:
	s_mov_b32 s1, -1
	s_mov_b32 s0, 0
	s_mov_b32 s23, s19
                                        ; implicit-def: $vgpr2_vgpr3
	s_branch .LBB7_545
.LBB7_527:
	s_mov_b32 s1, -1
	s_mov_b32 s0, 0
	s_mov_b32 s23, s19
                                        ; implicit-def: $vgpr2_vgpr3
	s_branch .LBB7_540
.LBB7_528:
	s_or_saveexec_b32 s22, s22
                                        ; implicit-def: $sgpr23
	s_delay_alu instid0(SALU_CYCLE_1)
	s_xor_b32 exec_lo, exec_lo, s22
	s_cbranch_execz .LBB7_312
.LBB7_529:
	v_add_f32_e64 v3, 0x46000000, |v2|
	s_and_not1_b32 s20, s20, exec_lo
	s_mov_b32 s23, 0
	s_delay_alu instid0(VALU_DEP_1) | instskip(NEXT) | instid1(VALU_DEP_1)
	v_and_b32_e32 v3, 0xff, v3
	v_cmp_ne_u32_e32 vcc_lo, 0, v3
	s_and_b32 s24, vcc_lo, exec_lo
	s_delay_alu instid0(SALU_CYCLE_1)
	s_or_b32 s20, s20, s24
	s_or_b32 exec_lo, exec_lo, s22
	v_mov_b32_e32 v7, s23
	s_and_saveexec_b32 s22, s20
	s_cbranch_execnz .LBB7_313
	s_branch .LBB7_314
.LBB7_530:
	s_mov_b32 s1, -1
	s_mov_b32 s0, 0
	s_mov_b32 s23, s19
	s_branch .LBB7_534
.LBB7_531:
	s_or_saveexec_b32 s22, s22
                                        ; implicit-def: $sgpr23
	s_delay_alu instid0(SALU_CYCLE_1)
	s_xor_b32 exec_lo, exec_lo, s22
	s_cbranch_execz .LBB7_325
.LBB7_532:
	v_add_f32_e64 v3, 0x42800000, |v2|
	s_and_not1_b32 s20, s20, exec_lo
	s_mov_b32 s23, 0
	s_delay_alu instid0(VALU_DEP_1) | instskip(NEXT) | instid1(VALU_DEP_1)
	v_and_b32_e32 v3, 0xff, v3
	v_cmp_ne_u32_e32 vcc_lo, 0, v3
	s_and_b32 s24, vcc_lo, exec_lo
	s_delay_alu instid0(SALU_CYCLE_1)
	s_or_b32 s20, s20, s24
	s_or_b32 exec_lo, exec_lo, s22
	v_mov_b32_e32 v7, s23
	s_and_saveexec_b32 s22, s20
	s_cbranch_execnz .LBB7_326
	s_branch .LBB7_327
.LBB7_533:
	s_mov_b32 s23, -1
	s_mov_b32 s0, 0
.LBB7_534:
                                        ; implicit-def: $vgpr2_vgpr3
.LBB7_535:
	s_and_b32 vcc_lo, exec_lo, s1
	s_cbranch_vccz .LBB7_539
; %bb.536:
	v_cmp_eq_u16_e32 vcc_lo, 44, v17
	s_cbranch_vccz .LBB7_538
; %bb.537:
	global_load_u8 v4, v[0:1], off
	s_mov_b32 s23, 0
	s_mov_b32 s0, -1
	s_waitcnt vmcnt(0)
	v_cmp_ne_u32_e32 vcc_lo, 0xff, v4
	v_lshlrev_b32_e32 v2, 23, v4
	s_delay_alu instid0(VALU_DEP_1) | instskip(NEXT) | instid1(VALU_DEP_1)
	v_cvt_f64_f32_e32 v[2:3], v2
	v_cndmask_b32_e32 v3, 0x7ff80000, v3, vcc_lo
	s_delay_alu instid0(VALU_DEP_2) | instskip(SKIP_1) | instid1(VALU_DEP_3)
	v_cndmask_b32_e32 v2, 0x20000000, v2, vcc_lo
	v_cmp_ne_u32_e32 vcc_lo, 0, v4
	v_cndmask_b32_e32 v3, 0x38000000, v3, vcc_lo
	s_delay_alu instid0(VALU_DEP_3)
	v_cndmask_b32_e32 v2, 0, v2, vcc_lo
	s_branch .LBB7_539
.LBB7_538:
	s_mov_b32 s23, -1
                                        ; implicit-def: $vgpr2_vgpr3
.LBB7_539:
	s_mov_b32 s1, 0
.LBB7_540:
	s_delay_alu instid0(SALU_CYCLE_1)
	s_and_b32 vcc_lo, exec_lo, s1
	s_cbranch_vccz .LBB7_544
; %bb.541:
	v_cmp_eq_u16_e32 vcc_lo, 29, v17
	s_cbranch_vccz .LBB7_543
; %bb.542:
	global_load_b64 v[2:3], v[0:1], off
	s_mov_b32 s0, -1
	s_mov_b32 s23, 0
	s_mov_b32 s1, 0
	s_waitcnt vmcnt(0)
	v_cvt_f64_u32_e32 v[3:4], v3
	v_cvt_f64_u32_e32 v[5:6], v2
	s_delay_alu instid0(VALU_DEP_2) | instskip(NEXT) | instid1(VALU_DEP_1)
	v_ldexp_f64 v[3:4], v[3:4], 32
	v_add_f64 v[2:3], v[3:4], v[5:6]
	s_branch .LBB7_545
.LBB7_543:
	s_mov_b32 s23, -1
                                        ; implicit-def: $vgpr2_vgpr3
.LBB7_544:
	s_mov_b32 s1, 0
.LBB7_545:
	s_delay_alu instid0(SALU_CYCLE_1)
	s_and_b32 vcc_lo, exec_lo, s1
	s_cbranch_vccz .LBB7_565
; %bb.546:
	v_cmp_gt_i16_e32 vcc_lo, 27, v17
	s_cbranch_vccnz .LBB7_549
; %bb.547:
	v_cmp_lt_i16_e32 vcc_lo, 27, v17
	s_cbranch_vccz .LBB7_550
; %bb.548:
	global_load_b32 v2, v[0:1], off
	s_mov_b32 s0, 0
	s_waitcnt vmcnt(0)
	v_cvt_f64_u32_e32 v[2:3], v2
	s_branch .LBB7_551
.LBB7_549:
	s_mov_b32 s0, -1
                                        ; implicit-def: $vgpr2_vgpr3
	s_branch .LBB7_554
.LBB7_550:
	s_mov_b32 s0, -1
                                        ; implicit-def: $vgpr2_vgpr3
.LBB7_551:
	s_delay_alu instid0(SALU_CYCLE_1)
	s_and_not1_b32 vcc_lo, exec_lo, s0
	s_cbranch_vccnz .LBB7_553
; %bb.552:
	global_load_u16 v2, v[0:1], off
	s_waitcnt vmcnt(0)
	v_cvt_f64_u32_e32 v[2:3], v2
.LBB7_553:
	s_mov_b32 s0, 0
.LBB7_554:
	s_delay_alu instid0(SALU_CYCLE_1)
	s_and_not1_b32 vcc_lo, exec_lo, s0
	s_cbranch_vccnz .LBB7_564
; %bb.555:
	global_load_u8 v4, v[0:1], off
	s_mov_b32 s24, 0
	s_mov_b32 s25, exec_lo
                                        ; implicit-def: $sgpr0_sgpr1
	s_waitcnt vmcnt(0)
	v_cmpx_lt_i16_e32 0x7f, v4
	s_xor_b32 s25, exec_lo, s25
	s_cbranch_execz .LBB7_559
; %bb.556:
	s_mov_b32 s26, -1
	s_mov_b32 s24, exec_lo
                                        ; implicit-def: $sgpr0_sgpr1
	v_cmpx_eq_u16_e32 0x80, v4
; %bb.557:
	s_mov_b32 s1, 0x7ff80000
	s_brev_b32 s0, 4
	s_xor_b32 s26, exec_lo, -1
; %bb.558:
	s_or_b32 exec_lo, exec_lo, s24
	s_delay_alu instid0(SALU_CYCLE_1)
	s_and_b32 s24, s26, exec_lo
.LBB7_559:
	s_or_saveexec_b32 s25, s25
	v_dual_mov_b32 v3, s1 :: v_dual_mov_b32 v2, s0
	s_xor_b32 exec_lo, exec_lo, s25
; %bb.560:
	v_cmp_ne_u16_e32 vcc_lo, 0, v4
	v_mov_b32_e32 v2, 0
	v_mov_b32_e32 v3, 0
	s_and_not1_b32 s0, s24, exec_lo
	s_and_b32 s1, vcc_lo, exec_lo
	s_delay_alu instid0(SALU_CYCLE_1)
	s_or_b32 s24, s0, s1
; %bb.561:
	s_or_b32 exec_lo, exec_lo, s25
	s_and_saveexec_b32 s0, s24
	s_cbranch_execz .LBB7_563
; %bb.562:
	v_and_b32_e32 v2, 0xffff, v4
	v_lshlrev_b32_e32 v4, 24, v4
	s_delay_alu instid0(VALU_DEP_2) | instskip(NEXT) | instid1(VALU_DEP_2)
	v_and_b32_e32 v3, 7, v2
	v_and_b32_e32 v4, 0x80000000, v4
	s_delay_alu instid0(VALU_DEP_2) | instskip(NEXT) | instid1(VALU_DEP_1)
	v_clz_i32_u32_e32 v5, v3
	v_min_u32_e32 v5, 32, v5
	s_delay_alu instid0(VALU_DEP_1) | instskip(SKIP_1) | instid1(VALU_DEP_2)
	v_subrev_nc_u32_e32 v6, 28, v5
	v_sub_nc_u32_e32 v5, 29, v5
	v_lshlrev_b32_e32 v6, v6, v2
	v_bfe_u32 v2, v2, 3, 4
	s_delay_alu instid0(VALU_DEP_2) | instskip(NEXT) | instid1(VALU_DEP_2)
	v_and_b32_e32 v6, 7, v6
	v_cmp_eq_u32_e32 vcc_lo, 0, v2
	s_delay_alu instid0(VALU_DEP_2) | instskip(NEXT) | instid1(VALU_DEP_1)
	v_dual_cndmask_b32 v2, v2, v5 :: v_dual_cndmask_b32 v3, v3, v6
	v_lshl_add_u32 v2, v2, 23, 0x3b800000
	s_delay_alu instid0(VALU_DEP_2) | instskip(NEXT) | instid1(VALU_DEP_1)
	v_lshlrev_b32_e32 v3, 20, v3
	v_or3_b32 v2, v4, v2, v3
	s_delay_alu instid0(VALU_DEP_1)
	v_cvt_f64_f32_e32 v[2:3], v2
.LBB7_563:
	s_or_b32 exec_lo, exec_lo, s0
.LBB7_564:
	s_mov_b32 s0, -1
.LBB7_565:
	s_mov_b32 s1, 0
.LBB7_566:
	s_delay_alu instid0(SALU_CYCLE_1)
	s_and_b32 vcc_lo, exec_lo, s1
	s_cbranch_vccz .LBB7_599
; %bb.567:
	v_cmp_lt_i16_e32 vcc_lo, 22, v17
	s_cbranch_vccz .LBB7_579
; %bb.568:
	v_cmp_gt_i16_e32 vcc_lo, 24, v17
	s_cbranch_vccnz .LBB7_580
; %bb.569:
	v_cmp_lt_i16_e32 vcc_lo, 24, v17
	s_cbranch_vccz .LBB7_581
; %bb.570:
	global_load_u8 v4, v[0:1], off
	s_mov_b32 s24, 0
	s_mov_b32 s25, exec_lo
                                        ; implicit-def: $sgpr0_sgpr1
	s_waitcnt vmcnt(0)
	v_cmpx_lt_i16_e32 0x7f, v4
	s_xor_b32 s25, exec_lo, s25
	s_cbranch_execz .LBB7_574
; %bb.571:
	s_mov_b32 s26, -1
	s_mov_b32 s24, exec_lo
                                        ; implicit-def: $sgpr0_sgpr1
	v_cmpx_eq_u16_e32 0x80, v4
; %bb.572:
	s_mov_b32 s1, 0x7ff80000
	s_brev_b32 s0, 4
	s_xor_b32 s26, exec_lo, -1
; %bb.573:
	s_or_b32 exec_lo, exec_lo, s24
	s_delay_alu instid0(SALU_CYCLE_1)
	s_and_b32 s24, s26, exec_lo
.LBB7_574:
	s_or_saveexec_b32 s25, s25
	v_dual_mov_b32 v3, s1 :: v_dual_mov_b32 v2, s0
	s_xor_b32 exec_lo, exec_lo, s25
; %bb.575:
	v_cmp_ne_u16_e32 vcc_lo, 0, v4
	v_mov_b32_e32 v2, 0
	v_mov_b32_e32 v3, 0
	s_and_not1_b32 s0, s24, exec_lo
	s_and_b32 s1, vcc_lo, exec_lo
	s_delay_alu instid0(SALU_CYCLE_1)
	s_or_b32 s24, s0, s1
; %bb.576:
	s_or_b32 exec_lo, exec_lo, s25
	s_and_saveexec_b32 s0, s24
	s_cbranch_execz .LBB7_578
; %bb.577:
	v_and_b32_e32 v2, 0xffff, v4
	v_lshlrev_b32_e32 v4, 24, v4
	s_delay_alu instid0(VALU_DEP_2) | instskip(NEXT) | instid1(VALU_DEP_2)
	v_and_b32_e32 v3, 3, v2
	v_and_b32_e32 v4, 0x80000000, v4
	s_delay_alu instid0(VALU_DEP_2) | instskip(NEXT) | instid1(VALU_DEP_1)
	v_clz_i32_u32_e32 v5, v3
	v_min_u32_e32 v5, 32, v5
	s_delay_alu instid0(VALU_DEP_1) | instskip(SKIP_1) | instid1(VALU_DEP_2)
	v_subrev_nc_u32_e32 v6, 29, v5
	v_sub_nc_u32_e32 v5, 30, v5
	v_lshlrev_b32_e32 v6, v6, v2
	v_bfe_u32 v2, v2, 2, 5
	s_delay_alu instid0(VALU_DEP_2) | instskip(NEXT) | instid1(VALU_DEP_2)
	v_and_b32_e32 v6, 3, v6
	v_cmp_eq_u32_e32 vcc_lo, 0, v2
	s_delay_alu instid0(VALU_DEP_2) | instskip(NEXT) | instid1(VALU_DEP_1)
	v_dual_cndmask_b32 v2, v2, v5 :: v_dual_cndmask_b32 v3, v3, v6
	v_lshl_add_u32 v2, v2, 23, 0x37800000
	s_delay_alu instid0(VALU_DEP_2) | instskip(NEXT) | instid1(VALU_DEP_1)
	v_lshlrev_b32_e32 v3, 21, v3
	v_or3_b32 v2, v4, v2, v3
	s_delay_alu instid0(VALU_DEP_1)
	v_cvt_f64_f32_e32 v[2:3], v2
.LBB7_578:
	s_or_b32 exec_lo, exec_lo, s0
	s_mov_b32 s0, 0
	s_branch .LBB7_582
.LBB7_579:
	s_mov_b32 s1, -1
                                        ; implicit-def: $vgpr2_vgpr3
	s_branch .LBB7_588
.LBB7_580:
	s_mov_b32 s0, -1
                                        ; implicit-def: $vgpr2_vgpr3
	s_branch .LBB7_585
.LBB7_581:
	s_mov_b32 s0, -1
                                        ; implicit-def: $vgpr2_vgpr3
.LBB7_582:
	s_delay_alu instid0(SALU_CYCLE_1)
	s_and_b32 vcc_lo, exec_lo, s0
	s_cbranch_vccz .LBB7_584
; %bb.583:
	global_load_u8 v2, v[0:1], off
	s_waitcnt vmcnt(0)
	v_lshlrev_b32_e32 v2, 24, v2
	s_delay_alu instid0(VALU_DEP_1) | instskip(NEXT) | instid1(VALU_DEP_1)
	v_and_b32_e32 v3, 0x7f000000, v2
	v_clz_i32_u32_e32 v4, v3
	v_add_nc_u32_e32 v6, 0x1000000, v3
	v_cmp_ne_u32_e32 vcc_lo, 0, v3
	s_delay_alu instid0(VALU_DEP_3) | instskip(NEXT) | instid1(VALU_DEP_1)
	v_min_u32_e32 v4, 32, v4
	v_sub_nc_u32_e64 v4, v4, 4 clamp
	s_delay_alu instid0(VALU_DEP_1) | instskip(SKIP_1) | instid1(VALU_DEP_2)
	v_lshlrev_b32_e32 v5, v4, v3
	v_lshlrev_b32_e32 v4, 23, v4
	v_lshrrev_b32_e32 v5, 4, v5
	s_delay_alu instid0(VALU_DEP_1) | instskip(SKIP_1) | instid1(VALU_DEP_2)
	v_sub_nc_u32_e32 v4, v5, v4
	v_ashrrev_i32_e32 v5, 8, v6
	v_add_nc_u32_e32 v4, 0x3c000000, v4
	s_delay_alu instid0(VALU_DEP_1) | instskip(NEXT) | instid1(VALU_DEP_1)
	v_and_or_b32 v4, 0x7f800000, v5, v4
	v_cndmask_b32_e32 v3, 0, v4, vcc_lo
	s_delay_alu instid0(VALU_DEP_1) | instskip(NEXT) | instid1(VALU_DEP_1)
	v_and_or_b32 v2, 0x80000000, v2, v3
	v_cvt_f64_f32_e32 v[2:3], v2
.LBB7_584:
	s_mov_b32 s0, 0
.LBB7_585:
	s_delay_alu instid0(SALU_CYCLE_1)
	s_and_not1_b32 vcc_lo, exec_lo, s0
	s_cbranch_vccnz .LBB7_587
; %bb.586:
	global_load_u8 v2, v[0:1], off
	s_waitcnt vmcnt(0)
	v_lshlrev_b32_e32 v3, 25, v2
	v_lshlrev_b16 v2, 8, v2
	s_delay_alu instid0(VALU_DEP_2) | instskip(NEXT) | instid1(VALU_DEP_2)
	v_lshrrev_b32_e32 v4, 4, v3
	v_and_or_b32 v5, 0x7f00, v2, 0.5
	v_bfe_i32 v2, v2, 0, 16
	s_delay_alu instid0(VALU_DEP_3) | instskip(NEXT) | instid1(VALU_DEP_1)
	v_or_b32_e32 v4, 0x70000000, v4
	v_dual_add_f32 v5, -0.5, v5 :: v_dual_mul_f32 v4, 0x7800000, v4
	v_cmp_gt_u32_e32 vcc_lo, 0x8000000, v3
	s_delay_alu instid0(VALU_DEP_2) | instskip(NEXT) | instid1(VALU_DEP_1)
	v_cndmask_b32_e32 v3, v4, v5, vcc_lo
	v_and_or_b32 v2, 0x80000000, v2, v3
	s_delay_alu instid0(VALU_DEP_1)
	v_cvt_f64_f32_e32 v[2:3], v2
.LBB7_587:
	s_mov_b32 s1, 0
	s_mov_b32 s0, -1
.LBB7_588:
	s_and_not1_b32 vcc_lo, exec_lo, s1
	s_cbranch_vccnz .LBB7_599
; %bb.589:
	v_cmp_lt_i16_e32 vcc_lo, 14, v17
	s_cbranch_vccz .LBB7_592
; %bb.590:
	v_cmp_eq_u16_e32 vcc_lo, 15, v17
	s_cbranch_vccz .LBB7_593
; %bb.591:
	global_load_u16 v2, v[0:1], off
	s_mov_b32 s0, -1
	s_mov_b32 s23, 0
	s_waitcnt vmcnt(0)
	v_lshlrev_b32_e32 v2, 16, v2
	s_delay_alu instid0(VALU_DEP_1)
	v_cvt_f64_f32_e32 v[2:3], v2
	s_branch .LBB7_594
.LBB7_592:
	s_mov_b32 s1, -1
                                        ; implicit-def: $vgpr2_vgpr3
	s_branch .LBB7_595
.LBB7_593:
	s_mov_b32 s23, -1
                                        ; implicit-def: $vgpr2_vgpr3
.LBB7_594:
	s_mov_b32 s1, 0
.LBB7_595:
	s_delay_alu instid0(SALU_CYCLE_1)
	s_and_b32 vcc_lo, exec_lo, s1
	s_cbranch_vccz .LBB7_599
; %bb.596:
	v_cmp_eq_u16_e32 vcc_lo, 11, v17
	s_cbranch_vccz .LBB7_598
; %bb.597:
	global_load_u8 v2, v[0:1], off
	s_mov_b32 s23, 0
	s_mov_b32 s0, -1
	s_waitcnt vmcnt(0)
	v_cmp_ne_u16_e32 vcc_lo, 0, v2
	v_mov_b32_e32 v2, 0
	v_cndmask_b32_e64 v3, 0, 0x3ff00000, vcc_lo
	s_branch .LBB7_599
.LBB7_598:
	s_mov_b32 s23, -1
                                        ; implicit-def: $vgpr2_vgpr3
.LBB7_599:
	s_mov_b32 s1, 0
.LBB7_600:
	s_delay_alu instid0(SALU_CYCLE_1)
	s_and_b32 vcc_lo, exec_lo, s1
	s_cbranch_vccz .LBB7_649
; %bb.601:
	v_cmp_gt_i16_e32 vcc_lo, 5, v17
	s_cbranch_vccnz .LBB7_606
; %bb.602:
	v_cmp_gt_i16_e32 vcc_lo, 8, v17
	s_cbranch_vccnz .LBB7_607
	;; [unrolled: 3-line block ×3, first 2 shown]
; %bb.604:
	v_cmp_lt_i16_e32 vcc_lo, 9, v17
	s_cbranch_vccz .LBB7_609
; %bb.605:
	global_load_b64 v[2:3], v[0:1], off
	s_mov_b32 s0, 0
	s_branch .LBB7_610
.LBB7_606:
	s_mov_b32 s0, -1
                                        ; implicit-def: $vgpr2_vgpr3
	s_branch .LBB7_628
.LBB7_607:
	s_mov_b32 s0, -1
                                        ; implicit-def: $vgpr2_vgpr3
	s_branch .LBB7_616
.LBB7_608:
	s_mov_b32 s0, -1
                                        ; implicit-def: $vgpr2_vgpr3
	s_branch .LBB7_613
.LBB7_609:
	s_mov_b32 s0, -1
                                        ; implicit-def: $vgpr2_vgpr3
.LBB7_610:
	s_delay_alu instid0(SALU_CYCLE_1)
	s_and_not1_b32 vcc_lo, exec_lo, s0
	s_cbranch_vccnz .LBB7_612
; %bb.611:
	global_load_b32 v2, v[0:1], off
	s_waitcnt vmcnt(0)
	v_cvt_f64_f32_e32 v[2:3], v2
.LBB7_612:
	s_mov_b32 s0, 0
.LBB7_613:
	s_delay_alu instid0(SALU_CYCLE_1)
	s_and_not1_b32 vcc_lo, exec_lo, s0
	s_cbranch_vccnz .LBB7_615
; %bb.614:
	global_load_b32 v2, v[0:1], off
	s_waitcnt vmcnt(0)
	v_cvt_f32_f16_e32 v2, v2
	s_delay_alu instid0(VALU_DEP_1)
	v_cvt_f64_f32_e32 v[2:3], v2
.LBB7_615:
	s_mov_b32 s0, 0
.LBB7_616:
	s_delay_alu instid0(SALU_CYCLE_1)
	s_and_not1_b32 vcc_lo, exec_lo, s0
	s_cbranch_vccnz .LBB7_627
; %bb.617:
	v_cmp_gt_i16_e32 vcc_lo, 6, v17
	s_cbranch_vccnz .LBB7_620
; %bb.618:
	v_cmp_lt_i16_e32 vcc_lo, 6, v17
	s_cbranch_vccz .LBB7_621
; %bb.619:
	global_load_b64 v[2:3], v[0:1], off
	s_mov_b32 s0, 0
	s_branch .LBB7_622
.LBB7_620:
	s_mov_b32 s0, -1
                                        ; implicit-def: $vgpr2_vgpr3
	s_branch .LBB7_625
.LBB7_621:
	s_mov_b32 s0, -1
                                        ; implicit-def: $vgpr2_vgpr3
.LBB7_622:
	s_delay_alu instid0(SALU_CYCLE_1)
	s_and_not1_b32 vcc_lo, exec_lo, s0
	s_cbranch_vccnz .LBB7_624
; %bb.623:
	global_load_b32 v2, v[0:1], off
	s_waitcnt vmcnt(0)
	v_cvt_f64_f32_e32 v[2:3], v2
.LBB7_624:
	s_mov_b32 s0, 0
.LBB7_625:
	s_delay_alu instid0(SALU_CYCLE_1)
	s_and_not1_b32 vcc_lo, exec_lo, s0
	s_cbranch_vccnz .LBB7_627
; %bb.626:
	global_load_u16 v2, v[0:1], off
	s_waitcnt vmcnt(0)
	v_cvt_f32_f16_e32 v2, v2
	s_delay_alu instid0(VALU_DEP_1)
	v_cvt_f64_f32_e32 v[2:3], v2
.LBB7_627:
	s_mov_b32 s0, 0
.LBB7_628:
	s_delay_alu instid0(SALU_CYCLE_1)
	s_and_not1_b32 vcc_lo, exec_lo, s0
	s_cbranch_vccnz .LBB7_648
; %bb.629:
	v_cmp_gt_i16_e32 vcc_lo, 2, v17
	s_cbranch_vccnz .LBB7_633
; %bb.630:
	v_cmp_gt_i16_e32 vcc_lo, 3, v17
	s_cbranch_vccnz .LBB7_634
; %bb.631:
	v_cmp_lt_i16_e32 vcc_lo, 3, v17
	s_cbranch_vccz .LBB7_635
; %bb.632:
	global_load_b64 v[2:3], v[0:1], off
	s_mov_b32 s0, 0
	s_waitcnt vmcnt(0)
	v_cvt_f64_i32_e32 v[3:4], v3
	v_cvt_f64_u32_e32 v[5:6], v2
	s_delay_alu instid0(VALU_DEP_2) | instskip(NEXT) | instid1(VALU_DEP_1)
	v_ldexp_f64 v[3:4], v[3:4], 32
	v_add_f64 v[2:3], v[3:4], v[5:6]
	s_branch .LBB7_636
.LBB7_633:
	s_mov_b32 s0, -1
                                        ; implicit-def: $vgpr2_vgpr3
	s_branch .LBB7_642
.LBB7_634:
	s_mov_b32 s0, -1
                                        ; implicit-def: $vgpr2_vgpr3
	s_branch .LBB7_639
.LBB7_635:
	s_mov_b32 s0, -1
                                        ; implicit-def: $vgpr2_vgpr3
.LBB7_636:
	s_delay_alu instid0(SALU_CYCLE_1)
	s_and_not1_b32 vcc_lo, exec_lo, s0
	s_cbranch_vccnz .LBB7_638
; %bb.637:
	global_load_b32 v2, v[0:1], off
	s_waitcnt vmcnt(0)
	v_cvt_f64_i32_e32 v[2:3], v2
.LBB7_638:
	s_mov_b32 s0, 0
.LBB7_639:
	s_delay_alu instid0(SALU_CYCLE_1)
	s_and_not1_b32 vcc_lo, exec_lo, s0
	s_cbranch_vccnz .LBB7_641
; %bb.640:
	global_load_i16 v2, v[0:1], off
	s_waitcnt vmcnt(0)
	v_cvt_f64_i32_e32 v[2:3], v2
.LBB7_641:
	s_mov_b32 s0, 0
.LBB7_642:
	s_delay_alu instid0(SALU_CYCLE_1)
	s_and_not1_b32 vcc_lo, exec_lo, s0
	s_cbranch_vccnz .LBB7_648
; %bb.643:
	v_cmp_lt_i16_e32 vcc_lo, 0, v17
	s_mov_b32 s0, 0
	s_cbranch_vccz .LBB7_645
; %bb.644:
	global_load_i8 v2, v[0:1], off
	s_waitcnt vmcnt(0)
	v_cvt_f64_i32_e32 v[2:3], v2
	s_branch .LBB7_646
.LBB7_645:
	s_mov_b32 s0, -1
                                        ; implicit-def: $vgpr2_vgpr3
.LBB7_646:
	s_delay_alu instid0(SALU_CYCLE_1)
	s_and_not1_b32 vcc_lo, exec_lo, s0
	s_cbranch_vccnz .LBB7_648
; %bb.647:
	global_load_u8 v0, v[0:1], off
	s_waitcnt vmcnt(0)
	v_cvt_f64_u32_e32 v[2:3], v0
.LBB7_648:
	s_mov_b32 s0, -1
.LBB7_649:
	s_delay_alu instid0(SALU_CYCLE_1)
	s_and_not1_b32 vcc_lo, exec_lo, s0
	s_cbranch_vccnz .LBB7_659
; %bb.650:
	s_waitcnt vmcnt(0)
	s_delay_alu instid0(VALU_DEP_1) | instskip(SKIP_1) | instid1(VALU_DEP_1)
	v_cvt_f32_f64_e32 v0, v[2:3]
	s_mov_b32 s0, exec_lo
	v_cmpx_nlg_f32_e64 0x7f800000, |v0|
	s_cbranch_execz .LBB7_652
; %bb.651:
	v_dual_mov_b32 v0, 0 :: v_dual_mov_b32 v1, 1.0
	global_store_b32 v0, v1, s[8:9]
.LBB7_652:
	s_or_b32 exec_lo, exec_lo, s0
	v_mov_b32_e32 v0, 0
	v_mul_lo_u32 v5, v16, s2
	v_and_b32_e64 v6, 0xff, s12
	global_load_b32 v4, v0, s[10:11]
	v_cmp_gt_i16_e32 vcc_lo, 11, v6
	v_ashrrev_i32_e32 v7, 31, v5
	s_and_b32 vcc_lo, exec_lo, vcc_lo
	s_waitcnt vmcnt(0)
	v_cvt_f64_f32_e32 v[0:1], v4
	v_cmp_eq_f32_e64 s0, 1.0, v4
	v_add_co_u32 v4, s1, s4, v5
	s_delay_alu instid0(VALU_DEP_1) | instskip(NEXT) | instid1(VALU_DEP_4)
	v_add_co_ci_u32_e64 v5, s1, s5, v7, s1
	v_mul_f64 v[0:1], v[2:3], v[0:1]
	s_delay_alu instid0(VALU_DEP_1) | instskip(NEXT) | instid1(VALU_DEP_2)
	v_cndmask_b32_e64 v1, v1, v3, s0
	v_cndmask_b32_e64 v0, v0, v2, s0
	s_cbranch_vccnz .LBB7_660
; %bb.653:
	v_cmp_lt_i16_e32 vcc_lo, 25, v6
	s_cbranch_vccz .LBB7_661
; %bb.654:
	v_cmp_lt_i16_e32 vcc_lo, 28, v6
	s_cbranch_vccz .LBB7_662
	;; [unrolled: 3-line block ×4, first 2 shown]
; %bb.657:
	v_cmp_eq_u16_e32 vcc_lo, 46, v6
	s_mov_b32 s24, 0
	s_mov_b32 s0, -1
	s_mov_b32 s1, 0
	s_cbranch_vccz .LBB7_665
; %bb.658:
	v_cvt_f32_f64_e32 v2, v[0:1]
	s_mov_b32 s1, -1
	s_mov_b32 s0, 0
	s_delay_alu instid0(VALU_DEP_1) | instskip(SKIP_1) | instid1(VALU_DEP_2)
	v_bfe_u32 v3, v2, 16, 1
	v_cmp_o_f32_e32 vcc_lo, v2, v2
	v_add3_u32 v3, v2, v3, 0x7fff
	s_delay_alu instid0(VALU_DEP_1) | instskip(NEXT) | instid1(VALU_DEP_1)
	v_lshrrev_b32_e32 v3, 16, v3
	v_cndmask_b32_e32 v2, 0x7fc0, v3, vcc_lo
	global_store_b32 v[4:5], v2, off
	s_branch .LBB7_665
.LBB7_659:
	s_mov_b32 s1, 0
	s_mov_b32 s0, s20
	s_branch .LBB7_776
.LBB7_660:
	s_mov_b32 s24, -1
	s_mov_b32 s1, 0
	s_mov_b32 s0, s20
	s_branch .LBB7_734
.LBB7_661:
	s_mov_b32 s24, -1
	s_mov_b32 s1, 0
	s_mov_b32 s0, s20
	s_branch .LBB7_692
.LBB7_662:
	s_mov_b32 s24, -1
	s_mov_b32 s1, 0
	s_mov_b32 s0, s20
	s_branch .LBB7_675
.LBB7_663:
	s_mov_b32 s24, -1
	s_mov_b32 s1, 0
	s_mov_b32 s0, s20
	s_branch .LBB7_671
.LBB7_664:
	s_mov_b32 s24, -1
	s_mov_b32 s1, 0
	s_mov_b32 s0, s20
.LBB7_665:
	s_and_b32 vcc_lo, exec_lo, s24
	s_cbranch_vccz .LBB7_670
; %bb.666:
	v_cmp_eq_u16_e32 vcc_lo, 44, v6
	s_mov_b32 s0, -1
	s_cbranch_vccz .LBB7_670
; %bb.667:
	v_cvt_f32_f64_e32 v2, v[0:1]
	v_mov_b32_e32 v3, 0xff
	s_mov_b32 s1, exec_lo
	s_delay_alu instid0(VALU_DEP_2) | instskip(NEXT) | instid1(VALU_DEP_1)
	v_bfe_u32 v7, v2, 23, 8
	v_cmpx_ne_u32_e32 0xff, v7
; %bb.668:
	v_and_b32_e32 v3, 0x400000, v2
	v_and_or_b32 v7, 0x3fffff, v2, v7
	v_lshrrev_b32_e32 v2, 23, v2
	s_delay_alu instid0(VALU_DEP_3) | instskip(NEXT) | instid1(VALU_DEP_3)
	v_cmp_ne_u32_e32 vcc_lo, 0, v3
	v_cmp_ne_u32_e64 s0, 0, v7
	s_delay_alu instid0(VALU_DEP_1) | instskip(NEXT) | instid1(SALU_CYCLE_1)
	s_and_b32 s0, vcc_lo, s0
	v_cndmask_b32_e64 v3, 0, 1, s0
	s_delay_alu instid0(VALU_DEP_1)
	v_add_nc_u32_e32 v3, v2, v3
; %bb.669:
	s_or_b32 exec_lo, exec_lo, s1
	s_mov_b32 s1, -1
	s_mov_b32 s0, 0
	global_store_b8 v[4:5], v3, off
.LBB7_670:
	s_mov_b32 s24, 0
.LBB7_671:
	s_delay_alu instid0(SALU_CYCLE_1)
	s_and_b32 vcc_lo, exec_lo, s24
	s_cbranch_vccz .LBB7_674
; %bb.672:
	v_cmp_eq_u16_e32 vcc_lo, 29, v6
	s_mov_b32 s0, -1
	s_cbranch_vccz .LBB7_674
; %bb.673:
	v_trunc_f64_e32 v[2:3], v[0:1]
	s_mov_b32 s1, -1
	s_mov_b32 s0, 0
	s_mov_b32 s24, 0
	s_delay_alu instid0(VALU_DEP_1) | instskip(NEXT) | instid1(VALU_DEP_1)
	v_ldexp_f64 v[7:8], v[2:3], 0xffffffe0
	v_floor_f64_e32 v[7:8], v[7:8]
	s_delay_alu instid0(VALU_DEP_1) | instskip(SKIP_1) | instid1(VALU_DEP_2)
	v_fma_f64 v[2:3], 0xc1f00000, v[7:8], v[2:3]
	v_cvt_u32_f64_e32 v8, v[7:8]
	v_cvt_u32_f64_e32 v7, v[2:3]
	global_store_b64 v[4:5], v[7:8], off
	s_branch .LBB7_675
.LBB7_674:
	s_mov_b32 s24, 0
.LBB7_675:
	s_delay_alu instid0(SALU_CYCLE_1)
	s_and_b32 vcc_lo, exec_lo, s24
	s_cbranch_vccz .LBB7_691
; %bb.676:
	v_cmp_gt_i16_e32 vcc_lo, 27, v6
	s_mov_b32 s1, -1
	s_cbranch_vccnz .LBB7_682
; %bb.677:
	v_cmp_lt_i16_e32 vcc_lo, 27, v6
	s_cbranch_vccz .LBB7_679
; %bb.678:
	v_cvt_u32_f64_e32 v2, v[0:1]
	s_mov_b32 s1, 0
	global_store_b32 v[4:5], v2, off
.LBB7_679:
	s_and_not1_b32 vcc_lo, exec_lo, s1
	s_cbranch_vccnz .LBB7_681
; %bb.680:
	v_cvt_u32_f64_e32 v2, v[0:1]
	global_store_b16 v[4:5], v2, off
.LBB7_681:
	s_mov_b32 s1, 0
.LBB7_682:
	s_delay_alu instid0(SALU_CYCLE_1)
	s_and_not1_b32 vcc_lo, exec_lo, s1
	s_cbranch_vccnz .LBB7_690
; %bb.683:
	v_cvt_f32_f64_e32 v2, v[0:1]
	v_mov_b32_e32 v7, 0x80
	s_mov_b32 s1, exec_lo
	s_delay_alu instid0(VALU_DEP_2) | instskip(NEXT) | instid1(VALU_DEP_1)
	v_and_b32_e32 v3, 0x7fffffff, v2
	v_cmpx_gt_u32_e32 0x43800000, v3
	s_cbranch_execz .LBB7_689
; %bb.684:
	v_cmp_lt_u32_e32 vcc_lo, 0x3bffffff, v3
	s_mov_b32 s24, 0
                                        ; implicit-def: $vgpr3
	s_and_saveexec_b32 s25, vcc_lo
	s_delay_alu instid0(SALU_CYCLE_1)
	s_xor_b32 s25, exec_lo, s25
	s_cbranch_execz .LBB7_791
; %bb.685:
	v_bfe_u32 v3, v2, 20, 1
	s_mov_b32 s24, exec_lo
	s_delay_alu instid0(VALU_DEP_1) | instskip(NEXT) | instid1(VALU_DEP_1)
	v_add3_u32 v3, v2, v3, 0x487ffff
	v_lshrrev_b32_e32 v3, 20, v3
	s_or_saveexec_b32 s25, s25
                                        ; implicit-def: $sgpr26
	s_delay_alu instid0(SALU_CYCLE_1)
	s_xor_b32 exec_lo, exec_lo, s25
	s_cbranch_execnz .LBB7_792
.LBB7_686:
	s_or_b32 exec_lo, exec_lo, s25
	v_mov_b32_e32 v7, s26
	s_and_saveexec_b32 s25, s24
.LBB7_687:
	v_lshrrev_b32_e32 v2, 24, v2
	s_delay_alu instid0(VALU_DEP_1)
	v_and_or_b32 v7, 0x80, v2, v3
.LBB7_688:
	s_or_b32 exec_lo, exec_lo, s25
.LBB7_689:
	s_delay_alu instid0(SALU_CYCLE_1)
	s_or_b32 exec_lo, exec_lo, s1
	global_store_b8 v[4:5], v7, off
.LBB7_690:
	s_mov_b32 s1, -1
.LBB7_691:
	s_mov_b32 s24, 0
.LBB7_692:
	s_delay_alu instid0(SALU_CYCLE_1)
	s_and_b32 vcc_lo, exec_lo, s24
	s_cbranch_vccz .LBB7_733
; %bb.693:
	v_cmp_lt_i16_e32 vcc_lo, 22, v6
	s_mov_b32 s24, -1
	s_cbranch_vccz .LBB7_725
; %bb.694:
	v_cmp_gt_i16_e32 vcc_lo, 24, v6
	s_mov_b32 s1, -1
	s_cbranch_vccnz .LBB7_714
; %bb.695:
	v_cmp_lt_i16_e32 vcc_lo, 24, v6
	s_cbranch_vccz .LBB7_703
; %bb.696:
	v_cvt_f32_f64_e32 v2, v[0:1]
	v_mov_b32_e32 v7, 0x80
	s_mov_b32 s1, exec_lo
	s_delay_alu instid0(VALU_DEP_2) | instskip(NEXT) | instid1(VALU_DEP_1)
	v_and_b32_e32 v3, 0x7fffffff, v2
	v_cmpx_gt_u32_e32 0x47800000, v3
	s_cbranch_execz .LBB7_702
; %bb.697:
	v_cmp_lt_u32_e32 vcc_lo, 0x37ffffff, v3
	s_mov_b32 s24, 0
                                        ; implicit-def: $vgpr3
	s_and_saveexec_b32 s25, vcc_lo
	s_delay_alu instid0(SALU_CYCLE_1)
	s_xor_b32 s25, exec_lo, s25
	s_cbranch_execz .LBB7_794
; %bb.698:
	v_bfe_u32 v3, v2, 21, 1
	s_mov_b32 s24, exec_lo
	s_delay_alu instid0(VALU_DEP_1) | instskip(NEXT) | instid1(VALU_DEP_1)
	v_add3_u32 v3, v2, v3, 0x88fffff
	v_lshrrev_b32_e32 v3, 21, v3
	s_or_saveexec_b32 s25, s25
                                        ; implicit-def: $sgpr26
	s_delay_alu instid0(SALU_CYCLE_1)
	s_xor_b32 exec_lo, exec_lo, s25
	s_cbranch_execnz .LBB7_795
.LBB7_699:
	s_or_b32 exec_lo, exec_lo, s25
	v_mov_b32_e32 v7, s26
	s_and_saveexec_b32 s25, s24
.LBB7_700:
	v_lshrrev_b32_e32 v2, 24, v2
	s_delay_alu instid0(VALU_DEP_1)
	v_and_or_b32 v7, 0x80, v2, v3
.LBB7_701:
	s_or_b32 exec_lo, exec_lo, s25
.LBB7_702:
	s_delay_alu instid0(SALU_CYCLE_1)
	s_or_b32 exec_lo, exec_lo, s1
	s_mov_b32 s1, 0
	global_store_b8 v[4:5], v7, off
.LBB7_703:
	s_and_b32 vcc_lo, exec_lo, s1
	s_cbranch_vccz .LBB7_713
; %bb.704:
	v_cvt_f32_f64_e32 v2, v[0:1]
	s_mov_b32 s1, exec_lo
                                        ; implicit-def: $vgpr3
	s_delay_alu instid0(VALU_DEP_1) | instskip(NEXT) | instid1(VALU_DEP_1)
	v_and_b32_e32 v7, 0x7fffffff, v2
	v_cmpx_gt_u32_e32 0x43f00000, v7
	s_xor_b32 s1, exec_lo, s1
	s_cbranch_execz .LBB7_710
; %bb.705:
	s_mov_b32 s24, exec_lo
                                        ; implicit-def: $vgpr3
	v_cmpx_lt_u32_e32 0x3c7fffff, v7
	s_xor_b32 s24, exec_lo, s24
; %bb.706:
	v_bfe_u32 v3, v2, 20, 1
	s_delay_alu instid0(VALU_DEP_1) | instskip(NEXT) | instid1(VALU_DEP_1)
	v_add3_u32 v3, v2, v3, 0x407ffff
	v_and_b32_e32 v7, 0xff00000, v3
	v_lshrrev_b32_e32 v3, 20, v3
	s_delay_alu instid0(VALU_DEP_2) | instskip(NEXT) | instid1(VALU_DEP_2)
	v_cmp_ne_u32_e32 vcc_lo, 0x7f00000, v7
	v_cndmask_b32_e32 v3, 0x7e, v3, vcc_lo
; %bb.707:
	s_and_not1_saveexec_b32 s24, s24
; %bb.708:
	v_add_f32_e64 v3, 0x46800000, |v2|
; %bb.709:
	s_or_b32 exec_lo, exec_lo, s24
                                        ; implicit-def: $vgpr7
.LBB7_710:
	s_and_not1_saveexec_b32 s1, s1
; %bb.711:
	v_mov_b32_e32 v3, 0x7f
	v_cmp_lt_u32_e32 vcc_lo, 0x7f800000, v7
	s_delay_alu instid0(VALU_DEP_2)
	v_cndmask_b32_e32 v3, 0x7e, v3, vcc_lo
; %bb.712:
	s_or_b32 exec_lo, exec_lo, s1
	v_lshrrev_b32_e32 v2, 24, v2
	s_delay_alu instid0(VALU_DEP_1)
	v_and_or_b32 v2, 0x80, v2, v3
	global_store_b8 v[4:5], v2, off
.LBB7_713:
	s_mov_b32 s1, 0
.LBB7_714:
	s_delay_alu instid0(SALU_CYCLE_1)
	s_and_not1_b32 vcc_lo, exec_lo, s1
	s_cbranch_vccnz .LBB7_724
; %bb.715:
	v_cvt_f32_f64_e32 v2, v[0:1]
	s_mov_b32 s1, exec_lo
                                        ; implicit-def: $vgpr3
	s_delay_alu instid0(VALU_DEP_1) | instskip(NEXT) | instid1(VALU_DEP_1)
	v_and_b32_e32 v7, 0x7fffffff, v2
	v_cmpx_gt_u32_e32 0x47800000, v7
	s_xor_b32 s1, exec_lo, s1
	s_cbranch_execz .LBB7_721
; %bb.716:
	s_mov_b32 s24, exec_lo
                                        ; implicit-def: $vgpr3
	v_cmpx_lt_u32_e32 0x387fffff, v7
	s_xor_b32 s24, exec_lo, s24
; %bb.717:
	v_bfe_u32 v3, v2, 21, 1
	s_delay_alu instid0(VALU_DEP_1) | instskip(NEXT) | instid1(VALU_DEP_1)
	v_add3_u32 v3, v2, v3, 0x80fffff
	v_lshrrev_b32_e32 v3, 21, v3
; %bb.718:
	s_and_not1_saveexec_b32 s24, s24
; %bb.719:
	v_add_f32_e64 v3, 0x43000000, |v2|
; %bb.720:
	s_or_b32 exec_lo, exec_lo, s24
                                        ; implicit-def: $vgpr7
.LBB7_721:
	s_and_not1_saveexec_b32 s1, s1
; %bb.722:
	v_mov_b32_e32 v3, 0x7f
	v_cmp_lt_u32_e32 vcc_lo, 0x7f800000, v7
	s_delay_alu instid0(VALU_DEP_2)
	v_cndmask_b32_e32 v3, 0x7c, v3, vcc_lo
; %bb.723:
	s_or_b32 exec_lo, exec_lo, s1
	v_lshrrev_b32_e32 v2, 24, v2
	s_delay_alu instid0(VALU_DEP_1)
	v_and_or_b32 v2, 0x80, v2, v3
	global_store_b8 v[4:5], v2, off
.LBB7_724:
	s_mov_b32 s24, 0
	s_mov_b32 s1, -1
.LBB7_725:
	s_and_not1_b32 vcc_lo, exec_lo, s24
	s_cbranch_vccnz .LBB7_733
; %bb.726:
	v_cmp_lt_i16_e32 vcc_lo, 14, v6
	s_mov_b32 s24, -1
	s_cbranch_vccz .LBB7_730
; %bb.727:
	v_cmp_eq_u16_e32 vcc_lo, 15, v6
	s_mov_b32 s0, -1
	s_cbranch_vccz .LBB7_729
; %bb.728:
	v_cvt_f32_f64_e32 v2, v[0:1]
	s_mov_b32 s1, -1
	s_mov_b32 s0, 0
	s_delay_alu instid0(VALU_DEP_1) | instskip(SKIP_1) | instid1(VALU_DEP_2)
	v_bfe_u32 v3, v2, 16, 1
	v_cmp_o_f32_e32 vcc_lo, v2, v2
	v_add3_u32 v3, v2, v3, 0x7fff
	s_delay_alu instid0(VALU_DEP_1) | instskip(NEXT) | instid1(VALU_DEP_1)
	v_lshrrev_b32_e32 v3, 16, v3
	v_cndmask_b32_e32 v2, 0x7fc0, v3, vcc_lo
	global_store_b16 v[4:5], v2, off
.LBB7_729:
	s_mov_b32 s24, 0
.LBB7_730:
	s_delay_alu instid0(SALU_CYCLE_1)
	s_and_b32 vcc_lo, exec_lo, s24
	s_cbranch_vccz .LBB7_733
; %bb.731:
	v_cmp_eq_u16_e32 vcc_lo, 11, v6
	s_mov_b32 s0, -1
	s_cbranch_vccz .LBB7_733
; %bb.732:
	v_cmp_neq_f64_e32 vcc_lo, 0, v[0:1]
	s_mov_b32 s1, -1
	s_mov_b32 s0, 0
	v_cndmask_b32_e64 v2, 0, 1, vcc_lo
	global_store_b8 v[4:5], v2, off
.LBB7_733:
	s_mov_b32 s24, 0
.LBB7_734:
	s_delay_alu instid0(SALU_CYCLE_1)
	s_and_b32 vcc_lo, exec_lo, s24
	s_cbranch_vccz .LBB7_773
; %bb.735:
	v_cmp_gt_i16_e32 vcc_lo, 5, v6
	s_mov_b32 s1, -1
	s_cbranch_vccnz .LBB7_756
; %bb.736:
	v_cmp_gt_i16_e32 vcc_lo, 8, v6
	s_cbranch_vccnz .LBB7_746
; %bb.737:
	v_cmp_gt_i16_e32 vcc_lo, 9, v6
	s_cbranch_vccnz .LBB7_743
; %bb.738:
	v_cmp_lt_i16_e32 vcc_lo, 9, v6
	s_cbranch_vccz .LBB7_740
; %bb.739:
	v_mov_b32_e32 v2, 0
	s_mov_b32 s1, 0
	s_delay_alu instid0(VALU_DEP_1)
	v_mov_b32_e32 v3, v2
	global_store_b128 v[4:5], v[0:3], off
.LBB7_740:
	s_and_not1_b32 vcc_lo, exec_lo, s1
	s_cbranch_vccnz .LBB7_742
; %bb.741:
	v_cvt_f32_f64_e32 v2, v[0:1]
	v_mov_b32_e32 v3, 0
	global_store_b64 v[4:5], v[2:3], off
.LBB7_742:
	s_mov_b32 s1, 0
.LBB7_743:
	s_delay_alu instid0(SALU_CYCLE_1)
	s_and_not1_b32 vcc_lo, exec_lo, s1
	s_cbranch_vccnz .LBB7_745
; %bb.744:
	v_cvt_f32_f64_e32 v2, v[0:1]
	s_delay_alu instid0(VALU_DEP_1) | instskip(NEXT) | instid1(VALU_DEP_1)
	v_cvt_f16_f32_e32 v2, v2
	v_and_b32_e32 v2, 0xffff, v2
	global_store_b32 v[4:5], v2, off
.LBB7_745:
	s_mov_b32 s1, 0
.LBB7_746:
	s_delay_alu instid0(SALU_CYCLE_1)
	s_and_not1_b32 vcc_lo, exec_lo, s1
	s_cbranch_vccnz .LBB7_755
; %bb.747:
	v_cmp_gt_i16_e32 vcc_lo, 6, v6
	s_mov_b32 s1, -1
	s_cbranch_vccnz .LBB7_753
; %bb.748:
	v_cmp_lt_i16_e32 vcc_lo, 6, v6
	s_cbranch_vccz .LBB7_750
; %bb.749:
	s_mov_b32 s1, 0
	global_store_b64 v[4:5], v[0:1], off
.LBB7_750:
	s_and_not1_b32 vcc_lo, exec_lo, s1
	s_cbranch_vccnz .LBB7_752
; %bb.751:
	v_cvt_f32_f64_e32 v2, v[0:1]
	global_store_b32 v[4:5], v2, off
.LBB7_752:
	s_mov_b32 s1, 0
.LBB7_753:
	s_delay_alu instid0(SALU_CYCLE_1)
	s_and_not1_b32 vcc_lo, exec_lo, s1
	s_cbranch_vccnz .LBB7_755
; %bb.754:
	v_cvt_f32_f64_e32 v2, v[0:1]
	s_delay_alu instid0(VALU_DEP_1)
	v_cvt_f16_f32_e32 v2, v2
	global_store_b16 v[4:5], v2, off
.LBB7_755:
	s_mov_b32 s1, 0
.LBB7_756:
	s_delay_alu instid0(SALU_CYCLE_1)
	s_and_not1_b32 vcc_lo, exec_lo, s1
	s_cbranch_vccnz .LBB7_772
; %bb.757:
	v_cmp_gt_i16_e32 vcc_lo, 2, v6
	s_mov_b32 s1, -1
	s_cbranch_vccnz .LBB7_767
; %bb.758:
	v_cmp_gt_i16_e32 vcc_lo, 3, v6
	s_cbranch_vccnz .LBB7_764
; %bb.759:
	v_cmp_lt_i16_e32 vcc_lo, 3, v6
	s_cbranch_vccz .LBB7_761
; %bb.760:
	v_trunc_f64_e32 v[2:3], v[0:1]
	s_mov_b32 s1, 0
	s_delay_alu instid0(VALU_DEP_1) | instskip(NEXT) | instid1(VALU_DEP_1)
	v_ldexp_f64 v[7:8], v[2:3], 0xffffffe0
	v_floor_f64_e32 v[7:8], v[7:8]
	s_delay_alu instid0(VALU_DEP_1) | instskip(SKIP_1) | instid1(VALU_DEP_2)
	v_fma_f64 v[2:3], 0xc1f00000, v[7:8], v[2:3]
	v_cvt_i32_f64_e32 v8, v[7:8]
	v_cvt_u32_f64_e32 v7, v[2:3]
	global_store_b64 v[4:5], v[7:8], off
.LBB7_761:
	s_and_not1_b32 vcc_lo, exec_lo, s1
	s_cbranch_vccnz .LBB7_763
; %bb.762:
	v_cvt_i32_f64_e32 v2, v[0:1]
	global_store_b32 v[4:5], v2, off
.LBB7_763:
	s_mov_b32 s1, 0
.LBB7_764:
	s_delay_alu instid0(SALU_CYCLE_1)
	s_and_not1_b32 vcc_lo, exec_lo, s1
	s_cbranch_vccnz .LBB7_766
; %bb.765:
	v_cvt_i32_f64_e32 v2, v[0:1]
	global_store_b16 v[4:5], v2, off
.LBB7_766:
	s_mov_b32 s1, 0
.LBB7_767:
	s_delay_alu instid0(SALU_CYCLE_1)
	s_and_not1_b32 vcc_lo, exec_lo, s1
	s_cbranch_vccnz .LBB7_772
; %bb.768:
	v_cmp_lt_i16_e32 vcc_lo, 0, v6
	s_mov_b32 s1, -1
	s_cbranch_vccz .LBB7_770
; %bb.769:
	v_cvt_i32_f64_e32 v2, v[0:1]
	s_mov_b32 s1, 0
	global_store_b8 v[4:5], v2, off
.LBB7_770:
	s_and_not1_b32 vcc_lo, exec_lo, s1
	s_cbranch_vccnz .LBB7_772
; %bb.771:
	v_trunc_f64_e32 v[0:1], v[0:1]
	s_delay_alu instid0(VALU_DEP_1) | instskip(NEXT) | instid1(VALU_DEP_1)
	v_ldexp_f64 v[2:3], v[0:1], 0xffffffe0
	v_floor_f64_e32 v[2:3], v[2:3]
	s_delay_alu instid0(VALU_DEP_1) | instskip(NEXT) | instid1(VALU_DEP_1)
	v_fma_f64 v[0:1], 0xc1f00000, v[2:3], v[0:1]
	v_cvt_u32_f64_e32 v0, v[0:1]
	global_store_b8 v[4:5], v0, off
.LBB7_772:
	s_mov_b32 s1, -1
.LBB7_773:
	s_delay_alu instid0(SALU_CYCLE_1)
	s_and_not1_b32 vcc_lo, exec_lo, s1
	s_cbranch_vccnz .LBB7_775
; %bb.774:
	v_add_nc_u32_e32 v16, 0x80, v16
	s_mov_b32 s1, -1
	s_branch .LBB7_777
.LBB7_775:
	s_mov_b32 s1, 0
.LBB7_776:
                                        ; implicit-def: $vgpr16
.LBB7_777:
	s_and_not1_b32 s24, s20, exec_lo
	s_and_b32 s0, s0, exec_lo
	s_and_not1_b32 s25, s19, exec_lo
	s_and_b32 s23, s23, exec_lo
	s_or_b32 s24, s24, s0
	s_or_b32 s23, s25, s23
	s_or_not1_b32 s0, s1, exec_lo
.LBB7_778:
	s_or_b32 exec_lo, exec_lo, s22
	s_mov_b32 s1, 0
	s_mov_b32 s25, 0
	;; [unrolled: 1-line block ×3, first 2 shown]
                                        ; implicit-def: $vgpr0_vgpr1
                                        ; implicit-def: $vgpr2_vgpr3
	s_and_saveexec_b32 s22, s0
	s_cbranch_execz .LBB7_863
; %bb.779:
	v_cmp_gt_i32_e32 vcc_lo, s16, v16
	s_mov_b32 s0, 0
	s_mov_b32 s27, s23
	;; [unrolled: 1-line block ×3, first 2 shown]
                                        ; implicit-def: $vgpr0_vgpr1
                                        ; implicit-def: $vgpr2_vgpr3
	s_and_saveexec_b32 s16, vcc_lo
	s_cbranch_execz .LBB7_862
; %bb.780:
	v_mul_lo_u32 v0, v16, s3
	v_cmp_gt_i16_e32 vcc_lo, 11, v17
	s_delay_alu instid0(VALU_DEP_2) | instskip(SKIP_1) | instid1(VALU_DEP_1)
	v_ashrrev_i32_e32 v1, 31, v0
	v_add_co_u32 v0, s0, s6, v0
	v_add_co_ci_u32_e64 v1, s0, s7, v1, s0
	s_cbranch_vccnz .LBB7_787
; %bb.781:
	v_cmp_lt_i16_e32 vcc_lo, 25, v17
	s_cbranch_vccz .LBB7_788
; %bb.782:
	v_cmp_lt_i16_e32 vcc_lo, 28, v17
	s_cbranch_vccz .LBB7_789
	;; [unrolled: 3-line block ×4, first 2 shown]
; %bb.785:
	v_cmp_eq_u16_e32 vcc_lo, 46, v17
	s_cbranch_vccz .LBB7_796
; %bb.786:
	global_load_b32 v2, v[0:1], off
	s_mov_b32 s0, -1
	s_waitcnt vmcnt(0)
	v_lshlrev_b32_e32 v2, 16, v2
	s_delay_alu instid0(VALU_DEP_1)
	v_cvt_f64_f32_e32 v[2:3], v2
	s_branch .LBB7_798
.LBB7_787:
	s_mov_b32 s1, -1
	s_mov_b32 s0, 0
	s_mov_b32 s25, s23
                                        ; implicit-def: $vgpr2_vgpr3
	s_branch .LBB7_861
.LBB7_788:
	s_mov_b32 s1, -1
	s_mov_b32 s0, 0
	s_mov_b32 s25, s23
                                        ; implicit-def: $vgpr2_vgpr3
	s_branch .LBB7_829
.LBB7_789:
	s_mov_b32 s1, -1
	s_mov_b32 s0, 0
	s_mov_b32 s25, s23
                                        ; implicit-def: $vgpr2_vgpr3
	s_branch .LBB7_808
.LBB7_790:
	s_mov_b32 s1, -1
	s_mov_b32 s0, 0
	s_mov_b32 s25, s23
                                        ; implicit-def: $vgpr2_vgpr3
	s_branch .LBB7_803
.LBB7_791:
	s_or_saveexec_b32 s25, s25
                                        ; implicit-def: $sgpr26
	s_delay_alu instid0(SALU_CYCLE_1)
	s_xor_b32 exec_lo, exec_lo, s25
	s_cbranch_execz .LBB7_686
.LBB7_792:
	v_add_f32_e64 v3, 0x46000000, |v2|
	s_and_not1_b32 s24, s24, exec_lo
	s_mov_b32 s26, 0
	s_delay_alu instid0(VALU_DEP_1) | instskip(NEXT) | instid1(VALU_DEP_1)
	v_and_b32_e32 v3, 0xff, v3
	v_cmp_ne_u32_e32 vcc_lo, 0, v3
	s_and_b32 s27, vcc_lo, exec_lo
	s_delay_alu instid0(SALU_CYCLE_1)
	s_or_b32 s24, s24, s27
	s_or_b32 exec_lo, exec_lo, s25
	v_mov_b32_e32 v7, s26
	s_and_saveexec_b32 s25, s24
	s_cbranch_execnz .LBB7_687
	s_branch .LBB7_688
.LBB7_793:
	s_mov_b32 s1, -1
	s_mov_b32 s0, 0
	s_mov_b32 s25, s23
	s_branch .LBB7_797
.LBB7_794:
	s_or_saveexec_b32 s25, s25
                                        ; implicit-def: $sgpr26
	s_delay_alu instid0(SALU_CYCLE_1)
	s_xor_b32 exec_lo, exec_lo, s25
	s_cbranch_execz .LBB7_699
.LBB7_795:
	v_add_f32_e64 v3, 0x42800000, |v2|
	s_and_not1_b32 s24, s24, exec_lo
	s_mov_b32 s26, 0
	s_delay_alu instid0(VALU_DEP_1) | instskip(NEXT) | instid1(VALU_DEP_1)
	v_and_b32_e32 v3, 0xff, v3
	v_cmp_ne_u32_e32 vcc_lo, 0, v3
	s_and_b32 s27, vcc_lo, exec_lo
	s_delay_alu instid0(SALU_CYCLE_1)
	s_or_b32 s24, s24, s27
	s_or_b32 exec_lo, exec_lo, s25
	v_mov_b32_e32 v7, s26
	s_and_saveexec_b32 s25, s24
	s_cbranch_execnz .LBB7_700
	s_branch .LBB7_701
.LBB7_796:
	s_mov_b32 s25, -1
	s_mov_b32 s0, 0
.LBB7_797:
                                        ; implicit-def: $vgpr2_vgpr3
.LBB7_798:
	s_and_b32 vcc_lo, exec_lo, s1
	s_cbranch_vccz .LBB7_802
; %bb.799:
	v_cmp_eq_u16_e32 vcc_lo, 44, v17
	s_cbranch_vccz .LBB7_801
; %bb.800:
	global_load_u8 v4, v[0:1], off
	s_mov_b32 s25, 0
	s_mov_b32 s0, -1
	s_waitcnt vmcnt(0)
	v_cmp_ne_u32_e32 vcc_lo, 0xff, v4
	v_lshlrev_b32_e32 v2, 23, v4
	s_delay_alu instid0(VALU_DEP_1) | instskip(NEXT) | instid1(VALU_DEP_1)
	v_cvt_f64_f32_e32 v[2:3], v2
	v_cndmask_b32_e32 v3, 0x7ff80000, v3, vcc_lo
	s_delay_alu instid0(VALU_DEP_2) | instskip(SKIP_1) | instid1(VALU_DEP_3)
	v_cndmask_b32_e32 v2, 0x20000000, v2, vcc_lo
	v_cmp_ne_u32_e32 vcc_lo, 0, v4
	v_cndmask_b32_e32 v3, 0x38000000, v3, vcc_lo
	s_delay_alu instid0(VALU_DEP_3)
	v_cndmask_b32_e32 v2, 0, v2, vcc_lo
	s_branch .LBB7_802
.LBB7_801:
	s_mov_b32 s25, -1
                                        ; implicit-def: $vgpr2_vgpr3
.LBB7_802:
	s_mov_b32 s1, 0
.LBB7_803:
	s_delay_alu instid0(SALU_CYCLE_1)
	s_and_b32 vcc_lo, exec_lo, s1
	s_cbranch_vccz .LBB7_807
; %bb.804:
	v_cmp_eq_u16_e32 vcc_lo, 29, v17
	s_cbranch_vccz .LBB7_806
; %bb.805:
	global_load_b64 v[2:3], v[0:1], off
	s_mov_b32 s25, 0
	s_mov_b32 s0, -1
	s_mov_b32 s1, 0
	s_waitcnt vmcnt(0)
	v_cvt_f64_u32_e32 v[3:4], v3
	v_cvt_f64_u32_e32 v[5:6], v2
	s_delay_alu instid0(VALU_DEP_2) | instskip(NEXT) | instid1(VALU_DEP_1)
	v_ldexp_f64 v[3:4], v[3:4], 32
	v_add_f64 v[2:3], v[3:4], v[5:6]
	s_branch .LBB7_808
.LBB7_806:
	s_mov_b32 s25, -1
                                        ; implicit-def: $vgpr2_vgpr3
.LBB7_807:
	s_mov_b32 s1, 0
.LBB7_808:
	s_delay_alu instid0(SALU_CYCLE_1)
	s_and_b32 vcc_lo, exec_lo, s1
	s_cbranch_vccz .LBB7_828
; %bb.809:
	v_cmp_gt_i16_e32 vcc_lo, 27, v17
	s_cbranch_vccnz .LBB7_812
; %bb.810:
	v_cmp_lt_i16_e32 vcc_lo, 27, v17
	s_cbranch_vccz .LBB7_813
; %bb.811:
	global_load_b32 v2, v[0:1], off
	s_mov_b32 s0, 0
	s_waitcnt vmcnt(0)
	v_cvt_f64_u32_e32 v[2:3], v2
	s_branch .LBB7_814
.LBB7_812:
	s_mov_b32 s0, -1
                                        ; implicit-def: $vgpr2_vgpr3
	s_branch .LBB7_817
.LBB7_813:
	s_mov_b32 s0, -1
                                        ; implicit-def: $vgpr2_vgpr3
.LBB7_814:
	s_delay_alu instid0(SALU_CYCLE_1)
	s_and_not1_b32 vcc_lo, exec_lo, s0
	s_cbranch_vccnz .LBB7_816
; %bb.815:
	global_load_u16 v2, v[0:1], off
	s_waitcnt vmcnt(0)
	v_cvt_f64_u32_e32 v[2:3], v2
.LBB7_816:
	s_mov_b32 s0, 0
.LBB7_817:
	s_delay_alu instid0(SALU_CYCLE_1)
	s_and_not1_b32 vcc_lo, exec_lo, s0
	s_cbranch_vccnz .LBB7_827
; %bb.818:
	global_load_u8 v4, v[0:1], off
	s_mov_b32 s27, 0
	s_mov_b32 s28, exec_lo
                                        ; implicit-def: $sgpr0_sgpr1
	s_waitcnt vmcnt(0)
	v_cmpx_lt_i16_e32 0x7f, v4
	s_xor_b32 s28, exec_lo, s28
	s_cbranch_execz .LBB7_822
; %bb.819:
	s_mov_b32 s29, -1
	s_mov_b32 s27, exec_lo
                                        ; implicit-def: $sgpr0_sgpr1
	v_cmpx_eq_u16_e32 0x80, v4
; %bb.820:
	s_mov_b32 s1, 0x7ff80000
	s_brev_b32 s0, 4
	s_xor_b32 s29, exec_lo, -1
; %bb.821:
	s_or_b32 exec_lo, exec_lo, s27
	s_delay_alu instid0(SALU_CYCLE_1)
	s_and_b32 s27, s29, exec_lo
.LBB7_822:
	s_or_saveexec_b32 s28, s28
	v_dual_mov_b32 v3, s1 :: v_dual_mov_b32 v2, s0
	s_xor_b32 exec_lo, exec_lo, s28
; %bb.823:
	v_cmp_ne_u16_e32 vcc_lo, 0, v4
	v_mov_b32_e32 v2, 0
	v_mov_b32_e32 v3, 0
	s_and_not1_b32 s0, s27, exec_lo
	s_and_b32 s1, vcc_lo, exec_lo
	s_delay_alu instid0(SALU_CYCLE_1)
	s_or_b32 s27, s0, s1
; %bb.824:
	s_or_b32 exec_lo, exec_lo, s28
	s_and_saveexec_b32 s0, s27
	s_cbranch_execz .LBB7_826
; %bb.825:
	v_and_b32_e32 v2, 0xffff, v4
	v_lshlrev_b32_e32 v4, 24, v4
	s_delay_alu instid0(VALU_DEP_2) | instskip(NEXT) | instid1(VALU_DEP_2)
	v_and_b32_e32 v3, 7, v2
	v_and_b32_e32 v4, 0x80000000, v4
	s_delay_alu instid0(VALU_DEP_2) | instskip(NEXT) | instid1(VALU_DEP_1)
	v_clz_i32_u32_e32 v5, v3
	v_min_u32_e32 v5, 32, v5
	s_delay_alu instid0(VALU_DEP_1) | instskip(SKIP_1) | instid1(VALU_DEP_2)
	v_subrev_nc_u32_e32 v6, 28, v5
	v_sub_nc_u32_e32 v5, 29, v5
	v_lshlrev_b32_e32 v6, v6, v2
	v_bfe_u32 v2, v2, 3, 4
	s_delay_alu instid0(VALU_DEP_2) | instskip(NEXT) | instid1(VALU_DEP_2)
	v_and_b32_e32 v6, 7, v6
	v_cmp_eq_u32_e32 vcc_lo, 0, v2
	s_delay_alu instid0(VALU_DEP_2) | instskip(NEXT) | instid1(VALU_DEP_1)
	v_dual_cndmask_b32 v2, v2, v5 :: v_dual_cndmask_b32 v3, v3, v6
	v_lshl_add_u32 v2, v2, 23, 0x3b800000
	s_delay_alu instid0(VALU_DEP_2) | instskip(NEXT) | instid1(VALU_DEP_1)
	v_lshlrev_b32_e32 v3, 20, v3
	v_or3_b32 v2, v4, v2, v3
	s_delay_alu instid0(VALU_DEP_1)
	v_cvt_f64_f32_e32 v[2:3], v2
.LBB7_826:
	s_or_b32 exec_lo, exec_lo, s0
.LBB7_827:
	s_mov_b32 s0, -1
.LBB7_828:
	s_mov_b32 s1, 0
.LBB7_829:
	s_delay_alu instid0(SALU_CYCLE_1)
	s_and_b32 vcc_lo, exec_lo, s1
	s_cbranch_vccz .LBB7_860
; %bb.830:
	v_cmp_lt_i16_e32 vcc_lo, 22, v17
	s_cbranch_vccz .LBB7_842
; %bb.831:
	v_cmp_gt_i16_e32 vcc_lo, 24, v17
	s_cbranch_vccnz .LBB7_843
; %bb.832:
	v_cmp_lt_i16_e32 vcc_lo, 24, v17
	s_cbranch_vccz .LBB7_844
; %bb.833:
	global_load_u8 v4, v[0:1], off
	s_mov_b32 s27, exec_lo
                                        ; implicit-def: $sgpr0_sgpr1
	s_waitcnt vmcnt(0)
	v_cmpx_lt_i16_e32 0x7f, v4
	s_xor_b32 s27, exec_lo, s27
	s_cbranch_execz .LBB7_837
; %bb.834:
	s_mov_b32 s28, -1
	s_mov_b32 s26, exec_lo
                                        ; implicit-def: $sgpr0_sgpr1
	v_cmpx_eq_u16_e32 0x80, v4
; %bb.835:
	s_mov_b32 s1, 0x7ff80000
	s_brev_b32 s0, 4
	s_xor_b32 s28, exec_lo, -1
; %bb.836:
	s_or_b32 exec_lo, exec_lo, s26
	s_delay_alu instid0(SALU_CYCLE_1)
	s_and_b32 s26, s28, exec_lo
.LBB7_837:
	s_or_saveexec_b32 s27, s27
	v_dual_mov_b32 v3, s1 :: v_dual_mov_b32 v2, s0
	s_xor_b32 exec_lo, exec_lo, s27
; %bb.838:
	v_cmp_ne_u16_e32 vcc_lo, 0, v4
	v_mov_b32_e32 v2, 0
	v_mov_b32_e32 v3, 0
	s_and_not1_b32 s0, s26, exec_lo
	s_and_b32 s1, vcc_lo, exec_lo
	s_delay_alu instid0(SALU_CYCLE_1)
	s_or_b32 s26, s0, s1
; %bb.839:
	s_or_b32 exec_lo, exec_lo, s27
	s_and_saveexec_b32 s0, s26
	s_cbranch_execz .LBB7_841
; %bb.840:
	v_and_b32_e32 v2, 0xffff, v4
	v_lshlrev_b32_e32 v4, 24, v4
	s_delay_alu instid0(VALU_DEP_2) | instskip(NEXT) | instid1(VALU_DEP_2)
	v_and_b32_e32 v3, 3, v2
	v_and_b32_e32 v4, 0x80000000, v4
	s_delay_alu instid0(VALU_DEP_2) | instskip(NEXT) | instid1(VALU_DEP_1)
	v_clz_i32_u32_e32 v5, v3
	v_min_u32_e32 v5, 32, v5
	s_delay_alu instid0(VALU_DEP_1) | instskip(SKIP_1) | instid1(VALU_DEP_2)
	v_subrev_nc_u32_e32 v6, 29, v5
	v_sub_nc_u32_e32 v5, 30, v5
	v_lshlrev_b32_e32 v6, v6, v2
	v_bfe_u32 v2, v2, 2, 5
	s_delay_alu instid0(VALU_DEP_2) | instskip(NEXT) | instid1(VALU_DEP_2)
	v_and_b32_e32 v6, 3, v6
	v_cmp_eq_u32_e32 vcc_lo, 0, v2
	s_delay_alu instid0(VALU_DEP_2) | instskip(NEXT) | instid1(VALU_DEP_1)
	v_dual_cndmask_b32 v2, v2, v5 :: v_dual_cndmask_b32 v3, v3, v6
	v_lshl_add_u32 v2, v2, 23, 0x37800000
	s_delay_alu instid0(VALU_DEP_2) | instskip(NEXT) | instid1(VALU_DEP_1)
	v_lshlrev_b32_e32 v3, 21, v3
	v_or3_b32 v2, v4, v2, v3
	s_delay_alu instid0(VALU_DEP_1)
	v_cvt_f64_f32_e32 v[2:3], v2
.LBB7_841:
	s_or_b32 exec_lo, exec_lo, s0
	s_mov_b32 s0, 0
	s_branch .LBB7_845
.LBB7_842:
	s_mov_b32 s1, -1
                                        ; implicit-def: $vgpr2_vgpr3
	s_branch .LBB7_851
.LBB7_843:
	s_mov_b32 s0, -1
                                        ; implicit-def: $vgpr2_vgpr3
	s_branch .LBB7_848
.LBB7_844:
	s_mov_b32 s0, -1
                                        ; implicit-def: $vgpr2_vgpr3
.LBB7_845:
	s_delay_alu instid0(SALU_CYCLE_1)
	s_and_b32 vcc_lo, exec_lo, s0
	s_cbranch_vccz .LBB7_847
; %bb.846:
	global_load_u8 v2, v[0:1], off
	s_waitcnt vmcnt(0)
	v_lshlrev_b32_e32 v2, 24, v2
	s_delay_alu instid0(VALU_DEP_1) | instskip(NEXT) | instid1(VALU_DEP_1)
	v_and_b32_e32 v3, 0x7f000000, v2
	v_clz_i32_u32_e32 v4, v3
	v_add_nc_u32_e32 v6, 0x1000000, v3
	v_cmp_ne_u32_e32 vcc_lo, 0, v3
	s_delay_alu instid0(VALU_DEP_3) | instskip(NEXT) | instid1(VALU_DEP_1)
	v_min_u32_e32 v4, 32, v4
	v_sub_nc_u32_e64 v4, v4, 4 clamp
	s_delay_alu instid0(VALU_DEP_1) | instskip(SKIP_1) | instid1(VALU_DEP_2)
	v_lshlrev_b32_e32 v5, v4, v3
	v_lshlrev_b32_e32 v4, 23, v4
	v_lshrrev_b32_e32 v5, 4, v5
	s_delay_alu instid0(VALU_DEP_1) | instskip(SKIP_1) | instid1(VALU_DEP_2)
	v_sub_nc_u32_e32 v4, v5, v4
	v_ashrrev_i32_e32 v5, 8, v6
	v_add_nc_u32_e32 v4, 0x3c000000, v4
	s_delay_alu instid0(VALU_DEP_1) | instskip(NEXT) | instid1(VALU_DEP_1)
	v_and_or_b32 v4, 0x7f800000, v5, v4
	v_cndmask_b32_e32 v3, 0, v4, vcc_lo
	s_delay_alu instid0(VALU_DEP_1) | instskip(NEXT) | instid1(VALU_DEP_1)
	v_and_or_b32 v2, 0x80000000, v2, v3
	v_cvt_f64_f32_e32 v[2:3], v2
.LBB7_847:
	s_mov_b32 s0, 0
.LBB7_848:
	s_delay_alu instid0(SALU_CYCLE_1)
	s_and_not1_b32 vcc_lo, exec_lo, s0
	s_cbranch_vccnz .LBB7_850
; %bb.849:
	global_load_u8 v2, v[0:1], off
	s_waitcnt vmcnt(0)
	v_lshlrev_b32_e32 v3, 25, v2
	v_lshlrev_b16 v2, 8, v2
	s_delay_alu instid0(VALU_DEP_2) | instskip(NEXT) | instid1(VALU_DEP_2)
	v_lshrrev_b32_e32 v4, 4, v3
	v_and_or_b32 v5, 0x7f00, v2, 0.5
	v_bfe_i32 v2, v2, 0, 16
	s_delay_alu instid0(VALU_DEP_3) | instskip(NEXT) | instid1(VALU_DEP_1)
	v_or_b32_e32 v4, 0x70000000, v4
	v_dual_add_f32 v5, -0.5, v5 :: v_dual_mul_f32 v4, 0x7800000, v4
	v_cmp_gt_u32_e32 vcc_lo, 0x8000000, v3
	s_delay_alu instid0(VALU_DEP_2) | instskip(NEXT) | instid1(VALU_DEP_1)
	v_cndmask_b32_e32 v3, v4, v5, vcc_lo
	v_and_or_b32 v2, 0x80000000, v2, v3
	s_delay_alu instid0(VALU_DEP_1)
	v_cvt_f64_f32_e32 v[2:3], v2
.LBB7_850:
	s_mov_b32 s1, 0
	s_mov_b32 s0, -1
.LBB7_851:
	s_and_not1_b32 vcc_lo, exec_lo, s1
	s_mov_b32 s26, 0
	s_cbranch_vccnz .LBB7_860
; %bb.852:
	v_cmp_lt_i16_e32 vcc_lo, 14, v17
	s_cbranch_vccz .LBB7_855
; %bb.853:
	v_cmp_eq_u16_e32 vcc_lo, 15, v17
	s_cbranch_vccz .LBB7_856
; %bb.854:
	global_load_u16 v2, v[0:1], off
	s_mov_b32 s25, 0
	s_mov_b32 s0, -1
	s_waitcnt vmcnt(0)
	v_lshlrev_b32_e32 v2, 16, v2
	s_delay_alu instid0(VALU_DEP_1)
	v_cvt_f64_f32_e32 v[2:3], v2
	s_branch .LBB7_857
.LBB7_855:
	s_mov_b32 s1, -1
                                        ; implicit-def: $vgpr2_vgpr3
	s_branch .LBB7_858
.LBB7_856:
	s_mov_b32 s25, -1
                                        ; implicit-def: $vgpr2_vgpr3
.LBB7_857:
	s_mov_b32 s1, 0
.LBB7_858:
	s_delay_alu instid0(SALU_CYCLE_1)
	s_and_b32 vcc_lo, exec_lo, s1
	s_cbranch_vccz .LBB7_860
; %bb.859:
	v_cmp_ne_u16_e32 vcc_lo, 11, v17
	s_and_not1_b32 s1, s25, exec_lo
	s_mov_b32 s26, -1
                                        ; implicit-def: $vgpr2_vgpr3
	s_and_b32 s25, vcc_lo, exec_lo
	s_delay_alu instid0(SALU_CYCLE_1)
	s_or_b32 s25, s1, s25
.LBB7_860:
	s_mov_b32 s1, 0
.LBB7_861:
	s_and_not1_b32 s27, s23, exec_lo
	s_and_b32 s25, s25, exec_lo
	s_and_b32 s28, s0, exec_lo
	;; [unrolled: 1-line block ×4, first 2 shown]
	s_or_b32 s27, s27, s25
.LBB7_862:
	s_or_b32 exec_lo, exec_lo, s16
	s_delay_alu instid0(SALU_CYCLE_1)
	s_and_not1_b32 s16, s23, exec_lo
	s_and_b32 s23, s27, exec_lo
	s_and_b32 s26, s28, exec_lo
	;; [unrolled: 1-line block ×4, first 2 shown]
	s_or_b32 s23, s16, s23
.LBB7_863:
	s_or_b32 exec_lo, exec_lo, s22
	s_delay_alu instid0(SALU_CYCLE_1)
	s_and_not1_b32 s0, s20, exec_lo
	s_and_b32 s16, s24, exec_lo
	s_and_b32 s22, s25, exec_lo
	s_or_b32 s20, s0, s16
	s_and_not1_b32 s16, s19, exec_lo
	s_and_b32 s19, s23, exec_lo
	s_and_b32 s0, s26, exec_lo
	;; [unrolled: 1-line block ×3, first 2 shown]
	s_or_b32 s19, s16, s19
.LBB7_864:
	s_or_b32 exec_lo, exec_lo, s21
	s_delay_alu instid0(SALU_CYCLE_1)
	s_and_not1_b32 s15, s15, exec_lo
	s_and_b32 s16, s20, exec_lo
	s_and_b32 s0, s0, exec_lo
	s_or_b32 s15, s15, s16
	s_and_not1_b32 s16, s17, exec_lo
	s_and_b32 s17, s19, exec_lo
	s_and_b32 s20, s22, exec_lo
	;; [unrolled: 1-line block ×3, first 2 shown]
	s_or_b32 s17, s16, s17
.LBB7_865:
	s_or_b32 exec_lo, exec_lo, s18
	s_mov_b32 s16, 0
	s_and_saveexec_b32 s1, s17
	s_cbranch_execnz .LBB7_877
; %bb.866:
	s_or_b32 exec_lo, exec_lo, s1
	s_and_saveexec_b32 s1, s19
	s_delay_alu instid0(SALU_CYCLE_1)
	s_xor_b32 s1, exec_lo, s1
	s_cbranch_execz .LBB7_868
.LBB7_867:
	global_load_u8 v2, v[0:1], off
	s_or_b32 s0, s0, exec_lo
	s_waitcnt vmcnt(0)
	v_cmp_ne_u16_e32 vcc_lo, 0, v2
	v_mov_b32_e32 v2, 0
	v_cndmask_b32_e64 v3, 0, 0x3ff00000, vcc_lo
.LBB7_868:
	s_or_b32 exec_lo, exec_lo, s1
	s_and_saveexec_b32 s1, s20
	s_cbranch_execz .LBB7_916
; %bb.869:
	v_cmp_gt_i16_e32 vcc_lo, 5, v17
	s_cbranch_vccnz .LBB7_874
; %bb.870:
	v_cmp_gt_i16_e32 vcc_lo, 8, v17
	s_cbranch_vccnz .LBB7_875
	;; [unrolled: 3-line block ×3, first 2 shown]
; %bb.872:
	v_cmp_lt_i16_e32 vcc_lo, 9, v17
	s_cbranch_vccz .LBB7_879
; %bb.873:
	global_load_b64 v[2:3], v[0:1], off
	s_mov_b32 s17, 0
	s_branch .LBB7_880
.LBB7_874:
                                        ; implicit-def: $vgpr2_vgpr3
	s_branch .LBB7_897
.LBB7_875:
                                        ; implicit-def: $vgpr2_vgpr3
	s_branch .LBB7_886
.LBB7_876:
	s_mov_b32 s17, -1
                                        ; implicit-def: $vgpr2_vgpr3
	s_branch .LBB7_883
.LBB7_877:
	s_cbranch_execnz .LBB7_927
; %bb.878:
	s_mov_b32 s16, exec_lo
	s_and_not1_b32 s19, s19, exec_lo
                                        ; implicit-def: $vgpr2_vgpr3
	s_or_b32 exec_lo, exec_lo, s1
	s_and_saveexec_b32 s1, s19
	s_delay_alu instid0(SALU_CYCLE_1)
	s_xor_b32 s1, exec_lo, s1
	s_cbranch_execnz .LBB7_867
	s_branch .LBB7_868
.LBB7_879:
	s_mov_b32 s17, -1
                                        ; implicit-def: $vgpr2_vgpr3
.LBB7_880:
	s_delay_alu instid0(SALU_CYCLE_1)
	s_and_not1_b32 vcc_lo, exec_lo, s17
	s_cbranch_vccnz .LBB7_882
; %bb.881:
	global_load_b32 v2, v[0:1], off
	s_waitcnt vmcnt(0)
	v_cvt_f64_f32_e32 v[2:3], v2
.LBB7_882:
	s_mov_b32 s17, 0
.LBB7_883:
	s_delay_alu instid0(SALU_CYCLE_1)
	s_and_not1_b32 vcc_lo, exec_lo, s17
	s_cbranch_vccnz .LBB7_885
; %bb.884:
	global_load_b32 v2, v[0:1], off
	s_waitcnt vmcnt(0)
	v_cvt_f32_f16_e32 v2, v2
	s_delay_alu instid0(VALU_DEP_1)
	v_cvt_f64_f32_e32 v[2:3], v2
.LBB7_885:
	s_cbranch_execnz .LBB7_896
.LBB7_886:
	v_cmp_gt_i16_e32 vcc_lo, 6, v17
	s_cbranch_vccnz .LBB7_889
; %bb.887:
	v_cmp_lt_i16_e32 vcc_lo, 6, v17
	s_cbranch_vccz .LBB7_890
; %bb.888:
	global_load_b64 v[2:3], v[0:1], off
	s_mov_b32 s17, 0
	s_branch .LBB7_891
.LBB7_889:
	s_mov_b32 s17, -1
                                        ; implicit-def: $vgpr2_vgpr3
	s_branch .LBB7_894
.LBB7_890:
	s_mov_b32 s17, -1
                                        ; implicit-def: $vgpr2_vgpr3
.LBB7_891:
	s_delay_alu instid0(SALU_CYCLE_1)
	s_and_not1_b32 vcc_lo, exec_lo, s17
	s_cbranch_vccnz .LBB7_893
; %bb.892:
	global_load_b32 v2, v[0:1], off
	s_waitcnt vmcnt(0)
	v_cvt_f64_f32_e32 v[2:3], v2
.LBB7_893:
	s_mov_b32 s17, 0
.LBB7_894:
	s_delay_alu instid0(SALU_CYCLE_1)
	s_and_not1_b32 vcc_lo, exec_lo, s17
	s_cbranch_vccnz .LBB7_896
; %bb.895:
	global_load_u16 v2, v[0:1], off
	s_waitcnt vmcnt(0)
	v_cvt_f32_f16_e32 v2, v2
	s_delay_alu instid0(VALU_DEP_1)
	v_cvt_f64_f32_e32 v[2:3], v2
.LBB7_896:
	s_cbranch_execnz .LBB7_915
.LBB7_897:
	v_cmp_gt_i16_e32 vcc_lo, 2, v17
	s_cbranch_vccnz .LBB7_901
; %bb.898:
	v_cmp_gt_i16_e32 vcc_lo, 3, v17
	s_cbranch_vccnz .LBB7_902
; %bb.899:
	v_cmp_lt_i16_e32 vcc_lo, 3, v17
	s_cbranch_vccz .LBB7_903
; %bb.900:
	global_load_b64 v[2:3], v[0:1], off
	s_mov_b32 s17, 0
	s_waitcnt vmcnt(0)
	v_cvt_f64_i32_e32 v[3:4], v3
	v_cvt_f64_u32_e32 v[5:6], v2
	s_delay_alu instid0(VALU_DEP_2) | instskip(NEXT) | instid1(VALU_DEP_1)
	v_ldexp_f64 v[3:4], v[3:4], 32
	v_add_f64 v[2:3], v[3:4], v[5:6]
	s_branch .LBB7_904
.LBB7_901:
                                        ; implicit-def: $vgpr2_vgpr3
	s_branch .LBB7_910
.LBB7_902:
	s_mov_b32 s17, -1
                                        ; implicit-def: $vgpr2_vgpr3
	s_branch .LBB7_907
.LBB7_903:
	s_mov_b32 s17, -1
                                        ; implicit-def: $vgpr2_vgpr3
.LBB7_904:
	s_delay_alu instid0(SALU_CYCLE_1)
	s_and_not1_b32 vcc_lo, exec_lo, s17
	s_cbranch_vccnz .LBB7_906
; %bb.905:
	global_load_b32 v2, v[0:1], off
	s_waitcnt vmcnt(0)
	v_cvt_f64_i32_e32 v[2:3], v2
.LBB7_906:
	s_mov_b32 s17, 0
.LBB7_907:
	s_delay_alu instid0(SALU_CYCLE_1)
	s_and_not1_b32 vcc_lo, exec_lo, s17
	s_cbranch_vccnz .LBB7_909
; %bb.908:
	global_load_i16 v2, v[0:1], off
	s_waitcnt vmcnt(0)
	v_cvt_f64_i32_e32 v[2:3], v2
.LBB7_909:
	s_cbranch_execnz .LBB7_915
.LBB7_910:
	v_cmp_lt_i16_e32 vcc_lo, 0, v17
	s_mov_b32 s17, 0
	s_cbranch_vccz .LBB7_912
; %bb.911:
	global_load_i8 v2, v[0:1], off
	s_waitcnt vmcnt(0)
	v_cvt_f64_i32_e32 v[2:3], v2
	s_branch .LBB7_913
.LBB7_912:
	s_mov_b32 s17, -1
                                        ; implicit-def: $vgpr2_vgpr3
.LBB7_913:
	s_delay_alu instid0(SALU_CYCLE_1)
	s_and_not1_b32 vcc_lo, exec_lo, s17
	s_cbranch_vccnz .LBB7_915
; %bb.914:
	global_load_u8 v0, v[0:1], off
	s_waitcnt vmcnt(0)
	v_cvt_f64_u32_e32 v[2:3], v0
.LBB7_915:
	s_or_b32 s0, s0, exec_lo
.LBB7_916:
	s_or_b32 exec_lo, exec_lo, s1
	s_mov_b32 s18, 0
	s_mov_b32 s1, 0
                                        ; implicit-def: $vgpr6
                                        ; implicit-def: $vgpr4_vgpr5
                                        ; implicit-def: $vgpr0_vgpr1
	s_and_saveexec_b32 s17, s0
	s_cbranch_execz .LBB7_998
; %bb.917:
	s_waitcnt vmcnt(0)
	s_delay_alu instid0(VALU_DEP_1) | instskip(SKIP_1) | instid1(VALU_DEP_1)
	v_cvt_f32_f64_e32 v0, v[2:3]
	s_mov_b32 s0, exec_lo
	v_cmpx_nlg_f32_e64 0x7f800000, |v0|
	s_cbranch_execz .LBB7_919
; %bb.918:
	v_dual_mov_b32 v0, 0 :: v_dual_mov_b32 v1, 1.0
	global_store_b32 v0, v1, s[8:9]
.LBB7_919:
	s_or_b32 exec_lo, exec_lo, s0
	v_mov_b32_e32 v0, 0
	v_mul_lo_u32 v5, v16, s2
	v_and_b32_e64 v6, 0xff, s12
	global_load_b32 v4, v0, s[10:11]
	v_cmp_gt_i16_e32 vcc_lo, 11, v6
	v_ashrrev_i32_e32 v7, 31, v5
	s_and_b32 vcc_lo, exec_lo, vcc_lo
	s_waitcnt vmcnt(0)
	v_cvt_f64_f32_e32 v[0:1], v4
	v_cmp_eq_f32_e64 s0, 1.0, v4
	v_add_co_u32 v4, s1, s4, v5
	s_delay_alu instid0(VALU_DEP_1) | instskip(NEXT) | instid1(VALU_DEP_4)
	v_add_co_ci_u32_e64 v5, s1, s5, v7, s1
	v_mul_f64 v[0:1], v[2:3], v[0:1]
	s_delay_alu instid0(VALU_DEP_1) | instskip(NEXT) | instid1(VALU_DEP_2)
	v_cndmask_b32_e64 v1, v1, v3, s0
	v_cndmask_b32_e64 v0, v0, v2, s0
	s_cbranch_vccnz .LBB7_926
; %bb.920:
	v_cmp_lt_i16_e32 vcc_lo, 25, v6
	s_mov_b32 s1, -1
	s_mov_b32 s0, s15
	s_cbranch_vccz .LBB7_956
; %bb.921:
	v_cmp_lt_i16_e32 vcc_lo, 28, v6
	s_mov_b32 s0, s15
	s_cbranch_vccz .LBB7_940
; %bb.922:
	v_cmp_lt_i16_e32 vcc_lo, 43, v6
	;; [unrolled: 4-line block ×3, first 2 shown]
	s_mov_b32 s0, s15
	s_cbranch_vccz .LBB7_930
; %bb.924:
	v_cmp_eq_u16_e32 vcc_lo, 46, v6
	s_mov_b32 s0, -1
	s_cbranch_vccz .LBB7_929
; %bb.925:
	v_cvt_f32_f64_e32 v2, v[0:1]
	s_mov_b32 s0, 0
	s_mov_b32 s1, 0
	s_delay_alu instid0(VALU_DEP_1) | instskip(SKIP_1) | instid1(VALU_DEP_2)
	v_bfe_u32 v3, v2, 16, 1
	v_cmp_o_f32_e32 vcc_lo, v2, v2
	v_add3_u32 v3, v2, v3, 0x7fff
	s_delay_alu instid0(VALU_DEP_1) | instskip(NEXT) | instid1(VALU_DEP_1)
	v_lshrrev_b32_e32 v3, 16, v3
	v_cndmask_b32_e32 v2, 0x7fc0, v3, vcc_lo
	global_store_b32 v[4:5], v2, off
	s_branch .LBB7_930
.LBB7_926:
	s_mov_b32 s1, -1
	s_mov_b32 s0, s15
	s_branch .LBB7_997
.LBB7_927:
	s_trap 2
	s_sendmsg_rtn_b32 s0, sendmsg(MSG_RTN_GET_DOORBELL)
	s_mov_b32 ttmp2, m0
	s_waitcnt lgkmcnt(0)
	s_and_b32 s0, s0, 0x3ff
	s_delay_alu instid0(SALU_CYCLE_1) | instskip(NEXT) | instid1(SALU_CYCLE_1)
	s_bitset1_b32 s0, 10
	s_mov_b32 m0, s0
	s_sendmsg sendmsg(MSG_INTERRUPT)
	s_mov_b32 m0, ttmp2
.LBB7_928:                              ; =>This Inner Loop Header: Depth=1
	s_sethalt 5
	s_branch .LBB7_928
.LBB7_929:
	s_mov_b32 s1, 0
.LBB7_930:
	s_delay_alu instid0(SALU_CYCLE_1)
	s_and_b32 vcc_lo, exec_lo, s1
	s_cbranch_vccz .LBB7_935
; %bb.931:
	v_cmp_eq_u16_e32 vcc_lo, 44, v6
	s_mov_b32 s0, -1
	s_cbranch_vccz .LBB7_935
; %bb.932:
	v_cvt_f32_f64_e32 v2, v[0:1]
	v_mov_b32_e32 v3, 0xff
	s_mov_b32 s1, exec_lo
	s_delay_alu instid0(VALU_DEP_2) | instskip(NEXT) | instid1(VALU_DEP_1)
	v_bfe_u32 v7, v2, 23, 8
	v_cmpx_ne_u32_e32 0xff, v7
; %bb.933:
	v_and_b32_e32 v3, 0x400000, v2
	v_and_or_b32 v7, 0x3fffff, v2, v7
	v_lshrrev_b32_e32 v2, 23, v2
	s_delay_alu instid0(VALU_DEP_3) | instskip(NEXT) | instid1(VALU_DEP_3)
	v_cmp_ne_u32_e32 vcc_lo, 0, v3
	v_cmp_ne_u32_e64 s0, 0, v7
	s_delay_alu instid0(VALU_DEP_1) | instskip(NEXT) | instid1(SALU_CYCLE_1)
	s_and_b32 s0, vcc_lo, s0
	v_cndmask_b32_e64 v3, 0, 1, s0
	s_delay_alu instid0(VALU_DEP_1)
	v_add_nc_u32_e32 v3, v2, v3
; %bb.934:
	s_or_b32 exec_lo, exec_lo, s1
	s_mov_b32 s0, 0
	global_store_b8 v[4:5], v3, off
.LBB7_935:
	s_mov_b32 s1, 0
.LBB7_936:
	s_delay_alu instid0(SALU_CYCLE_1)
	s_and_b32 vcc_lo, exec_lo, s1
	s_cbranch_vccz .LBB7_939
; %bb.937:
	v_cmp_eq_u16_e32 vcc_lo, 29, v6
	s_mov_b32 s0, -1
	s_cbranch_vccz .LBB7_939
; %bb.938:
	v_trunc_f64_e32 v[2:3], v[0:1]
	s_mov_b32 s0, 0
	s_mov_b32 s1, 0
	s_delay_alu instid0(VALU_DEP_1) | instskip(NEXT) | instid1(VALU_DEP_1)
	v_ldexp_f64 v[7:8], v[2:3], 0xffffffe0
	v_floor_f64_e32 v[7:8], v[7:8]
	s_delay_alu instid0(VALU_DEP_1) | instskip(SKIP_1) | instid1(VALU_DEP_2)
	v_fma_f64 v[2:3], 0xc1f00000, v[7:8], v[2:3]
	v_cvt_u32_f64_e32 v8, v[7:8]
	v_cvt_u32_f64_e32 v7, v[2:3]
	global_store_b64 v[4:5], v[7:8], off
	s_branch .LBB7_940
.LBB7_939:
	s_mov_b32 s1, 0
.LBB7_940:
	s_delay_alu instid0(SALU_CYCLE_1)
	s_and_b32 vcc_lo, exec_lo, s1
	s_cbranch_vccz .LBB7_955
; %bb.941:
	v_cmp_gt_i16_e32 vcc_lo, 27, v6
	s_mov_b32 s1, -1
	s_cbranch_vccnz .LBB7_947
; %bb.942:
	v_cvt_u32_f64_e32 v2, v[0:1]
	v_cmp_lt_i16_e32 vcc_lo, 27, v6
	s_cbranch_vccz .LBB7_944
; %bb.943:
	s_mov_b32 s1, 0
	global_store_b32 v[4:5], v2, off
.LBB7_944:
	s_and_not1_b32 vcc_lo, exec_lo, s1
	s_cbranch_vccnz .LBB7_946
; %bb.945:
	global_store_b16 v[4:5], v2, off
.LBB7_946:
	s_mov_b32 s1, 0
.LBB7_947:
	s_delay_alu instid0(SALU_CYCLE_1)
	s_and_not1_b32 vcc_lo, exec_lo, s1
	s_cbranch_vccnz .LBB7_955
; %bb.948:
	v_cvt_f32_f64_e32 v2, v[0:1]
	v_mov_b32_e32 v7, 0x80
	s_mov_b32 s1, exec_lo
	s_delay_alu instid0(VALU_DEP_2) | instskip(NEXT) | instid1(VALU_DEP_1)
	v_and_b32_e32 v3, 0x7fffffff, v2
	v_cmpx_gt_u32_e32 0x43800000, v3
	s_cbranch_execz .LBB7_954
; %bb.949:
	v_cmp_lt_u32_e32 vcc_lo, 0x3bffffff, v3
                                        ; implicit-def: $vgpr3
	s_and_saveexec_b32 s19, vcc_lo
	s_delay_alu instid0(SALU_CYCLE_1)
	s_xor_b32 s19, exec_lo, s19
	s_cbranch_execz .LBB7_1191
; %bb.950:
	v_bfe_u32 v3, v2, 20, 1
	s_mov_b32 s18, exec_lo
	s_delay_alu instid0(VALU_DEP_1) | instskip(NEXT) | instid1(VALU_DEP_1)
	v_add3_u32 v3, v2, v3, 0x487ffff
	v_lshrrev_b32_e32 v3, 20, v3
	s_or_saveexec_b32 s19, s19
                                        ; implicit-def: $sgpr20
	s_delay_alu instid0(SALU_CYCLE_1)
	s_xor_b32 exec_lo, exec_lo, s19
	s_cbranch_execnz .LBB7_1192
.LBB7_951:
	s_or_b32 exec_lo, exec_lo, s19
	v_mov_b32_e32 v7, s20
	s_and_saveexec_b32 s19, s18
.LBB7_952:
	v_lshrrev_b32_e32 v2, 24, v2
	s_delay_alu instid0(VALU_DEP_1)
	v_and_or_b32 v7, 0x80, v2, v3
.LBB7_953:
	s_or_b32 exec_lo, exec_lo, s19
.LBB7_954:
	s_delay_alu instid0(SALU_CYCLE_1)
	s_or_b32 exec_lo, exec_lo, s1
	global_store_b8 v[4:5], v7, off
.LBB7_955:
	s_mov_b32 s1, 0
.LBB7_956:
	s_delay_alu instid0(SALU_CYCLE_1)
	s_and_b32 vcc_lo, exec_lo, s1
	s_mov_b32 s1, 0
	s_cbranch_vccz .LBB7_996
; %bb.957:
	v_cmp_lt_i16_e32 vcc_lo, 22, v6
	s_mov_b32 s18, -1
	s_cbranch_vccz .LBB7_989
; %bb.958:
	v_cmp_gt_i16_e32 vcc_lo, 24, v6
	s_cbranch_vccnz .LBB7_978
; %bb.959:
	v_cmp_lt_i16_e32 vcc_lo, 24, v6
	s_cbranch_vccz .LBB7_967
; %bb.960:
	v_cvt_f32_f64_e32 v2, v[0:1]
	v_mov_b32_e32 v7, 0x80
	s_mov_b32 s18, exec_lo
	s_delay_alu instid0(VALU_DEP_2) | instskip(NEXT) | instid1(VALU_DEP_1)
	v_and_b32_e32 v3, 0x7fffffff, v2
	v_cmpx_gt_u32_e32 0x47800000, v3
	s_cbranch_execz .LBB7_966
; %bb.961:
	v_cmp_lt_u32_e32 vcc_lo, 0x37ffffff, v3
	s_mov_b32 s19, 0
                                        ; implicit-def: $vgpr3
	s_and_saveexec_b32 s20, vcc_lo
	s_delay_alu instid0(SALU_CYCLE_1)
	s_xor_b32 s20, exec_lo, s20
	s_cbranch_execz .LBB7_1235
; %bb.962:
	v_bfe_u32 v3, v2, 21, 1
	s_mov_b32 s19, exec_lo
	s_delay_alu instid0(VALU_DEP_1) | instskip(NEXT) | instid1(VALU_DEP_1)
	v_add3_u32 v3, v2, v3, 0x88fffff
	v_lshrrev_b32_e32 v3, 21, v3
	s_or_saveexec_b32 s20, s20
                                        ; implicit-def: $sgpr21
	s_delay_alu instid0(SALU_CYCLE_1)
	s_xor_b32 exec_lo, exec_lo, s20
	s_cbranch_execnz .LBB7_1236
.LBB7_963:
	s_or_b32 exec_lo, exec_lo, s20
	v_mov_b32_e32 v7, s21
	s_and_saveexec_b32 s20, s19
.LBB7_964:
	v_lshrrev_b32_e32 v2, 24, v2
	s_delay_alu instid0(VALU_DEP_1)
	v_and_or_b32 v7, 0x80, v2, v3
.LBB7_965:
	s_or_b32 exec_lo, exec_lo, s20
.LBB7_966:
	s_delay_alu instid0(SALU_CYCLE_1)
	s_or_b32 exec_lo, exec_lo, s18
	s_mov_b32 s18, 0
	global_store_b8 v[4:5], v7, off
.LBB7_967:
	s_and_b32 vcc_lo, exec_lo, s18
	s_cbranch_vccz .LBB7_977
; %bb.968:
	v_cvt_f32_f64_e32 v2, v[0:1]
	s_mov_b32 s18, exec_lo
                                        ; implicit-def: $vgpr3
	s_delay_alu instid0(VALU_DEP_1) | instskip(NEXT) | instid1(VALU_DEP_1)
	v_and_b32_e32 v7, 0x7fffffff, v2
	v_cmpx_gt_u32_e32 0x43f00000, v7
	s_xor_b32 s18, exec_lo, s18
	s_cbranch_execz .LBB7_974
; %bb.969:
	s_mov_b32 s19, exec_lo
                                        ; implicit-def: $vgpr3
	v_cmpx_lt_u32_e32 0x3c7fffff, v7
	s_xor_b32 s19, exec_lo, s19
; %bb.970:
	v_bfe_u32 v3, v2, 20, 1
	s_delay_alu instid0(VALU_DEP_1) | instskip(NEXT) | instid1(VALU_DEP_1)
	v_add3_u32 v3, v2, v3, 0x407ffff
	v_and_b32_e32 v7, 0xff00000, v3
	v_lshrrev_b32_e32 v3, 20, v3
	s_delay_alu instid0(VALU_DEP_2) | instskip(NEXT) | instid1(VALU_DEP_2)
	v_cmp_ne_u32_e32 vcc_lo, 0x7f00000, v7
	v_cndmask_b32_e32 v3, 0x7e, v3, vcc_lo
; %bb.971:
	s_and_not1_saveexec_b32 s19, s19
; %bb.972:
	v_add_f32_e64 v3, 0x46800000, |v2|
; %bb.973:
	s_or_b32 exec_lo, exec_lo, s19
                                        ; implicit-def: $vgpr7
.LBB7_974:
	s_and_not1_saveexec_b32 s18, s18
; %bb.975:
	v_mov_b32_e32 v3, 0x7f
	v_cmp_lt_u32_e32 vcc_lo, 0x7f800000, v7
	s_delay_alu instid0(VALU_DEP_2)
	v_cndmask_b32_e32 v3, 0x7e, v3, vcc_lo
; %bb.976:
	s_or_b32 exec_lo, exec_lo, s18
	v_lshrrev_b32_e32 v2, 24, v2
	s_delay_alu instid0(VALU_DEP_1)
	v_and_or_b32 v2, 0x80, v2, v3
	global_store_b8 v[4:5], v2, off
.LBB7_977:
	s_mov_b32 s18, 0
.LBB7_978:
	s_delay_alu instid0(SALU_CYCLE_1)
	s_and_not1_b32 vcc_lo, exec_lo, s18
	s_cbranch_vccnz .LBB7_988
; %bb.979:
	v_cvt_f32_f64_e32 v2, v[0:1]
	s_mov_b32 s18, exec_lo
                                        ; implicit-def: $vgpr3
	s_delay_alu instid0(VALU_DEP_1) | instskip(NEXT) | instid1(VALU_DEP_1)
	v_and_b32_e32 v7, 0x7fffffff, v2
	v_cmpx_gt_u32_e32 0x47800000, v7
	s_xor_b32 s18, exec_lo, s18
	s_cbranch_execz .LBB7_985
; %bb.980:
	s_mov_b32 s19, exec_lo
                                        ; implicit-def: $vgpr3
	v_cmpx_lt_u32_e32 0x387fffff, v7
	s_xor_b32 s19, exec_lo, s19
; %bb.981:
	v_bfe_u32 v3, v2, 21, 1
	s_delay_alu instid0(VALU_DEP_1) | instskip(NEXT) | instid1(VALU_DEP_1)
	v_add3_u32 v3, v2, v3, 0x80fffff
	v_lshrrev_b32_e32 v3, 21, v3
; %bb.982:
	s_and_not1_saveexec_b32 s19, s19
; %bb.983:
	v_add_f32_e64 v3, 0x43000000, |v2|
; %bb.984:
	s_or_b32 exec_lo, exec_lo, s19
                                        ; implicit-def: $vgpr7
.LBB7_985:
	s_and_not1_saveexec_b32 s18, s18
; %bb.986:
	v_mov_b32_e32 v3, 0x7f
	v_cmp_lt_u32_e32 vcc_lo, 0x7f800000, v7
	s_delay_alu instid0(VALU_DEP_2)
	v_cndmask_b32_e32 v3, 0x7c, v3, vcc_lo
; %bb.987:
	s_or_b32 exec_lo, exec_lo, s18
	v_lshrrev_b32_e32 v2, 24, v2
	s_delay_alu instid0(VALU_DEP_1)
	v_and_or_b32 v2, 0x80, v2, v3
	global_store_b8 v[4:5], v2, off
.LBB7_988:
	s_mov_b32 s18, 0
.LBB7_989:
	s_delay_alu instid0(SALU_CYCLE_1)
	s_and_not1_b32 vcc_lo, exec_lo, s18
	s_mov_b32 s18, 0
	s_cbranch_vccnz .LBB7_997
; %bb.990:
	v_cmp_lt_i16_e32 vcc_lo, 14, v6
	s_mov_b32 s18, -1
	s_cbranch_vccz .LBB7_994
; %bb.991:
	v_cmp_eq_u16_e32 vcc_lo, 15, v6
	s_mov_b32 s0, -1
	s_cbranch_vccz .LBB7_993
; %bb.992:
	v_cvt_f32_f64_e32 v2, v[0:1]
	s_mov_b32 s0, 0
	s_delay_alu instid0(VALU_DEP_1) | instskip(SKIP_1) | instid1(VALU_DEP_2)
	v_bfe_u32 v3, v2, 16, 1
	v_cmp_o_f32_e32 vcc_lo, v2, v2
	v_add3_u32 v3, v2, v3, 0x7fff
	s_delay_alu instid0(VALU_DEP_1) | instskip(NEXT) | instid1(VALU_DEP_1)
	v_lshrrev_b32_e32 v3, 16, v3
	v_cndmask_b32_e32 v2, 0x7fc0, v3, vcc_lo
	global_store_b16 v[4:5], v2, off
.LBB7_993:
	s_mov_b32 s18, 0
.LBB7_994:
	s_delay_alu instid0(SALU_CYCLE_1)
	s_and_b32 vcc_lo, exec_lo, s18
	s_mov_b32 s18, 0
	s_cbranch_vccz .LBB7_997
; %bb.995:
	v_cmp_ne_u16_e32 vcc_lo, 11, v6
	s_and_not1_b32 s0, s0, exec_lo
	s_mov_b32 s18, -1
	s_and_b32 s19, vcc_lo, exec_lo
	s_delay_alu instid0(SALU_CYCLE_1)
	s_or_b32 s0, s0, s19
	s_branch .LBB7_997
.LBB7_996:
	s_mov_b32 s18, 0
.LBB7_997:
	s_and_not1_b32 s15, s15, exec_lo
	s_and_b32 s0, s0, exec_lo
	s_and_b32 s1, s1, exec_lo
	;; [unrolled: 1-line block ×3, first 2 shown]
	s_or_b32 s15, s15, s0
.LBB7_998:
	s_or_b32 exec_lo, exec_lo, s17
	s_and_saveexec_b32 s0, s15
	s_cbranch_execnz .LBB7_1060
; %bb.999:
	s_or_b32 exec_lo, exec_lo, s0
	s_and_saveexec_b32 s0, s18
	s_delay_alu instid0(SALU_CYCLE_1)
	s_xor_b32 s0, exec_lo, s0
	s_cbranch_execz .LBB7_1001
.LBB7_1000:
	v_cmp_neq_f64_e32 vcc_lo, 0, v[0:1]
	s_waitcnt vmcnt(0)
	v_cndmask_b32_e64 v2, 0, 1, vcc_lo
	global_store_b8 v[4:5], v2, off
.LBB7_1001:
	s_or_b32 exec_lo, exec_lo, s0
	s_and_saveexec_b32 s0, s1
	s_delay_alu instid0(SALU_CYCLE_1)
	s_xor_b32 s0, exec_lo, s0
	s_cbranch_execz .LBB7_1039
; %bb.1002:
	v_cmp_gt_i16_e32 vcc_lo, 5, v6
	s_mov_b32 s1, -1
	s_cbranch_vccnz .LBB7_1023
; %bb.1003:
	v_cmp_gt_i16_e32 vcc_lo, 8, v6
	s_cbranch_vccnz .LBB7_1013
; %bb.1004:
	v_cmp_gt_i16_e32 vcc_lo, 9, v6
	s_cbranch_vccnz .LBB7_1010
; %bb.1005:
	v_cmp_lt_i16_e32 vcc_lo, 9, v6
	s_cbranch_vccz .LBB7_1007
; %bb.1006:
	s_waitcnt vmcnt(0)
	v_mov_b32_e32 v2, 0
	s_mov_b32 s1, 0
	s_delay_alu instid0(VALU_DEP_1)
	v_mov_b32_e32 v3, v2
	global_store_b128 v[4:5], v[0:3], off
.LBB7_1007:
	s_and_not1_b32 vcc_lo, exec_lo, s1
	s_cbranch_vccnz .LBB7_1009
; %bb.1008:
	s_waitcnt vmcnt(0)
	v_cvt_f32_f64_e32 v2, v[0:1]
	v_mov_b32_e32 v3, 0
	global_store_b64 v[4:5], v[2:3], off
.LBB7_1009:
	s_mov_b32 s1, 0
.LBB7_1010:
	s_delay_alu instid0(SALU_CYCLE_1)
	s_and_not1_b32 vcc_lo, exec_lo, s1
	s_cbranch_vccnz .LBB7_1012
; %bb.1011:
	s_waitcnt vmcnt(0)
	v_cvt_f32_f64_e32 v2, v[0:1]
	s_delay_alu instid0(VALU_DEP_1) | instskip(NEXT) | instid1(VALU_DEP_1)
	v_cvt_f16_f32_e32 v2, v2
	v_and_b32_e32 v2, 0xffff, v2
	global_store_b32 v[4:5], v2, off
.LBB7_1012:
	s_mov_b32 s1, 0
.LBB7_1013:
	s_delay_alu instid0(SALU_CYCLE_1)
	s_and_not1_b32 vcc_lo, exec_lo, s1
	s_cbranch_vccnz .LBB7_1022
; %bb.1014:
	v_cmp_gt_i16_e32 vcc_lo, 6, v6
	s_mov_b32 s1, -1
	s_cbranch_vccnz .LBB7_1020
; %bb.1015:
	v_cmp_lt_i16_e32 vcc_lo, 6, v6
	s_cbranch_vccz .LBB7_1017
; %bb.1016:
	s_mov_b32 s1, 0
	global_store_b64 v[4:5], v[0:1], off
.LBB7_1017:
	s_and_not1_b32 vcc_lo, exec_lo, s1
	s_cbranch_vccnz .LBB7_1019
; %bb.1018:
	s_waitcnt vmcnt(0)
	v_cvt_f32_f64_e32 v2, v[0:1]
	global_store_b32 v[4:5], v2, off
.LBB7_1019:
	s_mov_b32 s1, 0
.LBB7_1020:
	s_delay_alu instid0(SALU_CYCLE_1)
	s_and_not1_b32 vcc_lo, exec_lo, s1
	s_cbranch_vccnz .LBB7_1022
; %bb.1021:
	s_waitcnt vmcnt(0)
	v_cvt_f32_f64_e32 v2, v[0:1]
	s_delay_alu instid0(VALU_DEP_1)
	v_cvt_f16_f32_e32 v2, v2
	global_store_b16 v[4:5], v2, off
.LBB7_1022:
	s_mov_b32 s1, 0
.LBB7_1023:
	s_delay_alu instid0(SALU_CYCLE_1)
	s_and_not1_b32 vcc_lo, exec_lo, s1
	s_cbranch_vccnz .LBB7_1039
; %bb.1024:
	v_cmp_gt_i16_e32 vcc_lo, 2, v6
	s_mov_b32 s1, -1
	s_cbranch_vccnz .LBB7_1034
; %bb.1025:
	v_cmp_gt_i16_e32 vcc_lo, 3, v6
	s_cbranch_vccnz .LBB7_1031
; %bb.1026:
	v_cmp_lt_i16_e32 vcc_lo, 3, v6
	s_cbranch_vccz .LBB7_1028
; %bb.1027:
	s_waitcnt vmcnt(0)
	v_trunc_f64_e32 v[2:3], v[0:1]
	s_mov_b32 s1, 0
	s_delay_alu instid0(VALU_DEP_1) | instskip(NEXT) | instid1(VALU_DEP_1)
	v_ldexp_f64 v[7:8], v[2:3], 0xffffffe0
	v_floor_f64_e32 v[7:8], v[7:8]
	s_delay_alu instid0(VALU_DEP_1) | instskip(SKIP_1) | instid1(VALU_DEP_2)
	v_fma_f64 v[2:3], 0xc1f00000, v[7:8], v[2:3]
	v_cvt_i32_f64_e32 v8, v[7:8]
	v_cvt_u32_f64_e32 v7, v[2:3]
	global_store_b64 v[4:5], v[7:8], off
.LBB7_1028:
	s_and_not1_b32 vcc_lo, exec_lo, s1
	s_cbranch_vccnz .LBB7_1030
; %bb.1029:
	s_waitcnt vmcnt(0)
	v_cvt_i32_f64_e32 v2, v[0:1]
	global_store_b32 v[4:5], v2, off
.LBB7_1030:
	s_mov_b32 s1, 0
.LBB7_1031:
	s_delay_alu instid0(SALU_CYCLE_1)
	s_and_not1_b32 vcc_lo, exec_lo, s1
	s_cbranch_vccnz .LBB7_1033
; %bb.1032:
	s_waitcnt vmcnt(0)
	v_cvt_i32_f64_e32 v2, v[0:1]
	global_store_b16 v[4:5], v2, off
.LBB7_1033:
	s_mov_b32 s1, 0
.LBB7_1034:
	s_delay_alu instid0(SALU_CYCLE_1)
	s_and_not1_b32 vcc_lo, exec_lo, s1
	s_cbranch_vccnz .LBB7_1039
; %bb.1035:
	v_cmp_lt_i16_e32 vcc_lo, 0, v6
	s_mov_b32 s1, -1
	s_cbranch_vccz .LBB7_1037
; %bb.1036:
	s_waitcnt vmcnt(0)
	v_cvt_i32_f64_e32 v2, v[0:1]
	s_mov_b32 s1, 0
	global_store_b8 v[4:5], v2, off
.LBB7_1037:
	s_and_not1_b32 vcc_lo, exec_lo, s1
	s_cbranch_vccnz .LBB7_1039
; %bb.1038:
	v_trunc_f64_e32 v[0:1], v[0:1]
	s_waitcnt vmcnt(0)
	s_delay_alu instid0(VALU_DEP_1) | instskip(NEXT) | instid1(VALU_DEP_1)
	v_ldexp_f64 v[2:3], v[0:1], 0xffffffe0
	v_floor_f64_e32 v[2:3], v[2:3]
	s_delay_alu instid0(VALU_DEP_1) | instskip(NEXT) | instid1(VALU_DEP_1)
	v_fma_f64 v[0:1], 0xc1f00000, v[2:3], v[0:1]
	v_cvt_u32_f64_e32 v0, v[0:1]
	global_store_b8 v[4:5], v0, off
.LBB7_1039:
	s_or_b32 exec_lo, exec_lo, s0
	s_delay_alu instid0(SALU_CYCLE_1)
	s_and_b32 s15, s16, exec_lo
                                        ; implicit-def: $vgpr16
                                        ; implicit-def: $vgpr17
.LBB7_1040:
	s_or_saveexec_b32 s14, s14
	s_mov_b32 s0, 0
                                        ; implicit-def: $vgpr18
                                        ; implicit-def: $vgpr4_vgpr5
                                        ; implicit-def: $vgpr0_vgpr1
	s_xor_b32 exec_lo, exec_lo, s14
	s_cbranch_execz .LBB7_2013
; %bb.1041:
	v_mul_lo_u32 v4, s3, v16
	v_cmp_gt_i16_e32 vcc_lo, 11, v17
	s_and_b32 vcc_lo, exec_lo, vcc_lo
	s_delay_alu instid0(VALU_DEP_2) | instskip(SKIP_2) | instid1(VALU_DEP_1)
	v_ashrrev_i32_e32 v0, 31, v4
	s_waitcnt vmcnt(0)
	v_add_co_u32 v2, s0, s6, v4
	v_add_co_ci_u32_e64 v3, s0, s7, v0, s0
	s_cbranch_vccnz .LBB7_1048
; %bb.1042:
	v_cmp_lt_i16_e32 vcc_lo, 25, v17
	s_mov_b32 s16, 0
	s_cbranch_vccz .LBB7_1054
; %bb.1043:
	v_cmp_lt_i16_e32 vcc_lo, 28, v17
	s_cbranch_vccz .LBB7_1056
; %bb.1044:
	v_cmp_lt_i16_e32 vcc_lo, 43, v17
	;; [unrolled: 3-line block ×3, first 2 shown]
	s_cbranch_vccz .LBB7_1062
; %bb.1046:
	v_cmp_eq_u16_e32 vcc_lo, 46, v17
	s_mov_b32 s1, 0
	s_cbranch_vccz .LBB7_1102
; %bb.1047:
	global_load_b32 v0, v[2:3], off
	s_mov_b32 s0, -1
	s_waitcnt vmcnt(0)
	v_lshlrev_b32_e32 v0, 16, v0
	s_delay_alu instid0(VALU_DEP_1)
	v_cvt_f64_f32_e32 v[0:1], v0
	s_branch .LBB7_1104
.LBB7_1048:
	s_mov_b32 s0, 0
	s_mov_b32 s13, s15
                                        ; implicit-def: $vgpr0_vgpr1
	s_cbranch_execz .LBB7_1167
; %bb.1049:
	v_cmp_gt_i16_e32 vcc_lo, 5, v17
	s_cbranch_vccnz .LBB7_1055
; %bb.1050:
	v_cmp_gt_i16_e32 vcc_lo, 8, v17
	s_cbranch_vccnz .LBB7_1057
	;; [unrolled: 3-line block ×3, first 2 shown]
; %bb.1052:
	v_cmp_lt_i16_e32 vcc_lo, 9, v17
	s_cbranch_vccz .LBB7_1063
; %bb.1053:
	global_load_b64 v[0:1], v[2:3], off
	s_mov_b32 s0, 0
	s_branch .LBB7_1064
.LBB7_1054:
	s_mov_b32 s0, 0
                                        ; implicit-def: $vgpr0_vgpr1
	s_cbranch_execnz .LBB7_1134
	s_branch .LBB7_1163
.LBB7_1055:
                                        ; implicit-def: $vgpr0_vgpr1
	s_branch .LBB7_1081
.LBB7_1056:
	s_mov_b32 s1, -1
	s_mov_b32 s0, 0
                                        ; implicit-def: $vgpr0_vgpr1
	s_branch .LBB7_1113
.LBB7_1057:
                                        ; implicit-def: $vgpr0_vgpr1
	s_branch .LBB7_1070
.LBB7_1058:
	s_mov_b32 s0, 0
                                        ; implicit-def: $vgpr0_vgpr1
	s_cbranch_execnz .LBB7_1109
	s_branch .LBB7_1112
.LBB7_1059:
	s_mov_b32 s0, -1
                                        ; implicit-def: $vgpr0_vgpr1
	s_branch .LBB7_1067
.LBB7_1060:
	s_cbranch_execnz .LBB7_1100
; %bb.1061:
	s_or_b32 s16, s16, exec_lo
	s_and_not1_b32 s18, s18, exec_lo
	s_or_b32 exec_lo, exec_lo, s0
	s_and_saveexec_b32 s0, s18
	s_delay_alu instid0(SALU_CYCLE_1)
	s_xor_b32 s0, exec_lo, s0
	s_cbranch_execnz .LBB7_1000
	s_branch .LBB7_1001
.LBB7_1062:
	s_mov_b32 s1, -1
	s_branch .LBB7_1103
.LBB7_1063:
	s_mov_b32 s0, -1
                                        ; implicit-def: $vgpr0_vgpr1
.LBB7_1064:
	s_delay_alu instid0(SALU_CYCLE_1)
	s_and_not1_b32 vcc_lo, exec_lo, s0
	s_cbranch_vccnz .LBB7_1066
; %bb.1065:
	global_load_b32 v0, v[2:3], off
	s_waitcnt vmcnt(0)
	v_cvt_f64_f32_e32 v[0:1], v0
.LBB7_1066:
	s_mov_b32 s0, 0
.LBB7_1067:
	s_delay_alu instid0(SALU_CYCLE_1)
	s_and_not1_b32 vcc_lo, exec_lo, s0
	s_cbranch_vccnz .LBB7_1069
; %bb.1068:
	global_load_b32 v0, v[2:3], off
	s_waitcnt vmcnt(0)
	v_cvt_f32_f16_e32 v0, v0
	s_delay_alu instid0(VALU_DEP_1)
	v_cvt_f64_f32_e32 v[0:1], v0
.LBB7_1069:
	s_cbranch_execnz .LBB7_1080
.LBB7_1070:
	v_cmp_gt_i16_e32 vcc_lo, 6, v17
	s_cbranch_vccnz .LBB7_1073
; %bb.1071:
	v_cmp_lt_i16_e32 vcc_lo, 6, v17
	s_cbranch_vccz .LBB7_1074
; %bb.1072:
	global_load_b64 v[0:1], v[2:3], off
	s_mov_b32 s0, 0
	s_branch .LBB7_1075
.LBB7_1073:
	s_mov_b32 s0, -1
                                        ; implicit-def: $vgpr0_vgpr1
	s_branch .LBB7_1078
.LBB7_1074:
	s_mov_b32 s0, -1
                                        ; implicit-def: $vgpr0_vgpr1
.LBB7_1075:
	s_delay_alu instid0(SALU_CYCLE_1)
	s_and_not1_b32 vcc_lo, exec_lo, s0
	s_cbranch_vccnz .LBB7_1077
; %bb.1076:
	global_load_b32 v0, v[2:3], off
	s_waitcnt vmcnt(0)
	v_cvt_f64_f32_e32 v[0:1], v0
.LBB7_1077:
	s_mov_b32 s0, 0
.LBB7_1078:
	s_delay_alu instid0(SALU_CYCLE_1)
	s_and_not1_b32 vcc_lo, exec_lo, s0
	s_cbranch_vccnz .LBB7_1080
; %bb.1079:
	global_load_u16 v0, v[2:3], off
	s_waitcnt vmcnt(0)
	v_cvt_f32_f16_e32 v0, v0
	s_delay_alu instid0(VALU_DEP_1)
	v_cvt_f64_f32_e32 v[0:1], v0
.LBB7_1080:
	s_cbranch_execnz .LBB7_1099
.LBB7_1081:
	v_cmp_gt_i16_e32 vcc_lo, 2, v17
	s_cbranch_vccnz .LBB7_1085
; %bb.1082:
	v_cmp_gt_i16_e32 vcc_lo, 3, v17
	s_cbranch_vccnz .LBB7_1086
; %bb.1083:
	v_cmp_lt_i16_e32 vcc_lo, 3, v17
	s_cbranch_vccz .LBB7_1087
; %bb.1084:
	global_load_b64 v[0:1], v[2:3], off
	s_mov_b32 s0, 0
	s_waitcnt vmcnt(0)
	v_cvt_f64_i32_e32 v[5:6], v1
	v_cvt_f64_u32_e32 v[0:1], v0
	s_delay_alu instid0(VALU_DEP_2) | instskip(NEXT) | instid1(VALU_DEP_1)
	v_ldexp_f64 v[5:6], v[5:6], 32
	v_add_f64 v[0:1], v[5:6], v[0:1]
	s_branch .LBB7_1088
.LBB7_1085:
                                        ; implicit-def: $vgpr0_vgpr1
	s_branch .LBB7_1094
.LBB7_1086:
	s_mov_b32 s0, -1
                                        ; implicit-def: $vgpr0_vgpr1
	s_branch .LBB7_1091
.LBB7_1087:
	s_mov_b32 s0, -1
                                        ; implicit-def: $vgpr0_vgpr1
.LBB7_1088:
	s_delay_alu instid0(SALU_CYCLE_1)
	s_and_not1_b32 vcc_lo, exec_lo, s0
	s_cbranch_vccnz .LBB7_1090
; %bb.1089:
	global_load_b32 v0, v[2:3], off
	s_waitcnt vmcnt(0)
	v_cvt_f64_i32_e32 v[0:1], v0
.LBB7_1090:
	s_mov_b32 s0, 0
.LBB7_1091:
	s_delay_alu instid0(SALU_CYCLE_1)
	s_and_not1_b32 vcc_lo, exec_lo, s0
	s_cbranch_vccnz .LBB7_1093
; %bb.1092:
	global_load_i16 v0, v[2:3], off
	s_waitcnt vmcnt(0)
	v_cvt_f64_i32_e32 v[0:1], v0
.LBB7_1093:
	s_cbranch_execnz .LBB7_1099
.LBB7_1094:
	v_cmp_lt_i16_e32 vcc_lo, 0, v17
	s_mov_b32 s0, 0
	s_cbranch_vccz .LBB7_1096
; %bb.1095:
	global_load_i8 v0, v[2:3], off
	s_waitcnt vmcnt(0)
	v_cvt_f64_i32_e32 v[0:1], v0
	s_branch .LBB7_1097
.LBB7_1096:
	s_mov_b32 s0, -1
                                        ; implicit-def: $vgpr0_vgpr1
.LBB7_1097:
	s_delay_alu instid0(SALU_CYCLE_1)
	s_and_not1_b32 vcc_lo, exec_lo, s0
	s_cbranch_vccnz .LBB7_1099
; %bb.1098:
	global_load_u8 v0, v[2:3], off
	s_waitcnt vmcnt(0)
	v_cvt_f64_u32_e32 v[0:1], v0
.LBB7_1099:
                                        ; implicit-def: $vgpr2_vgpr3
	s_branch .LBB7_1168
.LBB7_1100:
	s_trap 2
	s_sendmsg_rtn_b32 s0, sendmsg(MSG_RTN_GET_DOORBELL)
	s_mov_b32 ttmp2, m0
	s_waitcnt lgkmcnt(0)
	s_and_b32 s0, s0, 0x3ff
	s_delay_alu instid0(SALU_CYCLE_1) | instskip(NEXT) | instid1(SALU_CYCLE_1)
	s_bitset1_b32 s0, 10
	s_mov_b32 m0, s0
	s_sendmsg sendmsg(MSG_INTERRUPT)
	s_mov_b32 m0, ttmp2
.LBB7_1101:                             ; =>This Inner Loop Header: Depth=1
	s_sethalt 5
	s_branch .LBB7_1101
.LBB7_1102:
	s_mov_b32 s13, -1
.LBB7_1103:
	s_mov_b32 s0, 0
                                        ; implicit-def: $vgpr0_vgpr1
.LBB7_1104:
	s_and_b32 vcc_lo, exec_lo, s1
	s_cbranch_vccz .LBB7_1107
; %bb.1105:
	v_cmp_eq_u16_e32 vcc_lo, 44, v17
	s_cbranch_vccz .LBB7_1108
; %bb.1106:
	global_load_u8 v5, v[2:3], off
	s_mov_b32 s13, 0
	s_mov_b32 s0, -1
	s_waitcnt vmcnt(0)
	v_lshlrev_b32_e32 v0, 23, v5
	v_cmp_ne_u32_e32 vcc_lo, 0xff, v5
	s_delay_alu instid0(VALU_DEP_2) | instskip(NEXT) | instid1(VALU_DEP_1)
	v_cvt_f64_f32_e32 v[0:1], v0
	v_cndmask_b32_e32 v0, 0x20000000, v0, vcc_lo
	s_delay_alu instid0(VALU_DEP_2) | instskip(SKIP_1) | instid1(VALU_DEP_2)
	v_cndmask_b32_e32 v1, 0x7ff80000, v1, vcc_lo
	v_cmp_ne_u32_e32 vcc_lo, 0, v5
	v_cndmask_b32_e32 v1, 0x38000000, v1, vcc_lo
	s_delay_alu instid0(VALU_DEP_4)
	v_cndmask_b32_e32 v0, 0, v0, vcc_lo
.LBB7_1107:
	s_branch .LBB7_1112
.LBB7_1108:
	s_mov_b32 s13, -1
                                        ; implicit-def: $vgpr0_vgpr1
	s_branch .LBB7_1112
.LBB7_1109:
	v_cmp_eq_u16_e32 vcc_lo, 29, v17
	s_cbranch_vccz .LBB7_1111
; %bb.1110:
	global_load_b64 v[0:1], v[2:3], off
	s_mov_b32 s13, 0
	s_mov_b32 s0, -1
	s_mov_b32 s1, 0
	s_waitcnt vmcnt(0)
	v_cvt_f64_u32_e32 v[5:6], v1
	v_cvt_f64_u32_e32 v[0:1], v0
	s_delay_alu instid0(VALU_DEP_2) | instskip(NEXT) | instid1(VALU_DEP_1)
	v_ldexp_f64 v[5:6], v[5:6], 32
	v_add_f64 v[0:1], v[5:6], v[0:1]
	s_branch .LBB7_1113
.LBB7_1111:
	s_mov_b32 s13, -1
                                        ; implicit-def: $vgpr0_vgpr1
.LBB7_1112:
	s_mov_b32 s1, 0
.LBB7_1113:
	s_delay_alu instid0(SALU_CYCLE_1)
	s_and_b32 vcc_lo, exec_lo, s1
	s_cbranch_vccz .LBB7_1133
; %bb.1114:
	v_cmp_gt_i16_e32 vcc_lo, 27, v17
	s_cbranch_vccnz .LBB7_1117
; %bb.1115:
	v_cmp_lt_i16_e32 vcc_lo, 27, v17
	s_cbranch_vccz .LBB7_1118
; %bb.1116:
	global_load_b32 v0, v[2:3], off
	s_mov_b32 s0, 0
	s_waitcnt vmcnt(0)
	v_cvt_f64_u32_e32 v[0:1], v0
	s_branch .LBB7_1119
.LBB7_1117:
	s_mov_b32 s0, -1
                                        ; implicit-def: $vgpr0_vgpr1
	s_branch .LBB7_1122
.LBB7_1118:
	s_mov_b32 s0, -1
                                        ; implicit-def: $vgpr0_vgpr1
.LBB7_1119:
	s_delay_alu instid0(SALU_CYCLE_1)
	s_and_not1_b32 vcc_lo, exec_lo, s0
	s_cbranch_vccnz .LBB7_1121
; %bb.1120:
	global_load_u16 v0, v[2:3], off
	s_waitcnt vmcnt(0)
	v_cvt_f64_u32_e32 v[0:1], v0
.LBB7_1121:
	s_mov_b32 s0, 0
.LBB7_1122:
	s_delay_alu instid0(SALU_CYCLE_1)
	s_and_not1_b32 vcc_lo, exec_lo, s0
	s_cbranch_vccnz .LBB7_1132
; %bb.1123:
	global_load_u8 v5, v[2:3], off
	s_mov_b32 s17, 0
	s_mov_b32 s18, exec_lo
                                        ; implicit-def: $sgpr0_sgpr1
	s_waitcnt vmcnt(0)
	v_cmpx_lt_i16_e32 0x7f, v5
	s_xor_b32 s18, exec_lo, s18
	s_cbranch_execz .LBB7_1127
; %bb.1124:
	s_mov_b32 s19, -1
	s_mov_b32 s17, exec_lo
                                        ; implicit-def: $sgpr0_sgpr1
	v_cmpx_eq_u16_e32 0x80, v5
; %bb.1125:
	s_mov_b32 s1, 0x7ff80000
	s_brev_b32 s0, 4
	s_xor_b32 s19, exec_lo, -1
; %bb.1126:
	s_or_b32 exec_lo, exec_lo, s17
	s_delay_alu instid0(SALU_CYCLE_1)
	s_and_b32 s17, s19, exec_lo
.LBB7_1127:
	s_or_saveexec_b32 s18, s18
	v_dual_mov_b32 v0, s0 :: v_dual_mov_b32 v1, s1
	s_xor_b32 exec_lo, exec_lo, s18
; %bb.1128:
	v_cmp_ne_u16_e32 vcc_lo, 0, v5
	v_mov_b32_e32 v0, 0
	v_mov_b32_e32 v1, 0
	s_and_not1_b32 s0, s17, exec_lo
	s_and_b32 s1, vcc_lo, exec_lo
	s_delay_alu instid0(SALU_CYCLE_1)
	s_or_b32 s17, s0, s1
; %bb.1129:
	s_or_b32 exec_lo, exec_lo, s18
	s_and_saveexec_b32 s0, s17
	s_cbranch_execz .LBB7_1131
; %bb.1130:
	v_and_b32_e32 v0, 0xffff, v5
	v_lshlrev_b32_e32 v5, 24, v5
	s_delay_alu instid0(VALU_DEP_2) | instskip(NEXT) | instid1(VALU_DEP_2)
	v_and_b32_e32 v1, 7, v0
	v_and_b32_e32 v5, 0x80000000, v5
	s_delay_alu instid0(VALU_DEP_2) | instskip(NEXT) | instid1(VALU_DEP_1)
	v_clz_i32_u32_e32 v6, v1
	v_min_u32_e32 v6, 32, v6
	s_delay_alu instid0(VALU_DEP_1) | instskip(SKIP_1) | instid1(VALU_DEP_2)
	v_subrev_nc_u32_e32 v7, 28, v6
	v_sub_nc_u32_e32 v6, 29, v6
	v_lshlrev_b32_e32 v7, v7, v0
	v_bfe_u32 v0, v0, 3, 4
	s_delay_alu instid0(VALU_DEP_2) | instskip(NEXT) | instid1(VALU_DEP_2)
	v_and_b32_e32 v7, 7, v7
	v_cmp_eq_u32_e32 vcc_lo, 0, v0
	s_delay_alu instid0(VALU_DEP_2) | instskip(NEXT) | instid1(VALU_DEP_1)
	v_dual_cndmask_b32 v0, v0, v6 :: v_dual_cndmask_b32 v1, v1, v7
	v_lshl_add_u32 v0, v0, 23, 0x3b800000
	s_delay_alu instid0(VALU_DEP_2) | instskip(NEXT) | instid1(VALU_DEP_1)
	v_lshlrev_b32_e32 v1, 20, v1
	v_or3_b32 v0, v5, v0, v1
	s_delay_alu instid0(VALU_DEP_1)
	v_cvt_f64_f32_e32 v[0:1], v0
.LBB7_1131:
	s_or_b32 exec_lo, exec_lo, s0
.LBB7_1132:
	s_mov_b32 s0, -1
.LBB7_1133:
	s_branch .LBB7_1163
.LBB7_1134:
	v_cmp_lt_i16_e32 vcc_lo, 22, v17
	s_cbranch_vccz .LBB7_1146
; %bb.1135:
	v_cmp_gt_i16_e32 vcc_lo, 24, v17
	s_cbranch_vccnz .LBB7_1147
; %bb.1136:
	v_cmp_lt_i16_e32 vcc_lo, 24, v17
	s_cbranch_vccz .LBB7_1148
; %bb.1137:
	global_load_u8 v5, v[2:3], off
	s_mov_b32 s17, exec_lo
                                        ; implicit-def: $sgpr0_sgpr1
	s_waitcnt vmcnt(0)
	v_cmpx_lt_i16_e32 0x7f, v5
	s_xor_b32 s17, exec_lo, s17
	s_cbranch_execz .LBB7_1141
; %bb.1138:
	s_mov_b32 s18, -1
	s_mov_b32 s16, exec_lo
                                        ; implicit-def: $sgpr0_sgpr1
	v_cmpx_eq_u16_e32 0x80, v5
; %bb.1139:
	s_mov_b32 s1, 0x7ff80000
	s_brev_b32 s0, 4
	s_xor_b32 s18, exec_lo, -1
; %bb.1140:
	s_or_b32 exec_lo, exec_lo, s16
	s_delay_alu instid0(SALU_CYCLE_1)
	s_and_b32 s16, s18, exec_lo
.LBB7_1141:
	s_or_saveexec_b32 s17, s17
	v_dual_mov_b32 v0, s0 :: v_dual_mov_b32 v1, s1
	s_xor_b32 exec_lo, exec_lo, s17
; %bb.1142:
	v_cmp_ne_u16_e32 vcc_lo, 0, v5
	v_mov_b32_e32 v0, 0
	v_mov_b32_e32 v1, 0
	s_and_not1_b32 s0, s16, exec_lo
	s_and_b32 s1, vcc_lo, exec_lo
	s_delay_alu instid0(SALU_CYCLE_1)
	s_or_b32 s16, s0, s1
; %bb.1143:
	s_or_b32 exec_lo, exec_lo, s17
	s_and_saveexec_b32 s0, s16
	s_cbranch_execz .LBB7_1145
; %bb.1144:
	v_and_b32_e32 v0, 0xffff, v5
	v_lshlrev_b32_e32 v5, 24, v5
	s_delay_alu instid0(VALU_DEP_2) | instskip(NEXT) | instid1(VALU_DEP_2)
	v_and_b32_e32 v1, 3, v0
	v_and_b32_e32 v5, 0x80000000, v5
	s_delay_alu instid0(VALU_DEP_2) | instskip(NEXT) | instid1(VALU_DEP_1)
	v_clz_i32_u32_e32 v6, v1
	v_min_u32_e32 v6, 32, v6
	s_delay_alu instid0(VALU_DEP_1) | instskip(SKIP_1) | instid1(VALU_DEP_2)
	v_subrev_nc_u32_e32 v7, 29, v6
	v_sub_nc_u32_e32 v6, 30, v6
	v_lshlrev_b32_e32 v7, v7, v0
	v_bfe_u32 v0, v0, 2, 5
	s_delay_alu instid0(VALU_DEP_2) | instskip(NEXT) | instid1(VALU_DEP_2)
	v_and_b32_e32 v7, 3, v7
	v_cmp_eq_u32_e32 vcc_lo, 0, v0
	s_delay_alu instid0(VALU_DEP_2) | instskip(NEXT) | instid1(VALU_DEP_1)
	v_dual_cndmask_b32 v0, v0, v6 :: v_dual_cndmask_b32 v1, v1, v7
	v_lshl_add_u32 v0, v0, 23, 0x37800000
	s_delay_alu instid0(VALU_DEP_2) | instskip(NEXT) | instid1(VALU_DEP_1)
	v_lshlrev_b32_e32 v1, 21, v1
	v_or3_b32 v0, v5, v0, v1
	s_delay_alu instid0(VALU_DEP_1)
	v_cvt_f64_f32_e32 v[0:1], v0
.LBB7_1145:
	s_or_b32 exec_lo, exec_lo, s0
	s_mov_b32 s0, 0
	s_branch .LBB7_1149
.LBB7_1146:
                                        ; implicit-def: $vgpr0_vgpr1
	s_mov_b32 s16, 0
	s_branch .LBB7_1155
.LBB7_1147:
	s_mov_b32 s0, -1
                                        ; implicit-def: $vgpr0_vgpr1
	s_branch .LBB7_1152
.LBB7_1148:
	s_mov_b32 s0, -1
                                        ; implicit-def: $vgpr0_vgpr1
.LBB7_1149:
	s_delay_alu instid0(SALU_CYCLE_1)
	s_and_b32 vcc_lo, exec_lo, s0
	s_cbranch_vccz .LBB7_1151
; %bb.1150:
	global_load_u8 v0, v[2:3], off
	s_waitcnt vmcnt(0)
	v_lshlrev_b32_e32 v0, 24, v0
	s_delay_alu instid0(VALU_DEP_1) | instskip(NEXT) | instid1(VALU_DEP_1)
	v_and_b32_e32 v1, 0x7f000000, v0
	v_clz_i32_u32_e32 v5, v1
	v_add_nc_u32_e32 v7, 0x1000000, v1
	v_cmp_ne_u32_e32 vcc_lo, 0, v1
	s_delay_alu instid0(VALU_DEP_3) | instskip(NEXT) | instid1(VALU_DEP_1)
	v_min_u32_e32 v5, 32, v5
	v_sub_nc_u32_e64 v5, v5, 4 clamp
	s_delay_alu instid0(VALU_DEP_1) | instskip(SKIP_1) | instid1(VALU_DEP_2)
	v_lshlrev_b32_e32 v6, v5, v1
	v_lshlrev_b32_e32 v5, 23, v5
	v_lshrrev_b32_e32 v6, 4, v6
	s_delay_alu instid0(VALU_DEP_1) | instskip(SKIP_1) | instid1(VALU_DEP_2)
	v_sub_nc_u32_e32 v5, v6, v5
	v_ashrrev_i32_e32 v6, 8, v7
	v_add_nc_u32_e32 v5, 0x3c000000, v5
	s_delay_alu instid0(VALU_DEP_1) | instskip(NEXT) | instid1(VALU_DEP_1)
	v_and_or_b32 v5, 0x7f800000, v6, v5
	v_cndmask_b32_e32 v1, 0, v5, vcc_lo
	s_delay_alu instid0(VALU_DEP_1) | instskip(NEXT) | instid1(VALU_DEP_1)
	v_and_or_b32 v0, 0x80000000, v0, v1
	v_cvt_f64_f32_e32 v[0:1], v0
.LBB7_1151:
	s_mov_b32 s0, 0
.LBB7_1152:
	s_delay_alu instid0(SALU_CYCLE_1)
	s_and_not1_b32 vcc_lo, exec_lo, s0
	s_cbranch_vccnz .LBB7_1154
; %bb.1153:
	global_load_u8 v0, v[2:3], off
	s_waitcnt vmcnt(0)
	v_lshlrev_b32_e32 v1, 25, v0
	v_lshlrev_b16 v0, 8, v0
	s_delay_alu instid0(VALU_DEP_1) | instskip(SKIP_1) | instid1(VALU_DEP_2)
	v_and_or_b32 v6, 0x7f00, v0, 0.5
	v_bfe_i32 v0, v0, 0, 16
	v_add_f32_e32 v6, -0.5, v6
	v_lshrrev_b32_e32 v5, 4, v1
	v_cmp_gt_u32_e32 vcc_lo, 0x8000000, v1
	s_delay_alu instid0(VALU_DEP_2) | instskip(NEXT) | instid1(VALU_DEP_1)
	v_or_b32_e32 v5, 0x70000000, v5
	v_mul_f32_e32 v5, 0x7800000, v5
	s_delay_alu instid0(VALU_DEP_1) | instskip(NEXT) | instid1(VALU_DEP_1)
	v_cndmask_b32_e32 v1, v5, v6, vcc_lo
	v_and_or_b32 v0, 0x80000000, v0, v1
	s_delay_alu instid0(VALU_DEP_1)
	v_cvt_f64_f32_e32 v[0:1], v0
.LBB7_1154:
	s_mov_b32 s0, -1
	s_mov_b32 s16, 0
	s_cbranch_execnz .LBB7_1163
.LBB7_1155:
	v_cmp_lt_i16_e32 vcc_lo, 14, v17
	s_cbranch_vccz .LBB7_1158
; %bb.1156:
	v_cmp_eq_u16_e32 vcc_lo, 15, v17
	s_cbranch_vccz .LBB7_1159
; %bb.1157:
	global_load_u16 v0, v[2:3], off
	s_mov_b32 s13, 0
	s_mov_b32 s0, -1
	s_waitcnt vmcnt(0)
	v_lshlrev_b32_e32 v0, 16, v0
	s_delay_alu instid0(VALU_DEP_1)
	v_cvt_f64_f32_e32 v[0:1], v0
	s_branch .LBB7_1160
.LBB7_1158:
	s_mov_b32 s1, -1
                                        ; implicit-def: $vgpr0_vgpr1
	s_branch .LBB7_1161
.LBB7_1159:
	s_mov_b32 s13, -1
                                        ; implicit-def: $vgpr0_vgpr1
.LBB7_1160:
	s_mov_b32 s1, 0
.LBB7_1161:
	s_delay_alu instid0(SALU_CYCLE_1)
	s_and_b32 vcc_lo, exec_lo, s1
	s_cbranch_vccz .LBB7_1163
; %bb.1162:
	v_cmp_ne_u16_e64 s13, 11, v17
	s_mov_b32 s16, -1
                                        ; implicit-def: $vgpr0_vgpr1
.LBB7_1163:
	s_delay_alu instid0(VALU_DEP_1)
	s_and_b32 vcc_lo, exec_lo, s13
	s_mov_b32 s13, s15
	s_cbranch_vccnz .LBB7_1189
; %bb.1164:
	s_and_not1_b32 vcc_lo, exec_lo, s16
	s_cbranch_vccnz .LBB7_1166
.LBB7_1165:
	global_load_u8 v0, v[2:3], off
	s_mov_b32 s0, -1
	s_waitcnt vmcnt(0)
	v_cmp_ne_u16_e32 vcc_lo, 0, v0
	v_mov_b32_e32 v0, 0
	v_cndmask_b32_e64 v1, 0, 0x3ff00000, vcc_lo
.LBB7_1166:
.LBB7_1167:
	s_and_not1_b32 vcc_lo, exec_lo, s0
                                        ; implicit-def: $vgpr2_vgpr3
	s_cbranch_vccnz .LBB7_2011
.LBB7_1168:
	s_waitcnt vmcnt(0)
	s_delay_alu instid0(VALU_DEP_1) | instskip(SKIP_1) | instid1(VALU_DEP_1)
	v_cvt_f32_f64_e32 v2, v[0:1]
	s_mov_b32 s0, exec_lo
	v_cmpx_nlg_f32_e64 0x7f800000, |v2|
	s_cbranch_execz .LBB7_1170
; %bb.1169:
	v_dual_mov_b32 v2, 0 :: v_dual_mov_b32 v3, 1.0
	global_store_b32 v2, v3, s[8:9]
.LBB7_1170:
	s_or_b32 exec_lo, exec_lo, s0
	v_mov_b32_e32 v2, 0
	s_lshl_b32 s3, s3, 7
	v_cmp_gt_i16_e32 vcc_lo, 11, v17
	v_add_nc_u32_e32 v6, s3, v4
	global_load_b32 v19, v2, s[10:11]
	v_ashrrev_i32_e32 v3, 31, v6
	v_add_co_u32 v2, s0, s6, v6
	s_delay_alu instid0(VALU_DEP_1)
	v_add_co_ci_u32_e64 v3, s0, s7, v3, s0
	s_cbranch_vccnz .LBB7_1177
; %bb.1171:
	v_cmp_lt_i16_e32 vcc_lo, 25, v17
	s_mov_b32 s17, 0
	s_cbranch_vccz .LBB7_1183
; %bb.1172:
	v_cmp_lt_i16_e32 vcc_lo, 28, v17
	s_cbranch_vccz .LBB7_1185
; %bb.1173:
	v_cmp_lt_i16_e32 vcc_lo, 43, v17
	;; [unrolled: 3-line block ×3, first 2 shown]
	s_cbranch_vccz .LBB7_1193
; %bb.1175:
	v_cmp_eq_u16_e32 vcc_lo, 46, v17
	s_mov_b32 s1, 0
	s_cbranch_vccz .LBB7_1237
; %bb.1176:
	global_load_b32 v4, v[2:3], off
	s_mov_b32 s16, 0
	s_mov_b32 s0, -1
	s_waitcnt vmcnt(0)
	v_lshlrev_b32_e32 v4, 16, v4
	s_delay_alu instid0(VALU_DEP_1)
	v_cvt_f64_f32_e32 v[4:5], v4
	s_branch .LBB7_1239
.LBB7_1177:
	s_mov_b32 s0, 0
                                        ; implicit-def: $vgpr4_vgpr5
	s_cbranch_execz .LBB7_1304
; %bb.1178:
	v_cmp_gt_i16_e32 vcc_lo, 5, v17
	s_cbranch_vccnz .LBB7_1184
; %bb.1179:
	v_cmp_gt_i16_e32 vcc_lo, 8, v17
	s_cbranch_vccnz .LBB7_1186
	;; [unrolled: 3-line block ×3, first 2 shown]
; %bb.1181:
	v_cmp_lt_i16_e32 vcc_lo, 9, v17
	s_cbranch_vccz .LBB7_1194
; %bb.1182:
	global_load_b64 v[4:5], v[2:3], off
	s_mov_b32 s0, 0
	s_branch .LBB7_1195
.LBB7_1183:
	s_mov_b32 s0, 0
	s_mov_b32 s16, 0
                                        ; implicit-def: $vgpr4_vgpr5
	s_cbranch_execnz .LBB7_1270
	s_branch .LBB7_1300
.LBB7_1184:
                                        ; implicit-def: $vgpr4_vgpr5
	s_branch .LBB7_1213
.LBB7_1185:
	s_mov_b32 s1, -1
	s_mov_b32 s0, 0
	s_mov_b32 s16, 0
                                        ; implicit-def: $vgpr4_vgpr5
	s_branch .LBB7_1249
.LBB7_1186:
	s_mov_b32 s0, -1
                                        ; implicit-def: $vgpr4_vgpr5
	s_branch .LBB7_1201
.LBB7_1187:
	s_mov_b32 s1, -1
	s_mov_b32 s0, 0
	s_mov_b32 s16, 0
                                        ; implicit-def: $vgpr4_vgpr5
	s_branch .LBB7_1244
.LBB7_1188:
	s_mov_b32 s0, -1
                                        ; implicit-def: $vgpr4_vgpr5
	s_branch .LBB7_1198
.LBB7_1189:
	s_cbranch_execnz .LBB7_1233
; %bb.1190:
	s_or_b32 s13, s15, exec_lo
                                        ; implicit-def: $vgpr0_vgpr1
	s_cbranch_execz .LBB7_1165
	s_branch .LBB7_1166
.LBB7_1191:
	s_or_saveexec_b32 s19, s19
                                        ; implicit-def: $sgpr20
	s_delay_alu instid0(SALU_CYCLE_1)
	s_xor_b32 exec_lo, exec_lo, s19
	s_cbranch_execz .LBB7_951
.LBB7_1192:
	v_add_f32_e64 v3, 0x46000000, |v2|
	s_and_not1_b32 s18, s18, exec_lo
	s_mov_b32 s20, 0
	s_delay_alu instid0(VALU_DEP_1) | instskip(NEXT) | instid1(VALU_DEP_1)
	v_and_b32_e32 v3, 0xff, v3
	v_cmp_ne_u32_e32 vcc_lo, 0, v3
	s_and_b32 s21, vcc_lo, exec_lo
	s_delay_alu instid0(SALU_CYCLE_1)
	s_or_b32 s18, s18, s21
	s_or_b32 exec_lo, exec_lo, s19
	v_mov_b32_e32 v7, s20
	s_and_saveexec_b32 s19, s18
	s_cbranch_execnz .LBB7_952
	s_branch .LBB7_953
.LBB7_1193:
	s_mov_b32 s1, -1
	s_mov_b32 s0, 0
	s_mov_b32 s16, 0
	s_branch .LBB7_1238
.LBB7_1194:
	s_mov_b32 s0, -1
                                        ; implicit-def: $vgpr4_vgpr5
.LBB7_1195:
	s_delay_alu instid0(SALU_CYCLE_1)
	s_and_not1_b32 vcc_lo, exec_lo, s0
	s_cbranch_vccnz .LBB7_1197
; %bb.1196:
	global_load_b32 v4, v[2:3], off
	s_waitcnt vmcnt(0)
	v_cvt_f64_f32_e32 v[4:5], v4
.LBB7_1197:
	s_mov_b32 s0, 0
.LBB7_1198:
	s_delay_alu instid0(SALU_CYCLE_1)
	s_and_not1_b32 vcc_lo, exec_lo, s0
	s_cbranch_vccnz .LBB7_1200
; %bb.1199:
	global_load_b32 v4, v[2:3], off
	s_waitcnt vmcnt(0)
	v_cvt_f32_f16_e32 v4, v4
	s_delay_alu instid0(VALU_DEP_1)
	v_cvt_f64_f32_e32 v[4:5], v4
.LBB7_1200:
	s_mov_b32 s0, 0
.LBB7_1201:
	s_delay_alu instid0(SALU_CYCLE_1)
	s_and_not1_b32 vcc_lo, exec_lo, s0
	s_cbranch_vccnz .LBB7_1212
; %bb.1202:
	v_cmp_gt_i16_e32 vcc_lo, 6, v17
	s_cbranch_vccnz .LBB7_1205
; %bb.1203:
	v_cmp_lt_i16_e32 vcc_lo, 6, v17
	s_cbranch_vccz .LBB7_1206
; %bb.1204:
	global_load_b64 v[4:5], v[2:3], off
	s_mov_b32 s0, 0
	s_branch .LBB7_1207
.LBB7_1205:
	s_mov_b32 s0, -1
                                        ; implicit-def: $vgpr4_vgpr5
	s_branch .LBB7_1210
.LBB7_1206:
	s_mov_b32 s0, -1
                                        ; implicit-def: $vgpr4_vgpr5
.LBB7_1207:
	s_delay_alu instid0(SALU_CYCLE_1)
	s_and_not1_b32 vcc_lo, exec_lo, s0
	s_cbranch_vccnz .LBB7_1209
; %bb.1208:
	global_load_b32 v4, v[2:3], off
	s_waitcnt vmcnt(0)
	v_cvt_f64_f32_e32 v[4:5], v4
.LBB7_1209:
	s_mov_b32 s0, 0
.LBB7_1210:
	s_delay_alu instid0(SALU_CYCLE_1)
	s_and_not1_b32 vcc_lo, exec_lo, s0
	s_cbranch_vccnz .LBB7_1212
; %bb.1211:
	global_load_u16 v4, v[2:3], off
	s_waitcnt vmcnt(0)
	v_cvt_f32_f16_e32 v4, v4
	s_delay_alu instid0(VALU_DEP_1)
	v_cvt_f64_f32_e32 v[4:5], v4
.LBB7_1212:
	s_cbranch_execnz .LBB7_1232
.LBB7_1213:
	v_cmp_gt_i16_e32 vcc_lo, 2, v17
	s_cbranch_vccnz .LBB7_1217
; %bb.1214:
	v_cmp_gt_i16_e32 vcc_lo, 3, v17
	s_cbranch_vccnz .LBB7_1218
; %bb.1215:
	v_cmp_lt_i16_e32 vcc_lo, 3, v17
	s_cbranch_vccz .LBB7_1219
; %bb.1216:
	global_load_b64 v[4:5], v[2:3], off
	s_mov_b32 s0, 0
	s_waitcnt vmcnt(0)
	v_cvt_f64_i32_e32 v[7:8], v5
	v_cvt_f64_u32_e32 v[4:5], v4
	s_delay_alu instid0(VALU_DEP_2) | instskip(NEXT) | instid1(VALU_DEP_1)
	v_ldexp_f64 v[7:8], v[7:8], 32
	v_add_f64 v[4:5], v[7:8], v[4:5]
	s_branch .LBB7_1220
.LBB7_1217:
	s_mov_b32 s0, -1
                                        ; implicit-def: $vgpr4_vgpr5
	s_branch .LBB7_1226
.LBB7_1218:
	s_mov_b32 s0, -1
                                        ; implicit-def: $vgpr4_vgpr5
	s_branch .LBB7_1223
.LBB7_1219:
	s_mov_b32 s0, -1
                                        ; implicit-def: $vgpr4_vgpr5
.LBB7_1220:
	s_delay_alu instid0(SALU_CYCLE_1)
	s_and_not1_b32 vcc_lo, exec_lo, s0
	s_cbranch_vccnz .LBB7_1222
; %bb.1221:
	global_load_b32 v4, v[2:3], off
	s_waitcnt vmcnt(0)
	v_cvt_f64_i32_e32 v[4:5], v4
.LBB7_1222:
	s_mov_b32 s0, 0
.LBB7_1223:
	s_delay_alu instid0(SALU_CYCLE_1)
	s_and_not1_b32 vcc_lo, exec_lo, s0
	s_cbranch_vccnz .LBB7_1225
; %bb.1224:
	global_load_i16 v4, v[2:3], off
	s_waitcnt vmcnt(0)
	v_cvt_f64_i32_e32 v[4:5], v4
.LBB7_1225:
	s_mov_b32 s0, 0
.LBB7_1226:
	s_delay_alu instid0(SALU_CYCLE_1)
	s_and_not1_b32 vcc_lo, exec_lo, s0
	s_cbranch_vccnz .LBB7_1232
; %bb.1227:
	v_cmp_lt_i16_e32 vcc_lo, 0, v17
	s_mov_b32 s0, 0
	s_cbranch_vccz .LBB7_1229
; %bb.1228:
	global_load_i8 v4, v[2:3], off
	s_waitcnt vmcnt(0)
	v_cvt_f64_i32_e32 v[4:5], v4
	s_branch .LBB7_1230
.LBB7_1229:
	s_mov_b32 s0, -1
                                        ; implicit-def: $vgpr4_vgpr5
.LBB7_1230:
	s_delay_alu instid0(SALU_CYCLE_1)
	s_and_not1_b32 vcc_lo, exec_lo, s0
	s_cbranch_vccnz .LBB7_1232
; %bb.1231:
	global_load_u8 v2, v[2:3], off
	s_waitcnt vmcnt(0)
	v_cvt_f64_u32_e32 v[4:5], v2
.LBB7_1232:
	s_branch .LBB7_1305
.LBB7_1233:
	s_trap 2
	s_sendmsg_rtn_b32 s0, sendmsg(MSG_RTN_GET_DOORBELL)
	s_mov_b32 ttmp2, m0
	s_waitcnt lgkmcnt(0)
	s_and_b32 s0, s0, 0x3ff
	s_delay_alu instid0(SALU_CYCLE_1) | instskip(NEXT) | instid1(SALU_CYCLE_1)
	s_bitset1_b32 s0, 10
	s_mov_b32 m0, s0
	s_sendmsg sendmsg(MSG_INTERRUPT)
	s_mov_b32 m0, ttmp2
.LBB7_1234:                             ; =>This Inner Loop Header: Depth=1
	s_sethalt 5
	s_branch .LBB7_1234
.LBB7_1235:
	s_or_saveexec_b32 s20, s20
                                        ; implicit-def: $sgpr21
	s_delay_alu instid0(SALU_CYCLE_1)
	s_xor_b32 exec_lo, exec_lo, s20
	s_cbranch_execz .LBB7_963
.LBB7_1236:
	v_add_f32_e64 v3, 0x42800000, |v2|
	s_and_not1_b32 s19, s19, exec_lo
	s_mov_b32 s21, 0
	s_delay_alu instid0(VALU_DEP_1) | instskip(NEXT) | instid1(VALU_DEP_1)
	v_and_b32_e32 v3, 0xff, v3
	v_cmp_ne_u32_e32 vcc_lo, 0, v3
	s_and_b32 s22, vcc_lo, exec_lo
	s_delay_alu instid0(SALU_CYCLE_1)
	s_or_b32 s19, s19, s22
	s_or_b32 exec_lo, exec_lo, s20
	v_mov_b32_e32 v7, s21
	s_and_saveexec_b32 s20, s19
	s_cbranch_execnz .LBB7_964
	s_branch .LBB7_965
.LBB7_1237:
	s_mov_b32 s16, -1
	s_mov_b32 s0, 0
.LBB7_1238:
                                        ; implicit-def: $vgpr4_vgpr5
.LBB7_1239:
	s_and_b32 vcc_lo, exec_lo, s1
	s_cbranch_vccz .LBB7_1243
; %bb.1240:
	v_cmp_eq_u16_e32 vcc_lo, 44, v17
	s_cbranch_vccz .LBB7_1242
; %bb.1241:
	global_load_u8 v7, v[2:3], off
	s_mov_b32 s16, 0
	s_mov_b32 s0, -1
	s_waitcnt vmcnt(0)
	v_cmp_ne_u32_e32 vcc_lo, 0xff, v7
	v_lshlrev_b32_e32 v4, 23, v7
	s_delay_alu instid0(VALU_DEP_1) | instskip(NEXT) | instid1(VALU_DEP_1)
	v_cvt_f64_f32_e32 v[4:5], v4
	v_cndmask_b32_e32 v5, 0x7ff80000, v5, vcc_lo
	s_delay_alu instid0(VALU_DEP_2) | instskip(SKIP_1) | instid1(VALU_DEP_3)
	v_cndmask_b32_e32 v4, 0x20000000, v4, vcc_lo
	v_cmp_ne_u32_e32 vcc_lo, 0, v7
	v_cndmask_b32_e32 v5, 0x38000000, v5, vcc_lo
	s_delay_alu instid0(VALU_DEP_3)
	v_cndmask_b32_e32 v4, 0, v4, vcc_lo
	s_branch .LBB7_1243
.LBB7_1242:
	s_mov_b32 s16, -1
                                        ; implicit-def: $vgpr4_vgpr5
.LBB7_1243:
	s_mov_b32 s1, 0
.LBB7_1244:
	s_delay_alu instid0(SALU_CYCLE_1)
	s_and_b32 vcc_lo, exec_lo, s1
	s_cbranch_vccz .LBB7_1248
; %bb.1245:
	v_cmp_eq_u16_e32 vcc_lo, 29, v17
	s_cbranch_vccz .LBB7_1247
; %bb.1246:
	global_load_b64 v[4:5], v[2:3], off
	s_mov_b32 s16, 0
	s_mov_b32 s0, -1
	s_mov_b32 s1, 0
	s_waitcnt vmcnt(0)
	v_cvt_f64_u32_e32 v[7:8], v5
	v_cvt_f64_u32_e32 v[4:5], v4
	s_delay_alu instid0(VALU_DEP_2) | instskip(NEXT) | instid1(VALU_DEP_1)
	v_ldexp_f64 v[7:8], v[7:8], 32
	v_add_f64 v[4:5], v[7:8], v[4:5]
	s_branch .LBB7_1249
.LBB7_1247:
	s_mov_b32 s16, -1
                                        ; implicit-def: $vgpr4_vgpr5
.LBB7_1248:
	s_mov_b32 s1, 0
.LBB7_1249:
	s_delay_alu instid0(SALU_CYCLE_1)
	s_and_b32 vcc_lo, exec_lo, s1
	s_cbranch_vccz .LBB7_1269
; %bb.1250:
	v_cmp_gt_i16_e32 vcc_lo, 27, v17
	s_cbranch_vccnz .LBB7_1253
; %bb.1251:
	v_cmp_lt_i16_e32 vcc_lo, 27, v17
	s_cbranch_vccz .LBB7_1254
; %bb.1252:
	global_load_b32 v4, v[2:3], off
	s_mov_b32 s0, 0
	s_waitcnt vmcnt(0)
	v_cvt_f64_u32_e32 v[4:5], v4
	s_branch .LBB7_1255
.LBB7_1253:
	s_mov_b32 s0, -1
                                        ; implicit-def: $vgpr4_vgpr5
	s_branch .LBB7_1258
.LBB7_1254:
	s_mov_b32 s0, -1
                                        ; implicit-def: $vgpr4_vgpr5
.LBB7_1255:
	s_delay_alu instid0(SALU_CYCLE_1)
	s_and_not1_b32 vcc_lo, exec_lo, s0
	s_cbranch_vccnz .LBB7_1257
; %bb.1256:
	global_load_u16 v4, v[2:3], off
	s_waitcnt vmcnt(0)
	v_cvt_f64_u32_e32 v[4:5], v4
.LBB7_1257:
	s_mov_b32 s0, 0
.LBB7_1258:
	s_delay_alu instid0(SALU_CYCLE_1)
	s_and_not1_b32 vcc_lo, exec_lo, s0
	s_cbranch_vccnz .LBB7_1268
; %bb.1259:
	global_load_u8 v7, v[2:3], off
	s_mov_b32 s18, 0
	s_mov_b32 s19, exec_lo
                                        ; implicit-def: $sgpr0_sgpr1
	s_waitcnt vmcnt(0)
	v_cmpx_lt_i16_e32 0x7f, v7
	s_xor_b32 s19, exec_lo, s19
	s_cbranch_execz .LBB7_1263
; %bb.1260:
	s_mov_b32 s20, -1
	s_mov_b32 s18, exec_lo
                                        ; implicit-def: $sgpr0_sgpr1
	v_cmpx_eq_u16_e32 0x80, v7
; %bb.1261:
	s_mov_b32 s1, 0x7ff80000
	s_brev_b32 s0, 4
	s_xor_b32 s20, exec_lo, -1
; %bb.1262:
	s_or_b32 exec_lo, exec_lo, s18
	s_delay_alu instid0(SALU_CYCLE_1)
	s_and_b32 s18, s20, exec_lo
.LBB7_1263:
	s_or_saveexec_b32 s19, s19
	v_dual_mov_b32 v5, s1 :: v_dual_mov_b32 v4, s0
	s_xor_b32 exec_lo, exec_lo, s19
; %bb.1264:
	v_cmp_ne_u16_e32 vcc_lo, 0, v7
	v_mov_b32_e32 v4, 0
	v_mov_b32_e32 v5, 0
	s_and_not1_b32 s0, s18, exec_lo
	s_and_b32 s1, vcc_lo, exec_lo
	s_delay_alu instid0(SALU_CYCLE_1)
	s_or_b32 s18, s0, s1
; %bb.1265:
	s_or_b32 exec_lo, exec_lo, s19
	s_and_saveexec_b32 s0, s18
	s_cbranch_execz .LBB7_1267
; %bb.1266:
	v_and_b32_e32 v4, 0xffff, v7
	v_lshlrev_b32_e32 v7, 24, v7
	s_delay_alu instid0(VALU_DEP_2) | instskip(NEXT) | instid1(VALU_DEP_2)
	v_and_b32_e32 v5, 7, v4
	v_and_b32_e32 v7, 0x80000000, v7
	s_delay_alu instid0(VALU_DEP_2) | instskip(NEXT) | instid1(VALU_DEP_1)
	v_clz_i32_u32_e32 v8, v5
	v_min_u32_e32 v8, 32, v8
	s_delay_alu instid0(VALU_DEP_1) | instskip(SKIP_1) | instid1(VALU_DEP_2)
	v_subrev_nc_u32_e32 v9, 28, v8
	v_sub_nc_u32_e32 v8, 29, v8
	v_lshlrev_b32_e32 v9, v9, v4
	v_bfe_u32 v4, v4, 3, 4
	s_delay_alu instid0(VALU_DEP_1) | instskip(NEXT) | instid1(VALU_DEP_3)
	v_cmp_eq_u32_e32 vcc_lo, 0, v4
	v_dual_cndmask_b32 v4, v4, v8 :: v_dual_and_b32 v9, 7, v9
	s_delay_alu instid0(VALU_DEP_1) | instskip(NEXT) | instid1(VALU_DEP_2)
	v_cndmask_b32_e32 v5, v5, v9, vcc_lo
	v_lshl_add_u32 v4, v4, 23, 0x3b800000
	s_delay_alu instid0(VALU_DEP_2) | instskip(NEXT) | instid1(VALU_DEP_1)
	v_lshlrev_b32_e32 v5, 20, v5
	v_or3_b32 v4, v7, v4, v5
	s_delay_alu instid0(VALU_DEP_1)
	v_cvt_f64_f32_e32 v[4:5], v4
.LBB7_1267:
	s_or_b32 exec_lo, exec_lo, s0
.LBB7_1268:
	s_mov_b32 s0, -1
.LBB7_1269:
	s_branch .LBB7_1300
.LBB7_1270:
	v_cmp_lt_i16_e32 vcc_lo, 22, v17
	s_cbranch_vccz .LBB7_1282
; %bb.1271:
	v_cmp_gt_i16_e32 vcc_lo, 24, v17
	s_cbranch_vccnz .LBB7_1283
; %bb.1272:
	v_cmp_lt_i16_e32 vcc_lo, 24, v17
	s_cbranch_vccz .LBB7_1284
; %bb.1273:
	global_load_u8 v7, v[2:3], off
	s_mov_b32 s18, exec_lo
                                        ; implicit-def: $sgpr0_sgpr1
	s_waitcnt vmcnt(0)
	v_cmpx_lt_i16_e32 0x7f, v7
	s_xor_b32 s18, exec_lo, s18
	s_cbranch_execz .LBB7_1277
; %bb.1274:
	s_mov_b32 s19, -1
	s_mov_b32 s17, exec_lo
                                        ; implicit-def: $sgpr0_sgpr1
	v_cmpx_eq_u16_e32 0x80, v7
; %bb.1275:
	s_mov_b32 s1, 0x7ff80000
	s_brev_b32 s0, 4
	s_xor_b32 s19, exec_lo, -1
; %bb.1276:
	s_or_b32 exec_lo, exec_lo, s17
	s_delay_alu instid0(SALU_CYCLE_1)
	s_and_b32 s17, s19, exec_lo
.LBB7_1277:
	s_or_saveexec_b32 s18, s18
	v_dual_mov_b32 v5, s1 :: v_dual_mov_b32 v4, s0
	s_xor_b32 exec_lo, exec_lo, s18
; %bb.1278:
	v_cmp_ne_u16_e32 vcc_lo, 0, v7
	v_mov_b32_e32 v4, 0
	v_mov_b32_e32 v5, 0
	s_and_not1_b32 s0, s17, exec_lo
	s_and_b32 s1, vcc_lo, exec_lo
	s_delay_alu instid0(SALU_CYCLE_1)
	s_or_b32 s17, s0, s1
; %bb.1279:
	s_or_b32 exec_lo, exec_lo, s18
	s_and_saveexec_b32 s0, s17
	s_cbranch_execz .LBB7_1281
; %bb.1280:
	v_and_b32_e32 v4, 0xffff, v7
	v_lshlrev_b32_e32 v7, 24, v7
	s_delay_alu instid0(VALU_DEP_2) | instskip(NEXT) | instid1(VALU_DEP_2)
	v_and_b32_e32 v5, 3, v4
	v_and_b32_e32 v7, 0x80000000, v7
	s_delay_alu instid0(VALU_DEP_2) | instskip(NEXT) | instid1(VALU_DEP_1)
	v_clz_i32_u32_e32 v8, v5
	v_min_u32_e32 v8, 32, v8
	s_delay_alu instid0(VALU_DEP_1) | instskip(SKIP_1) | instid1(VALU_DEP_2)
	v_subrev_nc_u32_e32 v9, 29, v8
	v_sub_nc_u32_e32 v8, 30, v8
	v_lshlrev_b32_e32 v9, v9, v4
	v_bfe_u32 v4, v4, 2, 5
	s_delay_alu instid0(VALU_DEP_1) | instskip(NEXT) | instid1(VALU_DEP_3)
	v_cmp_eq_u32_e32 vcc_lo, 0, v4
	v_dual_cndmask_b32 v4, v4, v8 :: v_dual_and_b32 v9, 3, v9
	s_delay_alu instid0(VALU_DEP_1) | instskip(NEXT) | instid1(VALU_DEP_2)
	v_cndmask_b32_e32 v5, v5, v9, vcc_lo
	v_lshl_add_u32 v4, v4, 23, 0x37800000
	s_delay_alu instid0(VALU_DEP_2) | instskip(NEXT) | instid1(VALU_DEP_1)
	v_lshlrev_b32_e32 v5, 21, v5
	v_or3_b32 v4, v7, v4, v5
	s_delay_alu instid0(VALU_DEP_1)
	v_cvt_f64_f32_e32 v[4:5], v4
.LBB7_1281:
	s_or_b32 exec_lo, exec_lo, s0
	s_mov_b32 s0, 0
	s_branch .LBB7_1285
.LBB7_1282:
	s_mov_b32 s1, -1
                                        ; implicit-def: $vgpr4_vgpr5
	s_branch .LBB7_1291
.LBB7_1283:
	s_mov_b32 s0, -1
                                        ; implicit-def: $vgpr4_vgpr5
	s_branch .LBB7_1288
.LBB7_1284:
	s_mov_b32 s0, -1
                                        ; implicit-def: $vgpr4_vgpr5
.LBB7_1285:
	s_delay_alu instid0(SALU_CYCLE_1)
	s_and_b32 vcc_lo, exec_lo, s0
	s_cbranch_vccz .LBB7_1287
; %bb.1286:
	global_load_u8 v4, v[2:3], off
	s_waitcnt vmcnt(0)
	v_lshlrev_b32_e32 v4, 24, v4
	s_delay_alu instid0(VALU_DEP_1) | instskip(NEXT) | instid1(VALU_DEP_1)
	v_and_b32_e32 v5, 0x7f000000, v4
	v_clz_i32_u32_e32 v7, v5
	v_add_nc_u32_e32 v9, 0x1000000, v5
	v_cmp_ne_u32_e32 vcc_lo, 0, v5
	s_delay_alu instid0(VALU_DEP_3) | instskip(NEXT) | instid1(VALU_DEP_1)
	v_min_u32_e32 v7, 32, v7
	v_sub_nc_u32_e64 v7, v7, 4 clamp
	s_delay_alu instid0(VALU_DEP_1) | instskip(SKIP_1) | instid1(VALU_DEP_2)
	v_lshlrev_b32_e32 v8, v7, v5
	v_lshlrev_b32_e32 v7, 23, v7
	v_lshrrev_b32_e32 v8, 4, v8
	s_delay_alu instid0(VALU_DEP_1) | instskip(SKIP_1) | instid1(VALU_DEP_2)
	v_sub_nc_u32_e32 v7, v8, v7
	v_ashrrev_i32_e32 v8, 8, v9
	v_add_nc_u32_e32 v7, 0x3c000000, v7
	s_delay_alu instid0(VALU_DEP_1) | instskip(NEXT) | instid1(VALU_DEP_1)
	v_and_or_b32 v7, 0x7f800000, v8, v7
	v_cndmask_b32_e32 v5, 0, v7, vcc_lo
	s_delay_alu instid0(VALU_DEP_1) | instskip(NEXT) | instid1(VALU_DEP_1)
	v_and_or_b32 v4, 0x80000000, v4, v5
	v_cvt_f64_f32_e32 v[4:5], v4
.LBB7_1287:
	s_mov_b32 s0, 0
.LBB7_1288:
	s_delay_alu instid0(SALU_CYCLE_1)
	s_and_not1_b32 vcc_lo, exec_lo, s0
	s_cbranch_vccnz .LBB7_1290
; %bb.1289:
	global_load_u8 v4, v[2:3], off
	s_waitcnt vmcnt(0)
	v_lshlrev_b32_e32 v5, 25, v4
	v_lshlrev_b16 v4, 8, v4
	s_delay_alu instid0(VALU_DEP_2) | instskip(NEXT) | instid1(VALU_DEP_2)
	v_lshrrev_b32_e32 v7, 4, v5
	v_and_or_b32 v8, 0x7f00, v4, 0.5
	v_cmp_gt_u32_e32 vcc_lo, 0x8000000, v5
	v_bfe_i32 v4, v4, 0, 16
	s_delay_alu instid0(VALU_DEP_4) | instskip(NEXT) | instid1(VALU_DEP_1)
	v_or_b32_e32 v7, 0x70000000, v7
	v_dual_add_f32 v8, -0.5, v8 :: v_dual_mul_f32 v7, 0x7800000, v7
	s_delay_alu instid0(VALU_DEP_1) | instskip(NEXT) | instid1(VALU_DEP_1)
	v_cndmask_b32_e32 v5, v7, v8, vcc_lo
	v_and_or_b32 v4, 0x80000000, v4, v5
	s_delay_alu instid0(VALU_DEP_1)
	v_cvt_f64_f32_e32 v[4:5], v4
.LBB7_1290:
	s_mov_b32 s1, 0
	s_mov_b32 s0, -1
.LBB7_1291:
	s_and_not1_b32 vcc_lo, exec_lo, s1
	s_mov_b32 s17, 0
	s_cbranch_vccnz .LBB7_1300
; %bb.1292:
	v_cmp_lt_i16_e32 vcc_lo, 14, v17
	s_cbranch_vccz .LBB7_1295
; %bb.1293:
	v_cmp_eq_u16_e32 vcc_lo, 15, v17
	s_cbranch_vccz .LBB7_1296
; %bb.1294:
	global_load_u16 v4, v[2:3], off
	s_mov_b32 s16, 0
	s_mov_b32 s0, -1
	s_waitcnt vmcnt(0)
	v_lshlrev_b32_e32 v4, 16, v4
	s_delay_alu instid0(VALU_DEP_1)
	v_cvt_f64_f32_e32 v[4:5], v4
	s_branch .LBB7_1297
.LBB7_1295:
	s_mov_b32 s1, -1
                                        ; implicit-def: $vgpr4_vgpr5
	s_branch .LBB7_1298
.LBB7_1296:
	s_mov_b32 s16, -1
                                        ; implicit-def: $vgpr4_vgpr5
.LBB7_1297:
	s_mov_b32 s1, 0
.LBB7_1298:
	s_delay_alu instid0(SALU_CYCLE_1)
	s_and_b32 vcc_lo, exec_lo, s1
	s_cbranch_vccz .LBB7_1300
; %bb.1299:
	v_cmp_ne_u16_e64 s16, 11, v17
	s_mov_b32 s17, -1
                                        ; implicit-def: $vgpr4_vgpr5
.LBB7_1300:
	s_delay_alu instid0(VALU_DEP_1)
	s_and_b32 vcc_lo, exec_lo, s16
	s_cbranch_vccnz .LBB7_1326
; %bb.1301:
	s_and_not1_b32 vcc_lo, exec_lo, s17
	s_cbranch_vccnz .LBB7_1303
.LBB7_1302:
	global_load_u8 v4, v[2:3], off
	s_mov_b32 s0, -1
	s_waitcnt vmcnt(0)
	v_cmp_ne_u16_e32 vcc_lo, 0, v4
	v_mov_b32_e32 v4, 0
	v_cndmask_b32_e64 v5, 0, 0x3ff00000, vcc_lo
.LBB7_1303:
.LBB7_1304:
	s_and_not1_b32 vcc_lo, exec_lo, s0
	s_cbranch_vccnz .LBB7_2011
.LBB7_1305:
	s_waitcnt vmcnt(0)
	v_cvt_f64_f32_e32 v[2:3], v19
	s_delay_alu instid0(VALU_DEP_2) | instskip(SKIP_2) | instid1(VALU_DEP_3)
	v_cvt_f32_f64_e32 v7, v[4:5]
	v_mov_b32_e32 v20, v19
	s_mov_b32 s0, exec_lo
	v_dual_mov_b32 v11, v3 :: v_dual_mov_b32 v10, v2
	s_delay_alu instid0(VALU_DEP_3)
	v_cmpx_nlg_f32_e64 0x7f800000, |v7|
	s_cbranch_execz .LBB7_1307
; %bb.1306:
	v_dual_mov_b32 v7, 0 :: v_dual_mov_b32 v8, 1.0
	global_store_b32 v7, v8, s[8:9]
	global_load_b32 v20, v7, s[10:11]
	s_waitcnt vmcnt(0)
	v_cvt_f64_f32_e32 v[10:11], v20
.LBB7_1307:
	s_or_b32 exec_lo, exec_lo, s0
	v_add_nc_u32_e32 v14, s3, v6
	v_cmp_gt_i16_e32 vcc_lo, 11, v17
	s_delay_alu instid0(VALU_DEP_2) | instskip(SKIP_1) | instid1(VALU_DEP_1)
	v_ashrrev_i32_e32 v6, 31, v14
	v_add_co_u32 v8, s0, s6, v14
	v_add_co_ci_u32_e64 v9, s0, s7, v6, s0
	s_cbranch_vccnz .LBB7_1314
; %bb.1308:
	v_cmp_lt_i16_e32 vcc_lo, 25, v17
	s_mov_b32 s17, 0
	s_cbranch_vccz .LBB7_1320
; %bb.1309:
	v_cmp_lt_i16_e32 vcc_lo, 28, v17
	s_cbranch_vccz .LBB7_1322
; %bb.1310:
	v_cmp_lt_i16_e32 vcc_lo, 43, v17
	;; [unrolled: 3-line block ×3, first 2 shown]
	s_cbranch_vccz .LBB7_1328
; %bb.1312:
	v_cmp_eq_u16_e32 vcc_lo, 46, v17
	s_mov_b32 s1, 0
	s_cbranch_vccz .LBB7_1371
; %bb.1313:
	global_load_b32 v6, v[8:9], off
	s_mov_b32 s16, 0
	s_mov_b32 s0, -1
	s_waitcnt vmcnt(0)
	v_lshlrev_b32_e32 v6, 16, v6
	s_delay_alu instid0(VALU_DEP_1)
	v_cvt_f64_f32_e32 v[6:7], v6
	s_branch .LBB7_1373
.LBB7_1314:
	s_mov_b32 s0, 0
                                        ; implicit-def: $vgpr6_vgpr7
	s_cbranch_execz .LBB7_1439
; %bb.1315:
	v_cmp_gt_i16_e32 vcc_lo, 5, v17
	s_cbranch_vccnz .LBB7_1321
; %bb.1316:
	v_cmp_gt_i16_e32 vcc_lo, 8, v17
	s_cbranch_vccnz .LBB7_1323
	;; [unrolled: 3-line block ×3, first 2 shown]
; %bb.1318:
	v_cmp_lt_i16_e32 vcc_lo, 9, v17
	s_cbranch_vccz .LBB7_1329
; %bb.1319:
	global_load_b64 v[6:7], v[8:9], off
	s_mov_b32 s0, 0
	s_branch .LBB7_1330
.LBB7_1320:
	s_mov_b32 s1, -1
	s_mov_b32 s0, 0
	s_mov_b32 s16, 0
                                        ; implicit-def: $vgpr6_vgpr7
	s_branch .LBB7_1404
.LBB7_1321:
	s_mov_b32 s0, -1
                                        ; implicit-def: $vgpr6_vgpr7
	s_branch .LBB7_1348
.LBB7_1322:
	s_mov_b32 s1, -1
	s_mov_b32 s0, 0
	s_mov_b32 s16, 0
                                        ; implicit-def: $vgpr6_vgpr7
	s_branch .LBB7_1383
.LBB7_1323:
	s_mov_b32 s0, -1
                                        ; implicit-def: $vgpr6_vgpr7
	s_branch .LBB7_1336
.LBB7_1324:
	s_mov_b32 s1, -1
	s_mov_b32 s0, 0
	s_mov_b32 s16, 0
                                        ; implicit-def: $vgpr6_vgpr7
	s_branch .LBB7_1378
.LBB7_1325:
	s_mov_b32 s0, -1
                                        ; implicit-def: $vgpr6_vgpr7
	s_branch .LBB7_1333
.LBB7_1326:
	s_cbranch_execnz .LBB7_1369
; %bb.1327:
	s_or_b32 s13, s13, exec_lo
                                        ; implicit-def: $vgpr4_vgpr5
	s_cbranch_execz .LBB7_1302
	s_branch .LBB7_1303
.LBB7_1328:
	s_mov_b32 s1, -1
	s_mov_b32 s0, 0
	s_mov_b32 s16, 0
	s_branch .LBB7_1372
.LBB7_1329:
	s_mov_b32 s0, -1
                                        ; implicit-def: $vgpr6_vgpr7
.LBB7_1330:
	s_delay_alu instid0(SALU_CYCLE_1)
	s_and_not1_b32 vcc_lo, exec_lo, s0
	s_cbranch_vccnz .LBB7_1332
; %bb.1331:
	global_load_b32 v6, v[8:9], off
	s_waitcnt vmcnt(0)
	v_cvt_f64_f32_e32 v[6:7], v6
.LBB7_1332:
	s_mov_b32 s0, 0
.LBB7_1333:
	s_delay_alu instid0(SALU_CYCLE_1)
	s_and_not1_b32 vcc_lo, exec_lo, s0
	s_cbranch_vccnz .LBB7_1335
; %bb.1334:
	global_load_b32 v6, v[8:9], off
	s_waitcnt vmcnt(0)
	v_cvt_f32_f16_e32 v6, v6
	s_delay_alu instid0(VALU_DEP_1)
	v_cvt_f64_f32_e32 v[6:7], v6
.LBB7_1335:
	s_mov_b32 s0, 0
.LBB7_1336:
	s_delay_alu instid0(SALU_CYCLE_1)
	s_and_not1_b32 vcc_lo, exec_lo, s0
	s_cbranch_vccnz .LBB7_1347
; %bb.1337:
	v_cmp_gt_i16_e32 vcc_lo, 6, v17
	s_cbranch_vccnz .LBB7_1340
; %bb.1338:
	v_cmp_lt_i16_e32 vcc_lo, 6, v17
	s_cbranch_vccz .LBB7_1341
; %bb.1339:
	global_load_b64 v[6:7], v[8:9], off
	s_mov_b32 s0, 0
	s_branch .LBB7_1342
.LBB7_1340:
	s_mov_b32 s0, -1
                                        ; implicit-def: $vgpr6_vgpr7
	s_branch .LBB7_1345
.LBB7_1341:
	s_mov_b32 s0, -1
                                        ; implicit-def: $vgpr6_vgpr7
.LBB7_1342:
	s_delay_alu instid0(SALU_CYCLE_1)
	s_and_not1_b32 vcc_lo, exec_lo, s0
	s_cbranch_vccnz .LBB7_1344
; %bb.1343:
	global_load_b32 v6, v[8:9], off
	s_waitcnt vmcnt(0)
	v_cvt_f64_f32_e32 v[6:7], v6
.LBB7_1344:
	s_mov_b32 s0, 0
.LBB7_1345:
	s_delay_alu instid0(SALU_CYCLE_1)
	s_and_not1_b32 vcc_lo, exec_lo, s0
	s_cbranch_vccnz .LBB7_1347
; %bb.1346:
	global_load_u16 v6, v[8:9], off
	s_waitcnt vmcnt(0)
	v_cvt_f32_f16_e32 v6, v6
	s_delay_alu instid0(VALU_DEP_1)
	v_cvt_f64_f32_e32 v[6:7], v6
.LBB7_1347:
	s_mov_b32 s0, 0
.LBB7_1348:
	s_delay_alu instid0(SALU_CYCLE_1)
	s_and_not1_b32 vcc_lo, exec_lo, s0
	s_cbranch_vccnz .LBB7_1368
; %bb.1349:
	v_cmp_gt_i16_e32 vcc_lo, 2, v17
	s_cbranch_vccnz .LBB7_1353
; %bb.1350:
	v_cmp_gt_i16_e32 vcc_lo, 3, v17
	s_cbranch_vccnz .LBB7_1354
; %bb.1351:
	v_cmp_lt_i16_e32 vcc_lo, 3, v17
	s_cbranch_vccz .LBB7_1355
; %bb.1352:
	global_load_b64 v[6:7], v[8:9], off
	s_mov_b32 s0, 0
	s_waitcnt vmcnt(0)
	v_cvt_f64_i32_e32 v[12:13], v7
	v_cvt_f64_u32_e32 v[6:7], v6
	s_delay_alu instid0(VALU_DEP_2) | instskip(NEXT) | instid1(VALU_DEP_1)
	v_ldexp_f64 v[12:13], v[12:13], 32
	v_add_f64 v[6:7], v[12:13], v[6:7]
	s_branch .LBB7_1356
.LBB7_1353:
	s_mov_b32 s0, -1
                                        ; implicit-def: $vgpr6_vgpr7
	s_branch .LBB7_1362
.LBB7_1354:
	s_mov_b32 s0, -1
                                        ; implicit-def: $vgpr6_vgpr7
	s_branch .LBB7_1359
.LBB7_1355:
	s_mov_b32 s0, -1
                                        ; implicit-def: $vgpr6_vgpr7
.LBB7_1356:
	s_delay_alu instid0(SALU_CYCLE_1)
	s_and_not1_b32 vcc_lo, exec_lo, s0
	s_cbranch_vccnz .LBB7_1358
; %bb.1357:
	global_load_b32 v6, v[8:9], off
	s_waitcnt vmcnt(0)
	v_cvt_f64_i32_e32 v[6:7], v6
.LBB7_1358:
	s_mov_b32 s0, 0
.LBB7_1359:
	s_delay_alu instid0(SALU_CYCLE_1)
	s_and_not1_b32 vcc_lo, exec_lo, s0
	s_cbranch_vccnz .LBB7_1361
; %bb.1360:
	global_load_i16 v6, v[8:9], off
	s_waitcnt vmcnt(0)
	v_cvt_f64_i32_e32 v[6:7], v6
.LBB7_1361:
	s_mov_b32 s0, 0
.LBB7_1362:
	s_delay_alu instid0(SALU_CYCLE_1)
	s_and_not1_b32 vcc_lo, exec_lo, s0
	s_cbranch_vccnz .LBB7_1368
; %bb.1363:
	v_cmp_lt_i16_e32 vcc_lo, 0, v17
	s_mov_b32 s0, 0
	s_cbranch_vccz .LBB7_1365
; %bb.1364:
	global_load_i8 v6, v[8:9], off
	s_waitcnt vmcnt(0)
	v_cvt_f64_i32_e32 v[6:7], v6
	s_branch .LBB7_1366
.LBB7_1365:
	s_mov_b32 s0, -1
                                        ; implicit-def: $vgpr6_vgpr7
.LBB7_1366:
	s_delay_alu instid0(SALU_CYCLE_1)
	s_and_not1_b32 vcc_lo, exec_lo, s0
	s_cbranch_vccnz .LBB7_1368
; %bb.1367:
	global_load_u8 v6, v[8:9], off
	s_waitcnt vmcnt(0)
	v_cvt_f64_u32_e32 v[6:7], v6
.LBB7_1368:
	s_branch .LBB7_1440
.LBB7_1369:
	s_trap 2
	s_sendmsg_rtn_b32 s0, sendmsg(MSG_RTN_GET_DOORBELL)
	s_mov_b32 ttmp2, m0
	s_waitcnt lgkmcnt(0)
	s_and_b32 s0, s0, 0x3ff
	s_delay_alu instid0(SALU_CYCLE_1) | instskip(NEXT) | instid1(SALU_CYCLE_1)
	s_bitset1_b32 s0, 10
	s_mov_b32 m0, s0
	s_sendmsg sendmsg(MSG_INTERRUPT)
	s_mov_b32 m0, ttmp2
.LBB7_1370:                             ; =>This Inner Loop Header: Depth=1
	s_sethalt 5
	s_branch .LBB7_1370
.LBB7_1371:
	s_mov_b32 s16, -1
	s_mov_b32 s0, 0
.LBB7_1372:
                                        ; implicit-def: $vgpr6_vgpr7
.LBB7_1373:
	s_and_b32 vcc_lo, exec_lo, s1
	s_cbranch_vccz .LBB7_1377
; %bb.1374:
	v_cmp_eq_u16_e32 vcc_lo, 44, v17
	s_cbranch_vccz .LBB7_1376
; %bb.1375:
	global_load_u8 v12, v[8:9], off
	s_mov_b32 s16, 0
	s_mov_b32 s0, -1
	s_waitcnt vmcnt(0)
	v_cmp_ne_u32_e32 vcc_lo, 0xff, v12
	v_lshlrev_b32_e32 v6, 23, v12
	s_delay_alu instid0(VALU_DEP_1) | instskip(NEXT) | instid1(VALU_DEP_1)
	v_cvt_f64_f32_e32 v[6:7], v6
	v_cndmask_b32_e32 v7, 0x7ff80000, v7, vcc_lo
	s_delay_alu instid0(VALU_DEP_2) | instskip(SKIP_1) | instid1(VALU_DEP_3)
	v_cndmask_b32_e32 v6, 0x20000000, v6, vcc_lo
	v_cmp_ne_u32_e32 vcc_lo, 0, v12
	v_cndmask_b32_e32 v7, 0x38000000, v7, vcc_lo
	s_delay_alu instid0(VALU_DEP_3)
	v_cndmask_b32_e32 v6, 0, v6, vcc_lo
	s_branch .LBB7_1377
.LBB7_1376:
	s_mov_b32 s16, -1
                                        ; implicit-def: $vgpr6_vgpr7
.LBB7_1377:
	s_mov_b32 s1, 0
.LBB7_1378:
	s_delay_alu instid0(SALU_CYCLE_1)
	s_and_b32 vcc_lo, exec_lo, s1
	s_cbranch_vccz .LBB7_1382
; %bb.1379:
	v_cmp_eq_u16_e32 vcc_lo, 29, v17
	s_cbranch_vccz .LBB7_1381
; %bb.1380:
	global_load_b64 v[6:7], v[8:9], off
	s_mov_b32 s16, 0
	s_mov_b32 s0, -1
	s_mov_b32 s1, 0
	s_waitcnt vmcnt(0)
	v_cvt_f64_u32_e32 v[12:13], v7
	v_cvt_f64_u32_e32 v[6:7], v6
	s_delay_alu instid0(VALU_DEP_2) | instskip(NEXT) | instid1(VALU_DEP_1)
	v_ldexp_f64 v[12:13], v[12:13], 32
	v_add_f64 v[6:7], v[12:13], v[6:7]
	s_branch .LBB7_1383
.LBB7_1381:
	s_mov_b32 s16, -1
                                        ; implicit-def: $vgpr6_vgpr7
.LBB7_1382:
	s_mov_b32 s1, 0
.LBB7_1383:
	s_delay_alu instid0(SALU_CYCLE_1)
	s_and_b32 vcc_lo, exec_lo, s1
	s_cbranch_vccz .LBB7_1403
; %bb.1384:
	v_cmp_gt_i16_e32 vcc_lo, 27, v17
	s_cbranch_vccnz .LBB7_1387
; %bb.1385:
	v_cmp_lt_i16_e32 vcc_lo, 27, v17
	s_cbranch_vccz .LBB7_1388
; %bb.1386:
	global_load_b32 v6, v[8:9], off
	s_mov_b32 s0, 0
	s_waitcnt vmcnt(0)
	v_cvt_f64_u32_e32 v[6:7], v6
	s_branch .LBB7_1389
.LBB7_1387:
	s_mov_b32 s0, -1
                                        ; implicit-def: $vgpr6_vgpr7
	s_branch .LBB7_1392
.LBB7_1388:
	s_mov_b32 s0, -1
                                        ; implicit-def: $vgpr6_vgpr7
.LBB7_1389:
	s_delay_alu instid0(SALU_CYCLE_1)
	s_and_not1_b32 vcc_lo, exec_lo, s0
	s_cbranch_vccnz .LBB7_1391
; %bb.1390:
	global_load_u16 v6, v[8:9], off
	s_waitcnt vmcnt(0)
	v_cvt_f64_u32_e32 v[6:7], v6
.LBB7_1391:
	s_mov_b32 s0, 0
.LBB7_1392:
	s_delay_alu instid0(SALU_CYCLE_1)
	s_and_not1_b32 vcc_lo, exec_lo, s0
	s_cbranch_vccnz .LBB7_1402
; %bb.1393:
	global_load_u8 v12, v[8:9], off
	s_mov_b32 s18, 0
	s_mov_b32 s19, exec_lo
                                        ; implicit-def: $sgpr0_sgpr1
	s_waitcnt vmcnt(0)
	v_cmpx_lt_i16_e32 0x7f, v12
	s_xor_b32 s19, exec_lo, s19
	s_cbranch_execz .LBB7_1397
; %bb.1394:
	s_mov_b32 s20, -1
	s_mov_b32 s18, exec_lo
                                        ; implicit-def: $sgpr0_sgpr1
	v_cmpx_eq_u16_e32 0x80, v12
; %bb.1395:
	s_mov_b32 s1, 0x7ff80000
	s_brev_b32 s0, 4
	s_xor_b32 s20, exec_lo, -1
; %bb.1396:
	s_or_b32 exec_lo, exec_lo, s18
	s_delay_alu instid0(SALU_CYCLE_1)
	s_and_b32 s18, s20, exec_lo
.LBB7_1397:
	s_or_saveexec_b32 s19, s19
	v_dual_mov_b32 v7, s1 :: v_dual_mov_b32 v6, s0
	s_xor_b32 exec_lo, exec_lo, s19
; %bb.1398:
	v_cmp_ne_u16_e32 vcc_lo, 0, v12
	v_mov_b32_e32 v6, 0
	v_mov_b32_e32 v7, 0
	s_and_not1_b32 s0, s18, exec_lo
	s_and_b32 s1, vcc_lo, exec_lo
	s_delay_alu instid0(SALU_CYCLE_1)
	s_or_b32 s18, s0, s1
; %bb.1399:
	s_or_b32 exec_lo, exec_lo, s19
	s_and_saveexec_b32 s0, s18
	s_cbranch_execz .LBB7_1401
; %bb.1400:
	v_and_b32_e32 v6, 0xffff, v12
	v_lshlrev_b32_e32 v12, 24, v12
	s_delay_alu instid0(VALU_DEP_2) | instskip(NEXT) | instid1(VALU_DEP_2)
	v_and_b32_e32 v7, 7, v6
	v_and_b32_e32 v12, 0x80000000, v12
	s_delay_alu instid0(VALU_DEP_2) | instskip(NEXT) | instid1(VALU_DEP_1)
	v_clz_i32_u32_e32 v13, v7
	v_min_u32_e32 v13, 32, v13
	s_delay_alu instid0(VALU_DEP_1) | instskip(SKIP_1) | instid1(VALU_DEP_2)
	v_subrev_nc_u32_e32 v15, 28, v13
	v_sub_nc_u32_e32 v13, 29, v13
	v_lshlrev_b32_e32 v15, v15, v6
	v_bfe_u32 v6, v6, 3, 4
	s_delay_alu instid0(VALU_DEP_2) | instskip(NEXT) | instid1(VALU_DEP_2)
	v_and_b32_e32 v15, 7, v15
	v_cmp_eq_u32_e32 vcc_lo, 0, v6
	s_delay_alu instid0(VALU_DEP_2) | instskip(NEXT) | instid1(VALU_DEP_1)
	v_dual_cndmask_b32 v6, v6, v13 :: v_dual_cndmask_b32 v7, v7, v15
	v_lshl_add_u32 v6, v6, 23, 0x3b800000
	s_delay_alu instid0(VALU_DEP_2) | instskip(NEXT) | instid1(VALU_DEP_1)
	v_lshlrev_b32_e32 v7, 20, v7
	v_or3_b32 v6, v12, v6, v7
	s_delay_alu instid0(VALU_DEP_1)
	v_cvt_f64_f32_e32 v[6:7], v6
.LBB7_1401:
	s_or_b32 exec_lo, exec_lo, s0
.LBB7_1402:
	s_mov_b32 s0, -1
.LBB7_1403:
	s_mov_b32 s1, 0
.LBB7_1404:
	s_delay_alu instid0(SALU_CYCLE_1)
	s_and_b32 vcc_lo, exec_lo, s1
	s_cbranch_vccz .LBB7_1435
; %bb.1405:
	v_cmp_lt_i16_e32 vcc_lo, 22, v17
	s_cbranch_vccz .LBB7_1417
; %bb.1406:
	v_cmp_gt_i16_e32 vcc_lo, 24, v17
	s_cbranch_vccnz .LBB7_1418
; %bb.1407:
	v_cmp_lt_i16_e32 vcc_lo, 24, v17
	s_cbranch_vccz .LBB7_1419
; %bb.1408:
	global_load_u8 v12, v[8:9], off
	s_mov_b32 s18, exec_lo
                                        ; implicit-def: $sgpr0_sgpr1
	s_waitcnt vmcnt(0)
	v_cmpx_lt_i16_e32 0x7f, v12
	s_xor_b32 s18, exec_lo, s18
	s_cbranch_execz .LBB7_1412
; %bb.1409:
	s_mov_b32 s19, -1
	s_mov_b32 s17, exec_lo
                                        ; implicit-def: $sgpr0_sgpr1
	v_cmpx_eq_u16_e32 0x80, v12
; %bb.1410:
	s_mov_b32 s1, 0x7ff80000
	s_brev_b32 s0, 4
	s_xor_b32 s19, exec_lo, -1
; %bb.1411:
	s_or_b32 exec_lo, exec_lo, s17
	s_delay_alu instid0(SALU_CYCLE_1)
	s_and_b32 s17, s19, exec_lo
.LBB7_1412:
	s_or_saveexec_b32 s18, s18
	v_dual_mov_b32 v7, s1 :: v_dual_mov_b32 v6, s0
	s_xor_b32 exec_lo, exec_lo, s18
; %bb.1413:
	v_cmp_ne_u16_e32 vcc_lo, 0, v12
	v_mov_b32_e32 v6, 0
	v_mov_b32_e32 v7, 0
	s_and_not1_b32 s0, s17, exec_lo
	s_and_b32 s1, vcc_lo, exec_lo
	s_delay_alu instid0(SALU_CYCLE_1)
	s_or_b32 s17, s0, s1
; %bb.1414:
	s_or_b32 exec_lo, exec_lo, s18
	s_and_saveexec_b32 s0, s17
	s_cbranch_execz .LBB7_1416
; %bb.1415:
	v_and_b32_e32 v6, 0xffff, v12
	v_lshlrev_b32_e32 v12, 24, v12
	s_delay_alu instid0(VALU_DEP_2) | instskip(NEXT) | instid1(VALU_DEP_2)
	v_and_b32_e32 v7, 3, v6
	v_and_b32_e32 v12, 0x80000000, v12
	s_delay_alu instid0(VALU_DEP_2) | instskip(NEXT) | instid1(VALU_DEP_1)
	v_clz_i32_u32_e32 v13, v7
	v_min_u32_e32 v13, 32, v13
	s_delay_alu instid0(VALU_DEP_1) | instskip(SKIP_1) | instid1(VALU_DEP_2)
	v_subrev_nc_u32_e32 v15, 29, v13
	v_sub_nc_u32_e32 v13, 30, v13
	v_lshlrev_b32_e32 v15, v15, v6
	v_bfe_u32 v6, v6, 2, 5
	s_delay_alu instid0(VALU_DEP_2) | instskip(NEXT) | instid1(VALU_DEP_2)
	v_and_b32_e32 v15, 3, v15
	v_cmp_eq_u32_e32 vcc_lo, 0, v6
	s_delay_alu instid0(VALU_DEP_2) | instskip(NEXT) | instid1(VALU_DEP_1)
	v_dual_cndmask_b32 v6, v6, v13 :: v_dual_cndmask_b32 v7, v7, v15
	v_lshl_add_u32 v6, v6, 23, 0x37800000
	s_delay_alu instid0(VALU_DEP_2) | instskip(NEXT) | instid1(VALU_DEP_1)
	v_lshlrev_b32_e32 v7, 21, v7
	v_or3_b32 v6, v12, v6, v7
	s_delay_alu instid0(VALU_DEP_1)
	v_cvt_f64_f32_e32 v[6:7], v6
.LBB7_1416:
	s_or_b32 exec_lo, exec_lo, s0
	s_mov_b32 s0, 0
	s_branch .LBB7_1420
.LBB7_1417:
	s_mov_b32 s1, -1
                                        ; implicit-def: $vgpr6_vgpr7
	s_branch .LBB7_1426
.LBB7_1418:
	s_mov_b32 s0, -1
                                        ; implicit-def: $vgpr6_vgpr7
	s_branch .LBB7_1423
.LBB7_1419:
	s_mov_b32 s0, -1
                                        ; implicit-def: $vgpr6_vgpr7
.LBB7_1420:
	s_delay_alu instid0(SALU_CYCLE_1)
	s_and_b32 vcc_lo, exec_lo, s0
	s_cbranch_vccz .LBB7_1422
; %bb.1421:
	global_load_u8 v6, v[8:9], off
	s_waitcnt vmcnt(0)
	v_lshlrev_b32_e32 v6, 24, v6
	s_delay_alu instid0(VALU_DEP_1) | instskip(NEXT) | instid1(VALU_DEP_1)
	v_and_b32_e32 v7, 0x7f000000, v6
	v_clz_i32_u32_e32 v12, v7
	v_add_nc_u32_e32 v15, 0x1000000, v7
	v_cmp_ne_u32_e32 vcc_lo, 0, v7
	s_delay_alu instid0(VALU_DEP_3) | instskip(NEXT) | instid1(VALU_DEP_1)
	v_min_u32_e32 v12, 32, v12
	v_sub_nc_u32_e64 v12, v12, 4 clamp
	s_delay_alu instid0(VALU_DEP_1) | instskip(SKIP_1) | instid1(VALU_DEP_2)
	v_lshlrev_b32_e32 v13, v12, v7
	v_lshlrev_b32_e32 v12, 23, v12
	v_lshrrev_b32_e32 v13, 4, v13
	s_delay_alu instid0(VALU_DEP_1) | instskip(SKIP_1) | instid1(VALU_DEP_2)
	v_sub_nc_u32_e32 v12, v13, v12
	v_ashrrev_i32_e32 v13, 8, v15
	v_add_nc_u32_e32 v12, 0x3c000000, v12
	s_delay_alu instid0(VALU_DEP_1) | instskip(NEXT) | instid1(VALU_DEP_1)
	v_and_or_b32 v12, 0x7f800000, v13, v12
	v_cndmask_b32_e32 v7, 0, v12, vcc_lo
	s_delay_alu instid0(VALU_DEP_1) | instskip(NEXT) | instid1(VALU_DEP_1)
	v_and_or_b32 v6, 0x80000000, v6, v7
	v_cvt_f64_f32_e32 v[6:7], v6
.LBB7_1422:
	s_mov_b32 s0, 0
.LBB7_1423:
	s_delay_alu instid0(SALU_CYCLE_1)
	s_and_not1_b32 vcc_lo, exec_lo, s0
	s_cbranch_vccnz .LBB7_1425
; %bb.1424:
	global_load_u8 v6, v[8:9], off
	s_waitcnt vmcnt(0)
	v_lshlrev_b32_e32 v7, 25, v6
	v_lshlrev_b16 v6, 8, v6
	s_delay_alu instid0(VALU_DEP_2) | instskip(NEXT) | instid1(VALU_DEP_2)
	v_lshrrev_b32_e32 v12, 4, v7
	v_and_or_b32 v13, 0x7f00, v6, 0.5
	v_bfe_i32 v6, v6, 0, 16
	s_delay_alu instid0(VALU_DEP_3) | instskip(NEXT) | instid1(VALU_DEP_1)
	v_or_b32_e32 v12, 0x70000000, v12
	v_dual_add_f32 v13, -0.5, v13 :: v_dual_mul_f32 v12, 0x7800000, v12
	v_cmp_gt_u32_e32 vcc_lo, 0x8000000, v7
	s_delay_alu instid0(VALU_DEP_2) | instskip(NEXT) | instid1(VALU_DEP_1)
	v_cndmask_b32_e32 v7, v12, v13, vcc_lo
	v_and_or_b32 v6, 0x80000000, v6, v7
	s_delay_alu instid0(VALU_DEP_1)
	v_cvt_f64_f32_e32 v[6:7], v6
.LBB7_1425:
	s_mov_b32 s1, 0
	s_mov_b32 s0, -1
.LBB7_1426:
	s_and_not1_b32 vcc_lo, exec_lo, s1
	s_mov_b32 s17, 0
	s_cbranch_vccnz .LBB7_1435
; %bb.1427:
	v_cmp_lt_i16_e32 vcc_lo, 14, v17
	s_cbranch_vccz .LBB7_1430
; %bb.1428:
	v_cmp_eq_u16_e32 vcc_lo, 15, v17
	s_cbranch_vccz .LBB7_1431
; %bb.1429:
	global_load_u16 v6, v[8:9], off
	s_mov_b32 s16, 0
	s_mov_b32 s0, -1
	s_waitcnt vmcnt(0)
	v_lshlrev_b32_e32 v6, 16, v6
	s_delay_alu instid0(VALU_DEP_1)
	v_cvt_f64_f32_e32 v[6:7], v6
	s_branch .LBB7_1432
.LBB7_1430:
	s_mov_b32 s1, -1
                                        ; implicit-def: $vgpr6_vgpr7
	s_branch .LBB7_1433
.LBB7_1431:
	s_mov_b32 s16, -1
                                        ; implicit-def: $vgpr6_vgpr7
.LBB7_1432:
	s_mov_b32 s1, 0
.LBB7_1433:
	s_delay_alu instid0(SALU_CYCLE_1)
	s_and_b32 vcc_lo, exec_lo, s1
	s_cbranch_vccz .LBB7_1435
; %bb.1434:
	v_cmp_ne_u16_e64 s16, 11, v17
	s_mov_b32 s17, -1
                                        ; implicit-def: $vgpr6_vgpr7
.LBB7_1435:
	s_delay_alu instid0(VALU_DEP_1)
	s_and_b32 vcc_lo, exec_lo, s16
	s_cbranch_vccnz .LBB7_1453
; %bb.1436:
	s_and_not1_b32 vcc_lo, exec_lo, s17
	s_cbranch_vccnz .LBB7_1438
.LBB7_1437:
	global_load_u8 v6, v[8:9], off
	s_mov_b32 s0, -1
	s_waitcnt vmcnt(0)
	v_cmp_ne_u16_e32 vcc_lo, 0, v6
	v_mov_b32_e32 v6, 0
	v_cndmask_b32_e64 v7, 0, 0x3ff00000, vcc_lo
.LBB7_1438:
.LBB7_1439:
	s_and_not1_b32 vcc_lo, exec_lo, s0
	s_cbranch_vccnz .LBB7_2011
.LBB7_1440:
	s_waitcnt vmcnt(0)
	s_delay_alu instid0(VALU_DEP_1) | instskip(SKIP_3) | instid1(VALU_DEP_3)
	v_cvt_f32_f64_e32 v8, v[6:7]
	v_dual_mov_b32 v13, v11 :: v_dual_mov_b32 v12, v10
	v_mov_b32_e32 v21, v20
	s_mov_b32 s0, exec_lo
	v_cmpx_nlg_f32_e64 0x7f800000, |v8|
	s_cbranch_execz .LBB7_1442
; %bb.1441:
	v_dual_mov_b32 v8, 0 :: v_dual_mov_b32 v9, 1.0
	global_store_b32 v8, v9, s[8:9]
	global_load_b32 v21, v8, s[10:11]
	s_waitcnt vmcnt(0)
	v_cvt_f64_f32_e32 v[12:13], v21
.LBB7_1442:
	s_or_b32 exec_lo, exec_lo, s0
	v_add_nc_u32_e32 v8, s3, v14
	v_cmp_gt_i16_e32 vcc_lo, 11, v17
	s_delay_alu instid0(VALU_DEP_2) | instskip(SKIP_1) | instid1(VALU_DEP_1)
	v_ashrrev_i32_e32 v9, 31, v8
	v_add_co_u32 v14, s0, s6, v8
	v_add_co_ci_u32_e64 v15, s0, s7, v9, s0
	s_cbranch_vccnz .LBB7_1449
; %bb.1443:
	v_cmp_lt_i16_e32 vcc_lo, 25, v17
	s_mov_b32 s6, 0
	s_cbranch_vccz .LBB7_1450
; %bb.1444:
	v_cmp_lt_i16_e32 vcc_lo, 28, v17
	s_cbranch_vccz .LBB7_1451
; %bb.1445:
	v_cmp_lt_i16_e32 vcc_lo, 43, v17
	;; [unrolled: 3-line block ×3, first 2 shown]
	s_cbranch_vccz .LBB7_1455
; %bb.1447:
	v_cmp_eq_u16_e32 vcc_lo, 46, v17
	s_mov_b32 s1, 0
	s_cbranch_vccz .LBB7_1458
; %bb.1448:
	global_load_b32 v8, v[14:15], off
	s_mov_b32 s3, 0
	s_mov_b32 s0, -1
	s_waitcnt vmcnt(0)
	v_lshlrev_b32_e32 v8, 16, v8
	s_delay_alu instid0(VALU_DEP_1)
	v_cvt_f64_f32_e32 v[8:9], v8
	s_branch .LBB7_1460
.LBB7_1449:
	s_mov_b32 s1, -1
	s_mov_b32 s0, 0
                                        ; implicit-def: $vgpr8_vgpr9
	s_branch .LBB7_1526
.LBB7_1450:
	s_mov_b32 s1, -1
	s_mov_b32 s0, 0
	s_mov_b32 s3, 0
                                        ; implicit-def: $vgpr8_vgpr9
	s_branch .LBB7_1491
.LBB7_1451:
	s_mov_b32 s1, -1
	s_mov_b32 s0, 0
	s_mov_b32 s3, 0
                                        ; implicit-def: $vgpr8_vgpr9
	s_branch .LBB7_1470
.LBB7_1452:
	s_mov_b32 s1, -1
	s_mov_b32 s0, 0
	s_mov_b32 s3, 0
                                        ; implicit-def: $vgpr8_vgpr9
	s_branch .LBB7_1465
.LBB7_1453:
	s_cbranch_execnz .LBB7_1456
; %bb.1454:
	s_or_b32 s13, s13, exec_lo
                                        ; implicit-def: $vgpr6_vgpr7
	s_cbranch_execz .LBB7_1437
	s_branch .LBB7_1438
.LBB7_1455:
	s_mov_b32 s1, -1
	s_mov_b32 s0, 0
	s_mov_b32 s3, 0
	s_branch .LBB7_1459
.LBB7_1456:
	s_trap 2
	s_sendmsg_rtn_b32 s0, sendmsg(MSG_RTN_GET_DOORBELL)
	s_mov_b32 ttmp2, m0
	s_waitcnt lgkmcnt(0)
	s_and_b32 s0, s0, 0x3ff
	s_delay_alu instid0(SALU_CYCLE_1) | instskip(NEXT) | instid1(SALU_CYCLE_1)
	s_bitset1_b32 s0, 10
	s_mov_b32 m0, s0
	s_sendmsg sendmsg(MSG_INTERRUPT)
	s_mov_b32 m0, ttmp2
.LBB7_1457:                             ; =>This Inner Loop Header: Depth=1
	s_sethalt 5
	s_branch .LBB7_1457
.LBB7_1458:
	s_mov_b32 s3, -1
	s_mov_b32 s0, 0
.LBB7_1459:
                                        ; implicit-def: $vgpr8_vgpr9
.LBB7_1460:
	s_and_b32 vcc_lo, exec_lo, s1
	s_cbranch_vccz .LBB7_1464
; %bb.1461:
	v_cmp_eq_u16_e32 vcc_lo, 44, v17
	s_cbranch_vccz .LBB7_1463
; %bb.1462:
	global_load_u8 v18, v[14:15], off
	s_mov_b32 s3, 0
	s_mov_b32 s0, -1
	s_waitcnt vmcnt(0)
	v_cmp_ne_u32_e32 vcc_lo, 0xff, v18
	v_lshlrev_b32_e32 v8, 23, v18
	s_delay_alu instid0(VALU_DEP_1) | instskip(NEXT) | instid1(VALU_DEP_1)
	v_cvt_f64_f32_e32 v[8:9], v8
	v_cndmask_b32_e32 v9, 0x7ff80000, v9, vcc_lo
	s_delay_alu instid0(VALU_DEP_2) | instskip(SKIP_1) | instid1(VALU_DEP_3)
	v_cndmask_b32_e32 v8, 0x20000000, v8, vcc_lo
	v_cmp_ne_u32_e32 vcc_lo, 0, v18
	v_cndmask_b32_e32 v9, 0x38000000, v9, vcc_lo
	s_delay_alu instid0(VALU_DEP_3)
	v_cndmask_b32_e32 v8, 0, v8, vcc_lo
	s_branch .LBB7_1464
.LBB7_1463:
	s_mov_b32 s3, -1
                                        ; implicit-def: $vgpr8_vgpr9
.LBB7_1464:
	s_mov_b32 s1, 0
.LBB7_1465:
	s_delay_alu instid0(SALU_CYCLE_1)
	s_and_b32 vcc_lo, exec_lo, s1
	s_cbranch_vccz .LBB7_1469
; %bb.1466:
	v_cmp_eq_u16_e32 vcc_lo, 29, v17
	s_cbranch_vccz .LBB7_1468
; %bb.1467:
	global_load_b64 v[8:9], v[14:15], off
	s_mov_b32 s3, 0
	s_mov_b32 s0, -1
	s_mov_b32 s1, 0
	s_waitcnt vmcnt(0)
	v_cvt_f64_u32_e32 v[22:23], v9
	v_cvt_f64_u32_e32 v[8:9], v8
	s_delay_alu instid0(VALU_DEP_2) | instskip(NEXT) | instid1(VALU_DEP_1)
	v_ldexp_f64 v[22:23], v[22:23], 32
	v_add_f64 v[8:9], v[22:23], v[8:9]
	s_branch .LBB7_1470
.LBB7_1468:
	s_mov_b32 s3, -1
                                        ; implicit-def: $vgpr8_vgpr9
.LBB7_1469:
	s_mov_b32 s1, 0
.LBB7_1470:
	s_delay_alu instid0(SALU_CYCLE_1)
	s_and_b32 vcc_lo, exec_lo, s1
	s_cbranch_vccz .LBB7_1490
; %bb.1471:
	v_cmp_gt_i16_e32 vcc_lo, 27, v17
	s_cbranch_vccnz .LBB7_1474
; %bb.1472:
	v_cmp_lt_i16_e32 vcc_lo, 27, v17
	s_cbranch_vccz .LBB7_1475
; %bb.1473:
	global_load_b32 v8, v[14:15], off
	s_mov_b32 s0, 0
	s_waitcnt vmcnt(0)
	v_cvt_f64_u32_e32 v[8:9], v8
	s_branch .LBB7_1476
.LBB7_1474:
	s_mov_b32 s0, -1
                                        ; implicit-def: $vgpr8_vgpr9
	s_branch .LBB7_1479
.LBB7_1475:
	s_mov_b32 s0, -1
                                        ; implicit-def: $vgpr8_vgpr9
.LBB7_1476:
	s_delay_alu instid0(SALU_CYCLE_1)
	s_and_not1_b32 vcc_lo, exec_lo, s0
	s_cbranch_vccnz .LBB7_1478
; %bb.1477:
	global_load_u16 v8, v[14:15], off
	s_waitcnt vmcnt(0)
	v_cvt_f64_u32_e32 v[8:9], v8
.LBB7_1478:
	s_mov_b32 s0, 0
.LBB7_1479:
	s_delay_alu instid0(SALU_CYCLE_1)
	s_and_not1_b32 vcc_lo, exec_lo, s0
	s_cbranch_vccnz .LBB7_1489
; %bb.1480:
	global_load_u8 v18, v[14:15], off
	s_mov_b32 s7, 0
	s_mov_b32 s16, exec_lo
                                        ; implicit-def: $sgpr0_sgpr1
	s_waitcnt vmcnt(0)
	v_cmpx_lt_i16_e32 0x7f, v18
	s_xor_b32 s16, exec_lo, s16
	s_cbranch_execz .LBB7_1484
; %bb.1481:
	s_mov_b32 s17, -1
	s_mov_b32 s7, exec_lo
                                        ; implicit-def: $sgpr0_sgpr1
	v_cmpx_eq_u16_e32 0x80, v18
; %bb.1482:
	s_mov_b32 s1, 0x7ff80000
	s_brev_b32 s0, 4
	s_xor_b32 s17, exec_lo, -1
; %bb.1483:
	s_or_b32 exec_lo, exec_lo, s7
	s_delay_alu instid0(SALU_CYCLE_1)
	s_and_b32 s7, s17, exec_lo
.LBB7_1484:
	s_or_saveexec_b32 s16, s16
	v_dual_mov_b32 v9, s1 :: v_dual_mov_b32 v8, s0
	s_xor_b32 exec_lo, exec_lo, s16
; %bb.1485:
	v_cmp_ne_u16_e32 vcc_lo, 0, v18
	v_mov_b32_e32 v8, 0
	v_mov_b32_e32 v9, 0
	s_and_not1_b32 s0, s7, exec_lo
	s_and_b32 s1, vcc_lo, exec_lo
	s_delay_alu instid0(SALU_CYCLE_1)
	s_or_b32 s7, s0, s1
; %bb.1486:
	s_or_b32 exec_lo, exec_lo, s16
	s_and_saveexec_b32 s0, s7
	s_cbranch_execz .LBB7_1488
; %bb.1487:
	v_and_b32_e32 v8, 0xffff, v18
	v_lshlrev_b32_e32 v18, 24, v18
	s_delay_alu instid0(VALU_DEP_2) | instskip(NEXT) | instid1(VALU_DEP_2)
	v_and_b32_e32 v9, 7, v8
	v_and_b32_e32 v18, 0x80000000, v18
	s_delay_alu instid0(VALU_DEP_2) | instskip(NEXT) | instid1(VALU_DEP_1)
	v_clz_i32_u32_e32 v22, v9
	v_min_u32_e32 v22, 32, v22
	s_delay_alu instid0(VALU_DEP_1) | instskip(SKIP_1) | instid1(VALU_DEP_2)
	v_subrev_nc_u32_e32 v23, 28, v22
	v_sub_nc_u32_e32 v22, 29, v22
	v_lshlrev_b32_e32 v23, v23, v8
	v_bfe_u32 v8, v8, 3, 4
	s_delay_alu instid0(VALU_DEP_2) | instskip(NEXT) | instid1(VALU_DEP_2)
	v_and_b32_e32 v23, 7, v23
	v_cmp_eq_u32_e32 vcc_lo, 0, v8
	s_delay_alu instid0(VALU_DEP_2) | instskip(NEXT) | instid1(VALU_DEP_1)
	v_dual_cndmask_b32 v8, v8, v22 :: v_dual_cndmask_b32 v9, v9, v23
	v_lshl_add_u32 v8, v8, 23, 0x3b800000
	s_delay_alu instid0(VALU_DEP_2) | instskip(NEXT) | instid1(VALU_DEP_1)
	v_lshlrev_b32_e32 v9, 20, v9
	v_or3_b32 v8, v18, v8, v9
	s_delay_alu instid0(VALU_DEP_1)
	v_cvt_f64_f32_e32 v[8:9], v8
.LBB7_1488:
	s_or_b32 exec_lo, exec_lo, s0
.LBB7_1489:
	s_mov_b32 s0, -1
.LBB7_1490:
	s_mov_b32 s1, 0
.LBB7_1491:
	s_delay_alu instid0(SALU_CYCLE_1)
	s_and_b32 vcc_lo, exec_lo, s1
	s_cbranch_vccz .LBB7_1522
; %bb.1492:
	v_cmp_lt_i16_e32 vcc_lo, 22, v17
	s_cbranch_vccz .LBB7_1504
; %bb.1493:
	v_cmp_gt_i16_e32 vcc_lo, 24, v17
	s_cbranch_vccnz .LBB7_1505
; %bb.1494:
	v_cmp_lt_i16_e32 vcc_lo, 24, v17
	s_cbranch_vccz .LBB7_1506
; %bb.1495:
	global_load_u8 v18, v[14:15], off
	s_mov_b32 s7, exec_lo
                                        ; implicit-def: $sgpr0_sgpr1
	s_waitcnt vmcnt(0)
	v_cmpx_lt_i16_e32 0x7f, v18
	s_xor_b32 s7, exec_lo, s7
	s_cbranch_execz .LBB7_1499
; %bb.1496:
	s_mov_b32 s16, -1
	s_mov_b32 s6, exec_lo
                                        ; implicit-def: $sgpr0_sgpr1
	v_cmpx_eq_u16_e32 0x80, v18
; %bb.1497:
	s_mov_b32 s1, 0x7ff80000
	s_brev_b32 s0, 4
	s_xor_b32 s16, exec_lo, -1
; %bb.1498:
	s_or_b32 exec_lo, exec_lo, s6
	s_delay_alu instid0(SALU_CYCLE_1)
	s_and_b32 s6, s16, exec_lo
.LBB7_1499:
	s_or_saveexec_b32 s7, s7
	v_dual_mov_b32 v9, s1 :: v_dual_mov_b32 v8, s0
	s_xor_b32 exec_lo, exec_lo, s7
; %bb.1500:
	v_cmp_ne_u16_e32 vcc_lo, 0, v18
	v_mov_b32_e32 v8, 0
	v_mov_b32_e32 v9, 0
	s_and_not1_b32 s0, s6, exec_lo
	s_and_b32 s1, vcc_lo, exec_lo
	s_delay_alu instid0(SALU_CYCLE_1)
	s_or_b32 s6, s0, s1
; %bb.1501:
	s_or_b32 exec_lo, exec_lo, s7
	s_and_saveexec_b32 s0, s6
	s_cbranch_execz .LBB7_1503
; %bb.1502:
	v_and_b32_e32 v8, 0xffff, v18
	v_lshlrev_b32_e32 v18, 24, v18
	s_delay_alu instid0(VALU_DEP_2) | instskip(NEXT) | instid1(VALU_DEP_2)
	v_and_b32_e32 v9, 3, v8
	v_and_b32_e32 v18, 0x80000000, v18
	s_delay_alu instid0(VALU_DEP_2) | instskip(NEXT) | instid1(VALU_DEP_1)
	v_clz_i32_u32_e32 v22, v9
	v_min_u32_e32 v22, 32, v22
	s_delay_alu instid0(VALU_DEP_1) | instskip(SKIP_1) | instid1(VALU_DEP_2)
	v_subrev_nc_u32_e32 v23, 29, v22
	v_sub_nc_u32_e32 v22, 30, v22
	v_lshlrev_b32_e32 v23, v23, v8
	v_bfe_u32 v8, v8, 2, 5
	s_delay_alu instid0(VALU_DEP_2) | instskip(NEXT) | instid1(VALU_DEP_2)
	v_and_b32_e32 v23, 3, v23
	v_cmp_eq_u32_e32 vcc_lo, 0, v8
	s_delay_alu instid0(VALU_DEP_2) | instskip(NEXT) | instid1(VALU_DEP_1)
	v_dual_cndmask_b32 v8, v8, v22 :: v_dual_cndmask_b32 v9, v9, v23
	v_lshl_add_u32 v8, v8, 23, 0x37800000
	s_delay_alu instid0(VALU_DEP_2) | instskip(NEXT) | instid1(VALU_DEP_1)
	v_lshlrev_b32_e32 v9, 21, v9
	v_or3_b32 v8, v18, v8, v9
	s_delay_alu instid0(VALU_DEP_1)
	v_cvt_f64_f32_e32 v[8:9], v8
.LBB7_1503:
	s_or_b32 exec_lo, exec_lo, s0
	s_mov_b32 s0, 0
	s_branch .LBB7_1507
.LBB7_1504:
	s_mov_b32 s1, -1
                                        ; implicit-def: $vgpr8_vgpr9
	s_branch .LBB7_1513
.LBB7_1505:
	s_mov_b32 s0, -1
                                        ; implicit-def: $vgpr8_vgpr9
	s_branch .LBB7_1510
.LBB7_1506:
	s_mov_b32 s0, -1
                                        ; implicit-def: $vgpr8_vgpr9
.LBB7_1507:
	s_delay_alu instid0(SALU_CYCLE_1)
	s_and_b32 vcc_lo, exec_lo, s0
	s_cbranch_vccz .LBB7_1509
; %bb.1508:
	global_load_u8 v8, v[14:15], off
	s_waitcnt vmcnt(0)
	v_lshlrev_b32_e32 v8, 24, v8
	s_delay_alu instid0(VALU_DEP_1) | instskip(NEXT) | instid1(VALU_DEP_1)
	v_and_b32_e32 v9, 0x7f000000, v8
	v_clz_i32_u32_e32 v18, v9
	v_add_nc_u32_e32 v23, 0x1000000, v9
	v_cmp_ne_u32_e32 vcc_lo, 0, v9
	s_delay_alu instid0(VALU_DEP_3) | instskip(NEXT) | instid1(VALU_DEP_1)
	v_min_u32_e32 v18, 32, v18
	v_sub_nc_u32_e64 v18, v18, 4 clamp
	s_delay_alu instid0(VALU_DEP_1) | instskip(SKIP_1) | instid1(VALU_DEP_2)
	v_lshlrev_b32_e32 v22, v18, v9
	v_lshlrev_b32_e32 v18, 23, v18
	v_lshrrev_b32_e32 v22, 4, v22
	s_delay_alu instid0(VALU_DEP_1) | instskip(SKIP_1) | instid1(VALU_DEP_2)
	v_sub_nc_u32_e32 v18, v22, v18
	v_ashrrev_i32_e32 v22, 8, v23
	v_add_nc_u32_e32 v18, 0x3c000000, v18
	s_delay_alu instid0(VALU_DEP_1) | instskip(NEXT) | instid1(VALU_DEP_1)
	v_and_or_b32 v18, 0x7f800000, v22, v18
	v_cndmask_b32_e32 v9, 0, v18, vcc_lo
	s_delay_alu instid0(VALU_DEP_1) | instskip(NEXT) | instid1(VALU_DEP_1)
	v_and_or_b32 v8, 0x80000000, v8, v9
	v_cvt_f64_f32_e32 v[8:9], v8
.LBB7_1509:
	s_mov_b32 s0, 0
.LBB7_1510:
	s_delay_alu instid0(SALU_CYCLE_1)
	s_and_not1_b32 vcc_lo, exec_lo, s0
	s_cbranch_vccnz .LBB7_1512
; %bb.1511:
	global_load_u8 v8, v[14:15], off
	s_waitcnt vmcnt(0)
	v_lshlrev_b32_e32 v9, 25, v8
	v_lshlrev_b16 v8, 8, v8
	s_delay_alu instid0(VALU_DEP_1) | instskip(SKIP_1) | instid1(VALU_DEP_2)
	v_and_or_b32 v22, 0x7f00, v8, 0.5
	v_bfe_i32 v8, v8, 0, 16
	v_add_f32_e32 v22, -0.5, v22
	v_lshrrev_b32_e32 v18, 4, v9
	v_cmp_gt_u32_e32 vcc_lo, 0x8000000, v9
	s_delay_alu instid0(VALU_DEP_2) | instskip(NEXT) | instid1(VALU_DEP_1)
	v_or_b32_e32 v18, 0x70000000, v18
	v_mul_f32_e32 v18, 0x7800000, v18
	s_delay_alu instid0(VALU_DEP_1) | instskip(NEXT) | instid1(VALU_DEP_1)
	v_cndmask_b32_e32 v9, v18, v22, vcc_lo
	v_and_or_b32 v8, 0x80000000, v8, v9
	s_delay_alu instid0(VALU_DEP_1)
	v_cvt_f64_f32_e32 v[8:9], v8
.LBB7_1512:
	s_mov_b32 s1, 0
	s_mov_b32 s0, -1
.LBB7_1513:
	s_and_not1_b32 vcc_lo, exec_lo, s1
	s_mov_b32 s6, 0
	s_cbranch_vccnz .LBB7_1522
; %bb.1514:
	v_cmp_lt_i16_e32 vcc_lo, 14, v17
	s_cbranch_vccz .LBB7_1517
; %bb.1515:
	v_cmp_eq_u16_e32 vcc_lo, 15, v17
	s_cbranch_vccz .LBB7_1518
; %bb.1516:
	global_load_u16 v8, v[14:15], off
	s_mov_b32 s3, 0
	s_mov_b32 s0, -1
	s_waitcnt vmcnt(0)
	v_lshlrev_b32_e32 v8, 16, v8
	s_delay_alu instid0(VALU_DEP_1)
	v_cvt_f64_f32_e32 v[8:9], v8
	s_branch .LBB7_1519
.LBB7_1517:
	s_mov_b32 s1, -1
                                        ; implicit-def: $vgpr8_vgpr9
	s_branch .LBB7_1520
.LBB7_1518:
	s_mov_b32 s3, -1
                                        ; implicit-def: $vgpr8_vgpr9
.LBB7_1519:
	s_mov_b32 s1, 0
.LBB7_1520:
	s_delay_alu instid0(SALU_CYCLE_1)
	s_and_b32 vcc_lo, exec_lo, s1
	s_cbranch_vccz .LBB7_1522
; %bb.1521:
	v_cmp_ne_u16_e64 s3, 11, v17
	s_mov_b32 s6, -1
                                        ; implicit-def: $vgpr8_vgpr9
.LBB7_1522:
	s_delay_alu instid0(VALU_DEP_1)
	s_and_b32 vcc_lo, exec_lo, s3
	s_cbranch_vccnz .LBB7_2057
; %bb.1523:
	s_and_not1_b32 vcc_lo, exec_lo, s6
	s_cbranch_vccnz .LBB7_1525
.LBB7_1524:
	global_load_u8 v8, v[14:15], off
	s_mov_b32 s0, -1
	s_waitcnt vmcnt(0)
	v_cmp_ne_u16_e32 vcc_lo, 0, v8
	v_mov_b32_e32 v8, 0
	v_cndmask_b32_e64 v9, 0, 0x3ff00000, vcc_lo
.LBB7_1525:
	s_mov_b32 s1, 0
.LBB7_1526:
	s_delay_alu instid0(SALU_CYCLE_1)
	s_and_b32 vcc_lo, exec_lo, s1
	s_cbranch_vccz .LBB7_1575
; %bb.1527:
	v_cmp_gt_i16_e32 vcc_lo, 5, v17
	s_cbranch_vccnz .LBB7_1532
; %bb.1528:
	v_cmp_gt_i16_e32 vcc_lo, 8, v17
	s_cbranch_vccnz .LBB7_1533
	;; [unrolled: 3-line block ×3, first 2 shown]
; %bb.1530:
	v_cmp_lt_i16_e32 vcc_lo, 9, v17
	s_cbranch_vccz .LBB7_1535
; %bb.1531:
	global_load_b64 v[8:9], v[14:15], off
	s_mov_b32 s0, 0
	s_branch .LBB7_1536
.LBB7_1532:
	s_mov_b32 s0, -1
                                        ; implicit-def: $vgpr8_vgpr9
	s_branch .LBB7_1554
.LBB7_1533:
	s_mov_b32 s0, -1
                                        ; implicit-def: $vgpr8_vgpr9
	s_branch .LBB7_1542
.LBB7_1534:
	s_mov_b32 s0, -1
                                        ; implicit-def: $vgpr8_vgpr9
	s_branch .LBB7_1539
.LBB7_1535:
	s_mov_b32 s0, -1
                                        ; implicit-def: $vgpr8_vgpr9
.LBB7_1536:
	s_delay_alu instid0(SALU_CYCLE_1)
	s_and_not1_b32 vcc_lo, exec_lo, s0
	s_cbranch_vccnz .LBB7_1538
; %bb.1537:
	global_load_b32 v8, v[14:15], off
	s_waitcnt vmcnt(0)
	v_cvt_f64_f32_e32 v[8:9], v8
.LBB7_1538:
	s_mov_b32 s0, 0
.LBB7_1539:
	s_delay_alu instid0(SALU_CYCLE_1)
	s_and_not1_b32 vcc_lo, exec_lo, s0
	s_cbranch_vccnz .LBB7_1541
; %bb.1540:
	global_load_b32 v8, v[14:15], off
	s_waitcnt vmcnt(0)
	v_cvt_f32_f16_e32 v8, v8
	s_delay_alu instid0(VALU_DEP_1)
	v_cvt_f64_f32_e32 v[8:9], v8
.LBB7_1541:
	s_mov_b32 s0, 0
.LBB7_1542:
	s_delay_alu instid0(SALU_CYCLE_1)
	s_and_not1_b32 vcc_lo, exec_lo, s0
	s_cbranch_vccnz .LBB7_1553
; %bb.1543:
	v_cmp_gt_i16_e32 vcc_lo, 6, v17
	s_cbranch_vccnz .LBB7_1546
; %bb.1544:
	v_cmp_lt_i16_e32 vcc_lo, 6, v17
	s_cbranch_vccz .LBB7_1547
; %bb.1545:
	global_load_b64 v[8:9], v[14:15], off
	s_mov_b32 s0, 0
	s_branch .LBB7_1548
.LBB7_1546:
	s_mov_b32 s0, -1
                                        ; implicit-def: $vgpr8_vgpr9
	s_branch .LBB7_1551
.LBB7_1547:
	s_mov_b32 s0, -1
                                        ; implicit-def: $vgpr8_vgpr9
.LBB7_1548:
	s_delay_alu instid0(SALU_CYCLE_1)
	s_and_not1_b32 vcc_lo, exec_lo, s0
	s_cbranch_vccnz .LBB7_1550
; %bb.1549:
	global_load_b32 v8, v[14:15], off
	s_waitcnt vmcnt(0)
	v_cvt_f64_f32_e32 v[8:9], v8
.LBB7_1550:
	s_mov_b32 s0, 0
.LBB7_1551:
	s_delay_alu instid0(SALU_CYCLE_1)
	s_and_not1_b32 vcc_lo, exec_lo, s0
	s_cbranch_vccnz .LBB7_1553
; %bb.1552:
	global_load_u16 v8, v[14:15], off
	s_waitcnt vmcnt(0)
	v_cvt_f32_f16_e32 v8, v8
	s_delay_alu instid0(VALU_DEP_1)
	v_cvt_f64_f32_e32 v[8:9], v8
.LBB7_1553:
	s_mov_b32 s0, 0
.LBB7_1554:
	s_delay_alu instid0(SALU_CYCLE_1)
	s_and_not1_b32 vcc_lo, exec_lo, s0
	s_cbranch_vccnz .LBB7_1574
; %bb.1555:
	v_cmp_gt_i16_e32 vcc_lo, 2, v17
	s_cbranch_vccnz .LBB7_1559
; %bb.1556:
	v_cmp_gt_i16_e32 vcc_lo, 3, v17
	s_cbranch_vccnz .LBB7_1560
; %bb.1557:
	v_cmp_lt_i16_e32 vcc_lo, 3, v17
	s_cbranch_vccz .LBB7_1561
; %bb.1558:
	global_load_b64 v[8:9], v[14:15], off
	s_mov_b32 s0, 0
	s_waitcnt vmcnt(0)
	v_cvt_f64_i32_e32 v[22:23], v9
	v_cvt_f64_u32_e32 v[8:9], v8
	s_delay_alu instid0(VALU_DEP_2) | instskip(NEXT) | instid1(VALU_DEP_1)
	v_ldexp_f64 v[22:23], v[22:23], 32
	v_add_f64 v[8:9], v[22:23], v[8:9]
	s_branch .LBB7_1562
.LBB7_1559:
	s_mov_b32 s0, -1
                                        ; implicit-def: $vgpr8_vgpr9
	s_branch .LBB7_1568
.LBB7_1560:
	s_mov_b32 s0, -1
                                        ; implicit-def: $vgpr8_vgpr9
	s_branch .LBB7_1565
.LBB7_1561:
	s_mov_b32 s0, -1
                                        ; implicit-def: $vgpr8_vgpr9
.LBB7_1562:
	s_delay_alu instid0(SALU_CYCLE_1)
	s_and_not1_b32 vcc_lo, exec_lo, s0
	s_cbranch_vccnz .LBB7_1564
; %bb.1563:
	global_load_b32 v8, v[14:15], off
	s_waitcnt vmcnt(0)
	v_cvt_f64_i32_e32 v[8:9], v8
.LBB7_1564:
	s_mov_b32 s0, 0
.LBB7_1565:
	s_delay_alu instid0(SALU_CYCLE_1)
	s_and_not1_b32 vcc_lo, exec_lo, s0
	s_cbranch_vccnz .LBB7_1567
; %bb.1566:
	global_load_i16 v8, v[14:15], off
	s_waitcnt vmcnt(0)
	v_cvt_f64_i32_e32 v[8:9], v8
.LBB7_1567:
	s_mov_b32 s0, 0
.LBB7_1568:
	s_delay_alu instid0(SALU_CYCLE_1)
	s_and_not1_b32 vcc_lo, exec_lo, s0
	s_cbranch_vccnz .LBB7_1574
; %bb.1569:
	v_cmp_lt_i16_e32 vcc_lo, 0, v17
	s_mov_b32 s0, 0
	s_cbranch_vccz .LBB7_1571
; %bb.1570:
	global_load_i8 v8, v[14:15], off
	s_waitcnt vmcnt(0)
	v_cvt_f64_i32_e32 v[8:9], v8
	s_branch .LBB7_1572
.LBB7_1571:
	s_mov_b32 s0, -1
                                        ; implicit-def: $vgpr8_vgpr9
.LBB7_1572:
	s_delay_alu instid0(SALU_CYCLE_1)
	s_and_not1_b32 vcc_lo, exec_lo, s0
	s_cbranch_vccnz .LBB7_1574
; %bb.1573:
	global_load_u8 v8, v[14:15], off
	s_waitcnt vmcnt(0)
	v_cvt_f64_u32_e32 v[8:9], v8
.LBB7_1574:
	s_mov_b32 s0, -1
.LBB7_1575:
	s_delay_alu instid0(SALU_CYCLE_1)
	s_and_not1_b32 vcc_lo, exec_lo, s0
	s_cbranch_vccnz .LBB7_2011
; %bb.1576:
	s_waitcnt vmcnt(0)
	s_delay_alu instid0(VALU_DEP_1) | instskip(SKIP_3) | instid1(VALU_DEP_3)
	v_cvt_f32_f64_e32 v17, v[8:9]
	v_dual_mov_b32 v15, v13 :: v_dual_mov_b32 v14, v12
	v_mov_b32_e32 v22, v21
	s_mov_b32 s0, exec_lo
	v_cmpx_nlg_f32_e64 0x7f800000, |v17|
	s_cbranch_execz .LBB7_1578
; %bb.1577:
	v_dual_mov_b32 v14, 0 :: v_dual_mov_b32 v15, 1.0
	global_store_b32 v14, v15, s[8:9]
	global_load_b32 v22, v14, s[10:11]
	s_waitcnt vmcnt(0)
	v_cvt_f64_f32_e32 v[14:15], v22
.LBB7_1578:
	s_or_b32 exec_lo, exec_lo, s0
	v_mul_f64 v[2:3], v[0:1], v[2:3]
	v_mul_lo_u32 v23, s2, v16
	v_and_b32_e64 v18, 0xff, s12
	v_cmp_eq_f32_e32 vcc_lo, 1.0, v19
	s_delay_alu instid0(VALU_DEP_2) | instskip(NEXT) | instid1(VALU_DEP_4)
	v_cmp_gt_i16_e64 s0, 11, v18
	v_ashrrev_i32_e32 v17, 31, v23
	v_add_co_u32 v16, s1, s4, v23
	s_delay_alu instid0(VALU_DEP_1)
	v_add_co_ci_u32_e64 v17, s1, s5, v17, s1
	v_dual_cndmask_b32 v1, v3, v1 :: v_dual_cndmask_b32 v0, v2, v0
	s_and_b32 vcc_lo, exec_lo, s0
	s_cbranch_vccnz .LBB7_1656
; %bb.1579:
	v_cmp_lt_i16_e32 vcc_lo, 25, v18
	s_mov_b32 s6, -1
	s_mov_b32 s1, 0
	s_mov_b32 s3, 0
	;; [unrolled: 1-line block ×3, first 2 shown]
	s_cbranch_vccz .LBB7_1612
; %bb.1580:
	v_cmp_lt_i16_e32 vcc_lo, 28, v18
	s_cbranch_vccz .LBB7_1595
; %bb.1581:
	v_cmp_lt_i16_e32 vcc_lo, 43, v18
	;; [unrolled: 3-line block ×3, first 2 shown]
	s_cbranch_vccz .LBB7_1585
; %bb.1583:
	v_cmp_eq_u16_e32 vcc_lo, 46, v18
	s_mov_b32 s0, -1
	s_mov_b32 s6, 0
	s_cbranch_vccz .LBB7_1585
; %bb.1584:
	v_cvt_f32_f64_e32 v2, v[0:1]
	s_mov_b32 s0, 0
	s_mov_b32 s3, -1
	s_delay_alu instid0(VALU_DEP_1) | instskip(SKIP_1) | instid1(VALU_DEP_2)
	v_bfe_u32 v3, v2, 16, 1
	v_cmp_o_f32_e32 vcc_lo, v2, v2
	v_add3_u32 v3, v2, v3, 0x7fff
	s_delay_alu instid0(VALU_DEP_1) | instskip(NEXT) | instid1(VALU_DEP_1)
	v_lshrrev_b32_e32 v3, 16, v3
	v_cndmask_b32_e32 v2, 0x7fc0, v3, vcc_lo
	global_store_b32 v[16:17], v2, off
.LBB7_1585:
	s_and_b32 vcc_lo, exec_lo, s6
	s_cbranch_vccz .LBB7_1590
; %bb.1586:
	v_cmp_eq_u16_e32 vcc_lo, 44, v18
	s_mov_b32 s0, -1
	s_cbranch_vccz .LBB7_1590
; %bb.1587:
	v_cvt_f32_f64_e32 v2, v[0:1]
	v_mov_b32_e32 v3, 0xff
	s_mov_b32 s3, exec_lo
	s_delay_alu instid0(VALU_DEP_2) | instskip(NEXT) | instid1(VALU_DEP_1)
	v_bfe_u32 v19, v2, 23, 8
	v_cmpx_ne_u32_e32 0xff, v19
; %bb.1588:
	v_and_b32_e32 v3, 0x400000, v2
	v_and_or_b32 v19, 0x3fffff, v2, v19
	v_lshrrev_b32_e32 v2, 23, v2
	s_delay_alu instid0(VALU_DEP_3) | instskip(NEXT) | instid1(VALU_DEP_3)
	v_cmp_ne_u32_e32 vcc_lo, 0, v3
	v_cmp_ne_u32_e64 s0, 0, v19
	s_delay_alu instid0(VALU_DEP_1) | instskip(NEXT) | instid1(SALU_CYCLE_1)
	s_and_b32 s0, vcc_lo, s0
	v_cndmask_b32_e64 v3, 0, 1, s0
	s_delay_alu instid0(VALU_DEP_1)
	v_add_nc_u32_e32 v3, v2, v3
; %bb.1589:
	s_or_b32 exec_lo, exec_lo, s3
	s_mov_b32 s0, 0
	s_mov_b32 s3, -1
	global_store_b8 v[16:17], v3, off
.LBB7_1590:
	s_mov_b32 s6, 0
.LBB7_1591:
	s_delay_alu instid0(SALU_CYCLE_1)
	s_and_b32 vcc_lo, exec_lo, s6
	s_cbranch_vccz .LBB7_1594
; %bb.1592:
	v_cmp_eq_u16_e32 vcc_lo, 29, v18
	s_mov_b32 s0, -1
	s_cbranch_vccz .LBB7_1594
; %bb.1593:
	v_trunc_f64_e32 v[2:3], v[0:1]
	s_mov_b32 s0, 0
	s_mov_b32 s3, -1
	s_delay_alu instid0(VALU_DEP_1) | instskip(NEXT) | instid1(VALU_DEP_1)
	v_ldexp_f64 v[24:25], v[2:3], 0xffffffe0
	v_floor_f64_e32 v[24:25], v[24:25]
	s_delay_alu instid0(VALU_DEP_1) | instskip(SKIP_1) | instid1(VALU_DEP_2)
	v_fma_f64 v[2:3], 0xc1f00000, v[24:25], v[2:3]
	v_cvt_u32_f64_e32 v25, v[24:25]
	v_cvt_u32_f64_e32 v24, v[2:3]
	global_store_b64 v[16:17], v[24:25], off
.LBB7_1594:
	s_mov_b32 s6, 0
.LBB7_1595:
	s_delay_alu instid0(SALU_CYCLE_1)
	s_and_b32 vcc_lo, exec_lo, s6
	s_cbranch_vccz .LBB7_1611
; %bb.1596:
	v_cmp_gt_i16_e32 vcc_lo, 27, v18
	s_mov_b32 s3, -1
	s_cbranch_vccnz .LBB7_1602
; %bb.1597:
	v_cvt_u32_f64_e32 v2, v[0:1]
	v_cmp_lt_i16_e32 vcc_lo, 27, v18
	s_cbranch_vccz .LBB7_1599
; %bb.1598:
	s_mov_b32 s3, 0
	global_store_b32 v[16:17], v2, off
.LBB7_1599:
	s_and_not1_b32 vcc_lo, exec_lo, s3
	s_cbranch_vccnz .LBB7_1601
; %bb.1600:
	global_store_b16 v[16:17], v2, off
.LBB7_1601:
	s_mov_b32 s3, 0
.LBB7_1602:
	s_delay_alu instid0(SALU_CYCLE_1)
	s_and_not1_b32 vcc_lo, exec_lo, s3
	s_cbranch_vccnz .LBB7_1610
; %bb.1603:
	v_cvt_f32_f64_e32 v2, v[0:1]
	v_mov_b32_e32 v19, 0x80
	s_mov_b32 s3, exec_lo
	s_delay_alu instid0(VALU_DEP_2) | instskip(NEXT) | instid1(VALU_DEP_1)
	v_and_b32_e32 v3, 0x7fffffff, v2
	v_cmpx_gt_u32_e32 0x43800000, v3
	s_cbranch_execz .LBB7_1609
; %bb.1604:
	v_cmp_lt_u32_e32 vcc_lo, 0x3bffffff, v3
	s_mov_b32 s6, 0
                                        ; implicit-def: $vgpr3
	s_and_saveexec_b32 s7, vcc_lo
	s_delay_alu instid0(SALU_CYCLE_1)
	s_xor_b32 s7, exec_lo, s7
	s_cbranch_execz .LBB7_2059
; %bb.1605:
	v_bfe_u32 v3, v2, 20, 1
	s_mov_b32 s6, exec_lo
	s_delay_alu instid0(VALU_DEP_1) | instskip(NEXT) | instid1(VALU_DEP_1)
	v_add3_u32 v3, v2, v3, 0x487ffff
	v_lshrrev_b32_e32 v3, 20, v3
	s_or_saveexec_b32 s7, s7
                                        ; implicit-def: $sgpr8
	s_delay_alu instid0(SALU_CYCLE_1)
	s_xor_b32 exec_lo, exec_lo, s7
	s_cbranch_execnz .LBB7_2060
.LBB7_1606:
	s_or_b32 exec_lo, exec_lo, s7
	v_mov_b32_e32 v19, s8
	s_and_saveexec_b32 s7, s6
.LBB7_1607:
	v_lshrrev_b32_e32 v2, 24, v2
	s_delay_alu instid0(VALU_DEP_1)
	v_and_or_b32 v19, 0x80, v2, v3
.LBB7_1608:
	s_or_b32 exec_lo, exec_lo, s7
.LBB7_1609:
	s_delay_alu instid0(SALU_CYCLE_1)
	s_or_b32 exec_lo, exec_lo, s3
	global_store_b8 v[16:17], v19, off
.LBB7_1610:
	s_mov_b32 s3, -1
.LBB7_1611:
	s_mov_b32 s6, 0
.LBB7_1612:
	s_delay_alu instid0(SALU_CYCLE_1)
	s_and_b32 vcc_lo, exec_lo, s6
	s_cbranch_vccz .LBB7_1652
; %bb.1613:
	v_cmp_lt_i16_e32 vcc_lo, 22, v18
	s_mov_b32 s1, -1
	s_cbranch_vccz .LBB7_1645
; %bb.1614:
	v_cmp_gt_i16_e32 vcc_lo, 24, v18
	s_cbranch_vccnz .LBB7_1634
; %bb.1615:
	v_cmp_lt_i16_e32 vcc_lo, 24, v18
	s_cbranch_vccz .LBB7_1623
; %bb.1616:
	v_cvt_f32_f64_e32 v2, v[0:1]
	v_mov_b32_e32 v19, 0x80
	s_mov_b32 s1, exec_lo
	s_delay_alu instid0(VALU_DEP_2) | instskip(NEXT) | instid1(VALU_DEP_1)
	v_and_b32_e32 v3, 0x7fffffff, v2
	v_cmpx_gt_u32_e32 0x47800000, v3
	s_cbranch_execz .LBB7_1622
; %bb.1617:
	v_cmp_lt_u32_e32 vcc_lo, 0x37ffffff, v3
	s_mov_b32 s3, 0
                                        ; implicit-def: $vgpr3
	s_and_saveexec_b32 s6, vcc_lo
	s_delay_alu instid0(SALU_CYCLE_1)
	s_xor_b32 s6, exec_lo, s6
	s_cbranch_execz .LBB7_2065
; %bb.1618:
	v_bfe_u32 v3, v2, 21, 1
	s_mov_b32 s3, exec_lo
	s_delay_alu instid0(VALU_DEP_1) | instskip(NEXT) | instid1(VALU_DEP_1)
	v_add3_u32 v3, v2, v3, 0x88fffff
	v_lshrrev_b32_e32 v3, 21, v3
	s_or_saveexec_b32 s6, s6
                                        ; implicit-def: $sgpr7
	s_delay_alu instid0(SALU_CYCLE_1)
	s_xor_b32 exec_lo, exec_lo, s6
	s_cbranch_execnz .LBB7_2066
.LBB7_1619:
	s_or_b32 exec_lo, exec_lo, s6
	v_mov_b32_e32 v19, s7
	s_and_saveexec_b32 s6, s3
.LBB7_1620:
	v_lshrrev_b32_e32 v2, 24, v2
	s_delay_alu instid0(VALU_DEP_1)
	v_and_or_b32 v19, 0x80, v2, v3
.LBB7_1621:
	s_or_b32 exec_lo, exec_lo, s6
.LBB7_1622:
	s_delay_alu instid0(SALU_CYCLE_1)
	s_or_b32 exec_lo, exec_lo, s1
	s_mov_b32 s1, 0
	global_store_b8 v[16:17], v19, off
.LBB7_1623:
	s_and_b32 vcc_lo, exec_lo, s1
	s_cbranch_vccz .LBB7_1633
; %bb.1624:
	v_cvt_f32_f64_e32 v2, v[0:1]
	s_mov_b32 s1, exec_lo
                                        ; implicit-def: $vgpr3
	s_delay_alu instid0(VALU_DEP_1) | instskip(NEXT) | instid1(VALU_DEP_1)
	v_and_b32_e32 v19, 0x7fffffff, v2
	v_cmpx_gt_u32_e32 0x43f00000, v19
	s_xor_b32 s1, exec_lo, s1
	s_cbranch_execz .LBB7_1630
; %bb.1625:
	s_mov_b32 s3, exec_lo
                                        ; implicit-def: $vgpr3
	v_cmpx_lt_u32_e32 0x3c7fffff, v19
	s_xor_b32 s3, exec_lo, s3
; %bb.1626:
	v_bfe_u32 v3, v2, 20, 1
	s_delay_alu instid0(VALU_DEP_1) | instskip(NEXT) | instid1(VALU_DEP_1)
	v_add3_u32 v3, v2, v3, 0x407ffff
	v_and_b32_e32 v19, 0xff00000, v3
	v_lshrrev_b32_e32 v3, 20, v3
	s_delay_alu instid0(VALU_DEP_2) | instskip(NEXT) | instid1(VALU_DEP_2)
	v_cmp_ne_u32_e32 vcc_lo, 0x7f00000, v19
	v_cndmask_b32_e32 v3, 0x7e, v3, vcc_lo
; %bb.1627:
	s_and_not1_saveexec_b32 s3, s3
; %bb.1628:
	v_add_f32_e64 v3, 0x46800000, |v2|
; %bb.1629:
	s_or_b32 exec_lo, exec_lo, s3
                                        ; implicit-def: $vgpr19
.LBB7_1630:
	s_and_not1_saveexec_b32 s1, s1
; %bb.1631:
	v_mov_b32_e32 v3, 0x7f
	v_cmp_lt_u32_e32 vcc_lo, 0x7f800000, v19
	s_delay_alu instid0(VALU_DEP_2)
	v_cndmask_b32_e32 v3, 0x7e, v3, vcc_lo
; %bb.1632:
	s_or_b32 exec_lo, exec_lo, s1
	v_lshrrev_b32_e32 v2, 24, v2
	s_delay_alu instid0(VALU_DEP_1)
	v_and_or_b32 v2, 0x80, v2, v3
	global_store_b8 v[16:17], v2, off
.LBB7_1633:
	s_mov_b32 s1, 0
.LBB7_1634:
	s_delay_alu instid0(SALU_CYCLE_1)
	s_and_not1_b32 vcc_lo, exec_lo, s1
	s_cbranch_vccnz .LBB7_1644
; %bb.1635:
	v_cvt_f32_f64_e32 v2, v[0:1]
	s_mov_b32 s1, exec_lo
                                        ; implicit-def: $vgpr3
	s_delay_alu instid0(VALU_DEP_1) | instskip(NEXT) | instid1(VALU_DEP_1)
	v_and_b32_e32 v19, 0x7fffffff, v2
	v_cmpx_gt_u32_e32 0x47800000, v19
	s_xor_b32 s1, exec_lo, s1
	s_cbranch_execz .LBB7_1641
; %bb.1636:
	s_mov_b32 s3, exec_lo
                                        ; implicit-def: $vgpr3
	v_cmpx_lt_u32_e32 0x387fffff, v19
	s_xor_b32 s3, exec_lo, s3
; %bb.1637:
	v_bfe_u32 v3, v2, 21, 1
	s_delay_alu instid0(VALU_DEP_1) | instskip(NEXT) | instid1(VALU_DEP_1)
	v_add3_u32 v3, v2, v3, 0x80fffff
	v_lshrrev_b32_e32 v3, 21, v3
; %bb.1638:
	s_and_not1_saveexec_b32 s3, s3
; %bb.1639:
	v_add_f32_e64 v3, 0x43000000, |v2|
; %bb.1640:
	s_or_b32 exec_lo, exec_lo, s3
                                        ; implicit-def: $vgpr19
.LBB7_1641:
	s_and_not1_saveexec_b32 s1, s1
; %bb.1642:
	v_mov_b32_e32 v3, 0x7f
	v_cmp_lt_u32_e32 vcc_lo, 0x7f800000, v19
	s_delay_alu instid0(VALU_DEP_2)
	v_cndmask_b32_e32 v3, 0x7c, v3, vcc_lo
; %bb.1643:
	s_or_b32 exec_lo, exec_lo, s1
	v_lshrrev_b32_e32 v2, 24, v2
	s_delay_alu instid0(VALU_DEP_1)
	v_and_or_b32 v2, 0x80, v2, v3
	global_store_b8 v[16:17], v2, off
.LBB7_1644:
	s_mov_b32 s1, 0
	s_mov_b32 s3, -1
.LBB7_1645:
	s_and_not1_b32 vcc_lo, exec_lo, s1
	s_mov_b32 s1, 0
	s_cbranch_vccnz .LBB7_1652
; %bb.1646:
	v_cmp_lt_i16_e32 vcc_lo, 14, v18
	s_mov_b32 s1, -1
	s_cbranch_vccz .LBB7_1650
; %bb.1647:
	v_cmp_eq_u16_e32 vcc_lo, 15, v18
	s_mov_b32 s0, -1
	s_cbranch_vccz .LBB7_1649
; %bb.1648:
	v_cvt_f32_f64_e32 v2, v[0:1]
	s_mov_b32 s0, 0
	s_mov_b32 s3, -1
	s_delay_alu instid0(VALU_DEP_1) | instskip(SKIP_1) | instid1(VALU_DEP_2)
	v_bfe_u32 v3, v2, 16, 1
	v_cmp_o_f32_e32 vcc_lo, v2, v2
	v_add3_u32 v3, v2, v3, 0x7fff
	s_delay_alu instid0(VALU_DEP_1) | instskip(NEXT) | instid1(VALU_DEP_1)
	v_lshrrev_b32_e32 v3, 16, v3
	v_cndmask_b32_e32 v2, 0x7fc0, v3, vcc_lo
	global_store_b16 v[16:17], v2, off
.LBB7_1649:
	s_mov_b32 s1, 0
.LBB7_1650:
	s_delay_alu instid0(SALU_CYCLE_1)
	s_and_b32 vcc_lo, exec_lo, s1
	s_mov_b32 s1, 0
	s_cbranch_vccz .LBB7_1652
; %bb.1651:
	v_cmp_ne_u16_e64 s0, 11, v18
	s_mov_b32 s1, -1
.LBB7_1652:
	s_delay_alu instid0(VALU_DEP_1)
	s_and_b32 vcc_lo, exec_lo, s0
	s_cbranch_vccnz .LBB7_2063
; %bb.1653:
	s_and_not1_b32 vcc_lo, exec_lo, s1
	s_cbranch_vccnz .LBB7_1655
.LBB7_1654:
	v_cmp_neq_f64_e32 vcc_lo, 0, v[0:1]
	s_mov_b32 s3, -1
	v_cndmask_b32_e64 v2, 0, 1, vcc_lo
	global_store_b8 v[16:17], v2, off
.LBB7_1655:
	s_mov_b32 s0, 0
	s_branch .LBB7_1657
.LBB7_1656:
	s_mov_b32 s0, -1
	s_mov_b32 s3, 0
.LBB7_1657:
	s_and_b32 vcc_lo, exec_lo, s0
	s_cbranch_vccz .LBB7_1696
; %bb.1658:
	v_cmp_gt_i16_e32 vcc_lo, 5, v18
	s_mov_b32 s0, -1
	s_cbranch_vccnz .LBB7_1679
; %bb.1659:
	v_cmp_gt_i16_e32 vcc_lo, 8, v18
	s_cbranch_vccnz .LBB7_1669
; %bb.1660:
	v_cmp_gt_i16_e32 vcc_lo, 9, v18
	s_cbranch_vccnz .LBB7_1666
; %bb.1661:
	v_cmp_lt_i16_e32 vcc_lo, 9, v18
	s_cbranch_vccz .LBB7_1663
; %bb.1662:
	v_mov_b32_e32 v2, 0
	s_mov_b32 s0, 0
	s_delay_alu instid0(VALU_DEP_1)
	v_mov_b32_e32 v3, v2
	global_store_b128 v[16:17], v[0:3], off
.LBB7_1663:
	s_and_not1_b32 vcc_lo, exec_lo, s0
	s_cbranch_vccnz .LBB7_1665
; %bb.1664:
	v_cvt_f32_f64_e32 v2, v[0:1]
	v_mov_b32_e32 v3, 0
	global_store_b64 v[16:17], v[2:3], off
.LBB7_1665:
	s_mov_b32 s0, 0
.LBB7_1666:
	s_delay_alu instid0(SALU_CYCLE_1)
	s_and_not1_b32 vcc_lo, exec_lo, s0
	s_cbranch_vccnz .LBB7_1668
; %bb.1667:
	v_cvt_f32_f64_e32 v2, v[0:1]
	s_delay_alu instid0(VALU_DEP_1) | instskip(NEXT) | instid1(VALU_DEP_1)
	v_cvt_f16_f32_e32 v2, v2
	v_and_b32_e32 v2, 0xffff, v2
	global_store_b32 v[16:17], v2, off
.LBB7_1668:
	s_mov_b32 s0, 0
.LBB7_1669:
	s_delay_alu instid0(SALU_CYCLE_1)
	s_and_not1_b32 vcc_lo, exec_lo, s0
	s_cbranch_vccnz .LBB7_1678
; %bb.1670:
	v_cmp_gt_i16_e32 vcc_lo, 6, v18
	s_mov_b32 s0, -1
	s_cbranch_vccnz .LBB7_1676
; %bb.1671:
	v_cmp_lt_i16_e32 vcc_lo, 6, v18
	s_cbranch_vccz .LBB7_1673
; %bb.1672:
	s_mov_b32 s0, 0
	global_store_b64 v[16:17], v[0:1], off
.LBB7_1673:
	s_and_not1_b32 vcc_lo, exec_lo, s0
	s_cbranch_vccnz .LBB7_1675
; %bb.1674:
	v_cvt_f32_f64_e32 v2, v[0:1]
	global_store_b32 v[16:17], v2, off
.LBB7_1675:
	s_mov_b32 s0, 0
.LBB7_1676:
	s_delay_alu instid0(SALU_CYCLE_1)
	s_and_not1_b32 vcc_lo, exec_lo, s0
	s_cbranch_vccnz .LBB7_1678
; %bb.1677:
	v_cvt_f32_f64_e32 v2, v[0:1]
	s_delay_alu instid0(VALU_DEP_1)
	v_cvt_f16_f32_e32 v2, v2
	global_store_b16 v[16:17], v2, off
.LBB7_1678:
	s_mov_b32 s0, 0
.LBB7_1679:
	s_delay_alu instid0(SALU_CYCLE_1)
	s_and_not1_b32 vcc_lo, exec_lo, s0
	s_cbranch_vccnz .LBB7_1695
; %bb.1680:
	v_cmp_gt_i16_e32 vcc_lo, 2, v18
	s_mov_b32 s0, -1
	s_cbranch_vccnz .LBB7_1690
; %bb.1681:
	v_cmp_gt_i16_e32 vcc_lo, 3, v18
	s_cbranch_vccnz .LBB7_1687
; %bb.1682:
	v_cmp_lt_i16_e32 vcc_lo, 3, v18
	s_cbranch_vccz .LBB7_1684
; %bb.1683:
	v_trunc_f64_e32 v[2:3], v[0:1]
	s_mov_b32 s0, 0
	s_delay_alu instid0(VALU_DEP_1) | instskip(NEXT) | instid1(VALU_DEP_1)
	v_ldexp_f64 v[24:25], v[2:3], 0xffffffe0
	v_floor_f64_e32 v[24:25], v[24:25]
	s_delay_alu instid0(VALU_DEP_1) | instskip(SKIP_1) | instid1(VALU_DEP_2)
	v_fma_f64 v[2:3], 0xc1f00000, v[24:25], v[2:3]
	v_cvt_i32_f64_e32 v25, v[24:25]
	v_cvt_u32_f64_e32 v24, v[2:3]
	global_store_b64 v[16:17], v[24:25], off
.LBB7_1684:
	s_and_not1_b32 vcc_lo, exec_lo, s0
	s_cbranch_vccnz .LBB7_1686
; %bb.1685:
	v_cvt_i32_f64_e32 v2, v[0:1]
	global_store_b32 v[16:17], v2, off
.LBB7_1686:
	s_mov_b32 s0, 0
.LBB7_1687:
	s_delay_alu instid0(SALU_CYCLE_1)
	s_and_not1_b32 vcc_lo, exec_lo, s0
	s_cbranch_vccnz .LBB7_1689
; %bb.1688:
	v_cvt_i32_f64_e32 v2, v[0:1]
	global_store_b16 v[16:17], v2, off
.LBB7_1689:
	s_mov_b32 s0, 0
.LBB7_1690:
	s_delay_alu instid0(SALU_CYCLE_1)
	s_and_not1_b32 vcc_lo, exec_lo, s0
	s_cbranch_vccnz .LBB7_1695
; %bb.1691:
	v_cmp_lt_i16_e32 vcc_lo, 0, v18
	s_mov_b32 s0, -1
	s_cbranch_vccz .LBB7_1693
; %bb.1692:
	v_cvt_i32_f64_e32 v2, v[0:1]
	s_mov_b32 s0, 0
	global_store_b8 v[16:17], v2, off
.LBB7_1693:
	s_and_not1_b32 vcc_lo, exec_lo, s0
	s_cbranch_vccnz .LBB7_1695
; %bb.1694:
	v_trunc_f64_e32 v[0:1], v[0:1]
	s_delay_alu instid0(VALU_DEP_1) | instskip(NEXT) | instid1(VALU_DEP_1)
	v_ldexp_f64 v[2:3], v[0:1], 0xffffffe0
	v_floor_f64_e32 v[2:3], v[2:3]
	s_delay_alu instid0(VALU_DEP_1) | instskip(NEXT) | instid1(VALU_DEP_1)
	v_fma_f64 v[0:1], 0xc1f00000, v[2:3], v[0:1]
	v_cvt_u32_f64_e32 v0, v[0:1]
	global_store_b8 v[16:17], v0, off
.LBB7_1695:
	s_mov_b32 s3, -1
.LBB7_1696:
	s_delay_alu instid0(SALU_CYCLE_1)
	s_and_not1_b32 vcc_lo, exec_lo, s3
	s_cbranch_vccnz .LBB7_2011
; %bb.1697:
	v_mul_f64 v[0:1], v[4:5], v[10:11]
	s_lshl_b32 s2, s2, 7
	v_cmp_eq_f32_e32 vcc_lo, 1.0, v20
	v_add_nc_u32_e32 v16, s2, v23
	v_cmp_gt_i16_e64 s0, 11, v18
	s_delay_alu instid0(VALU_DEP_4) | instskip(NEXT) | instid1(VALU_DEP_3)
	v_cndmask_b32_e32 v1, v1, v5, vcc_lo
	v_ashrrev_i32_e32 v2, 31, v16
	v_add_co_u32 v10, s1, s4, v16
	v_cndmask_b32_e32 v0, v0, v4, vcc_lo
	s_and_b32 vcc_lo, exec_lo, s0
	s_delay_alu instid0(VALU_DEP_3)
	v_add_co_ci_u32_e64 v11, s1, s5, v2, s1
	s_cbranch_vccnz .LBB7_1775
; %bb.1698:
	v_cmp_lt_i16_e32 vcc_lo, 25, v18
	s_mov_b32 s6, -1
	s_mov_b32 s1, 0
	s_mov_b32 s3, 0
	;; [unrolled: 1-line block ×3, first 2 shown]
	s_cbranch_vccz .LBB7_1731
; %bb.1699:
	v_cmp_lt_i16_e32 vcc_lo, 28, v18
	s_cbranch_vccz .LBB7_1714
; %bb.1700:
	v_cmp_lt_i16_e32 vcc_lo, 43, v18
	;; [unrolled: 3-line block ×3, first 2 shown]
	s_cbranch_vccz .LBB7_1704
; %bb.1702:
	v_cmp_eq_u16_e32 vcc_lo, 46, v18
	s_mov_b32 s0, -1
	s_mov_b32 s6, 0
	s_cbranch_vccz .LBB7_1704
; %bb.1703:
	v_cvt_f32_f64_e32 v2, v[0:1]
	s_mov_b32 s0, 0
	s_mov_b32 s3, -1
	s_delay_alu instid0(VALU_DEP_1) | instskip(SKIP_1) | instid1(VALU_DEP_2)
	v_bfe_u32 v3, v2, 16, 1
	v_cmp_o_f32_e32 vcc_lo, v2, v2
	v_add3_u32 v3, v2, v3, 0x7fff
	s_delay_alu instid0(VALU_DEP_1) | instskip(NEXT) | instid1(VALU_DEP_1)
	v_lshrrev_b32_e32 v3, 16, v3
	v_cndmask_b32_e32 v2, 0x7fc0, v3, vcc_lo
	global_store_b32 v[10:11], v2, off
.LBB7_1704:
	s_and_b32 vcc_lo, exec_lo, s6
	s_cbranch_vccz .LBB7_1709
; %bb.1705:
	v_cmp_eq_u16_e32 vcc_lo, 44, v18
	s_mov_b32 s0, -1
	s_cbranch_vccz .LBB7_1709
; %bb.1706:
	v_cvt_f32_f64_e32 v2, v[0:1]
	v_mov_b32_e32 v3, 0xff
	s_mov_b32 s3, exec_lo
	s_delay_alu instid0(VALU_DEP_2) | instskip(NEXT) | instid1(VALU_DEP_1)
	v_bfe_u32 v4, v2, 23, 8
	v_cmpx_ne_u32_e32 0xff, v4
; %bb.1707:
	v_and_b32_e32 v3, 0x400000, v2
	v_and_or_b32 v4, 0x3fffff, v2, v4
	v_lshrrev_b32_e32 v2, 23, v2
	s_delay_alu instid0(VALU_DEP_3) | instskip(NEXT) | instid1(VALU_DEP_3)
	v_cmp_ne_u32_e32 vcc_lo, 0, v3
	v_cmp_ne_u32_e64 s0, 0, v4
	s_delay_alu instid0(VALU_DEP_1) | instskip(NEXT) | instid1(SALU_CYCLE_1)
	s_and_b32 s0, vcc_lo, s0
	v_cndmask_b32_e64 v3, 0, 1, s0
	s_delay_alu instid0(VALU_DEP_1)
	v_add_nc_u32_e32 v3, v2, v3
; %bb.1708:
	s_or_b32 exec_lo, exec_lo, s3
	s_mov_b32 s0, 0
	s_mov_b32 s3, -1
	global_store_b8 v[10:11], v3, off
.LBB7_1709:
	s_mov_b32 s6, 0
.LBB7_1710:
	s_delay_alu instid0(SALU_CYCLE_1)
	s_and_b32 vcc_lo, exec_lo, s6
	s_cbranch_vccz .LBB7_1713
; %bb.1711:
	v_cmp_eq_u16_e32 vcc_lo, 29, v18
	s_mov_b32 s0, -1
	s_cbranch_vccz .LBB7_1713
; %bb.1712:
	v_trunc_f64_e32 v[2:3], v[0:1]
	s_mov_b32 s0, 0
	s_mov_b32 s3, -1
	s_delay_alu instid0(VALU_DEP_1) | instskip(NEXT) | instid1(VALU_DEP_1)
	v_ldexp_f64 v[4:5], v[2:3], 0xffffffe0
	v_floor_f64_e32 v[4:5], v[4:5]
	s_delay_alu instid0(VALU_DEP_1) | instskip(SKIP_1) | instid1(VALU_DEP_2)
	v_fma_f64 v[2:3], 0xc1f00000, v[4:5], v[2:3]
	v_cvt_u32_f64_e32 v4, v[4:5]
	v_cvt_u32_f64_e32 v3, v[2:3]
	global_store_b64 v[10:11], v[3:4], off
.LBB7_1713:
	s_mov_b32 s6, 0
.LBB7_1714:
	s_delay_alu instid0(SALU_CYCLE_1)
	s_and_b32 vcc_lo, exec_lo, s6
	s_cbranch_vccz .LBB7_1730
; %bb.1715:
	v_cmp_gt_i16_e32 vcc_lo, 27, v18
	s_mov_b32 s3, -1
	s_cbranch_vccnz .LBB7_1721
; %bb.1716:
	v_cvt_u32_f64_e32 v2, v[0:1]
	v_cmp_lt_i16_e32 vcc_lo, 27, v18
	s_cbranch_vccz .LBB7_1718
; %bb.1717:
	s_mov_b32 s3, 0
	global_store_b32 v[10:11], v2, off
.LBB7_1718:
	s_and_not1_b32 vcc_lo, exec_lo, s3
	s_cbranch_vccnz .LBB7_1720
; %bb.1719:
	global_store_b16 v[10:11], v2, off
.LBB7_1720:
	s_mov_b32 s3, 0
.LBB7_1721:
	s_delay_alu instid0(SALU_CYCLE_1)
	s_and_not1_b32 vcc_lo, exec_lo, s3
	s_cbranch_vccnz .LBB7_1729
; %bb.1722:
	v_cvt_f32_f64_e32 v2, v[0:1]
	v_mov_b32_e32 v4, 0x80
	s_mov_b32 s3, exec_lo
	s_delay_alu instid0(VALU_DEP_2) | instskip(NEXT) | instid1(VALU_DEP_1)
	v_and_b32_e32 v3, 0x7fffffff, v2
	v_cmpx_gt_u32_e32 0x43800000, v3
	s_cbranch_execz .LBB7_1728
; %bb.1723:
	v_cmp_lt_u32_e32 vcc_lo, 0x3bffffff, v3
	s_mov_b32 s6, 0
                                        ; implicit-def: $vgpr3
	s_and_saveexec_b32 s7, vcc_lo
	s_delay_alu instid0(SALU_CYCLE_1)
	s_xor_b32 s7, exec_lo, s7
	s_cbranch_execz .LBB7_2067
; %bb.1724:
	v_bfe_u32 v3, v2, 20, 1
	s_mov_b32 s6, exec_lo
	s_delay_alu instid0(VALU_DEP_1) | instskip(NEXT) | instid1(VALU_DEP_1)
	v_add3_u32 v3, v2, v3, 0x487ffff
	v_lshrrev_b32_e32 v3, 20, v3
	s_or_saveexec_b32 s7, s7
                                        ; implicit-def: $sgpr8
	s_delay_alu instid0(SALU_CYCLE_1)
	s_xor_b32 exec_lo, exec_lo, s7
	s_cbranch_execnz .LBB7_2068
.LBB7_1725:
	s_or_b32 exec_lo, exec_lo, s7
	v_mov_b32_e32 v4, s8
	s_and_saveexec_b32 s7, s6
.LBB7_1726:
	v_lshrrev_b32_e32 v2, 24, v2
	s_delay_alu instid0(VALU_DEP_1)
	v_and_or_b32 v4, 0x80, v2, v3
.LBB7_1727:
	s_or_b32 exec_lo, exec_lo, s7
.LBB7_1728:
	s_delay_alu instid0(SALU_CYCLE_1)
	s_or_b32 exec_lo, exec_lo, s3
	global_store_b8 v[10:11], v4, off
.LBB7_1729:
	s_mov_b32 s3, -1
.LBB7_1730:
	s_mov_b32 s6, 0
.LBB7_1731:
	s_delay_alu instid0(SALU_CYCLE_1)
	s_and_b32 vcc_lo, exec_lo, s6
	s_cbranch_vccz .LBB7_1771
; %bb.1732:
	v_cmp_lt_i16_e32 vcc_lo, 22, v18
	s_mov_b32 s1, -1
	s_cbranch_vccz .LBB7_1764
; %bb.1733:
	v_cmp_gt_i16_e32 vcc_lo, 24, v18
	s_cbranch_vccnz .LBB7_1753
; %bb.1734:
	v_cmp_lt_i16_e32 vcc_lo, 24, v18
	s_cbranch_vccz .LBB7_1742
; %bb.1735:
	v_cvt_f32_f64_e32 v2, v[0:1]
	v_mov_b32_e32 v4, 0x80
	s_mov_b32 s1, exec_lo
	s_delay_alu instid0(VALU_DEP_2) | instskip(NEXT) | instid1(VALU_DEP_1)
	v_and_b32_e32 v3, 0x7fffffff, v2
	v_cmpx_gt_u32_e32 0x47800000, v3
	s_cbranch_execz .LBB7_1741
; %bb.1736:
	v_cmp_lt_u32_e32 vcc_lo, 0x37ffffff, v3
	s_mov_b32 s3, 0
                                        ; implicit-def: $vgpr3
	s_and_saveexec_b32 s6, vcc_lo
	s_delay_alu instid0(SALU_CYCLE_1)
	s_xor_b32 s6, exec_lo, s6
	s_cbranch_execz .LBB7_2073
; %bb.1737:
	v_bfe_u32 v3, v2, 21, 1
	s_mov_b32 s3, exec_lo
	s_delay_alu instid0(VALU_DEP_1) | instskip(NEXT) | instid1(VALU_DEP_1)
	v_add3_u32 v3, v2, v3, 0x88fffff
	v_lshrrev_b32_e32 v3, 21, v3
	s_or_saveexec_b32 s6, s6
                                        ; implicit-def: $sgpr7
	s_delay_alu instid0(SALU_CYCLE_1)
	s_xor_b32 exec_lo, exec_lo, s6
	s_cbranch_execnz .LBB7_2074
.LBB7_1738:
	s_or_b32 exec_lo, exec_lo, s6
	v_mov_b32_e32 v4, s7
	s_and_saveexec_b32 s6, s3
.LBB7_1739:
	v_lshrrev_b32_e32 v2, 24, v2
	s_delay_alu instid0(VALU_DEP_1)
	v_and_or_b32 v4, 0x80, v2, v3
.LBB7_1740:
	s_or_b32 exec_lo, exec_lo, s6
.LBB7_1741:
	s_delay_alu instid0(SALU_CYCLE_1)
	s_or_b32 exec_lo, exec_lo, s1
	s_mov_b32 s1, 0
	global_store_b8 v[10:11], v4, off
.LBB7_1742:
	s_and_b32 vcc_lo, exec_lo, s1
	s_cbranch_vccz .LBB7_1752
; %bb.1743:
	v_cvt_f32_f64_e32 v2, v[0:1]
	s_mov_b32 s1, exec_lo
                                        ; implicit-def: $vgpr3
	s_delay_alu instid0(VALU_DEP_1) | instskip(NEXT) | instid1(VALU_DEP_1)
	v_and_b32_e32 v4, 0x7fffffff, v2
	v_cmpx_gt_u32_e32 0x43f00000, v4
	s_xor_b32 s1, exec_lo, s1
	s_cbranch_execz .LBB7_1749
; %bb.1744:
	s_mov_b32 s3, exec_lo
                                        ; implicit-def: $vgpr3
	v_cmpx_lt_u32_e32 0x3c7fffff, v4
	s_xor_b32 s3, exec_lo, s3
; %bb.1745:
	v_bfe_u32 v3, v2, 20, 1
	s_delay_alu instid0(VALU_DEP_1) | instskip(NEXT) | instid1(VALU_DEP_1)
	v_add3_u32 v3, v2, v3, 0x407ffff
	v_and_b32_e32 v4, 0xff00000, v3
	v_lshrrev_b32_e32 v3, 20, v3
	s_delay_alu instid0(VALU_DEP_2) | instskip(NEXT) | instid1(VALU_DEP_2)
	v_cmp_ne_u32_e32 vcc_lo, 0x7f00000, v4
	v_cndmask_b32_e32 v3, 0x7e, v3, vcc_lo
; %bb.1746:
	s_and_not1_saveexec_b32 s3, s3
; %bb.1747:
	v_add_f32_e64 v3, 0x46800000, |v2|
; %bb.1748:
	s_or_b32 exec_lo, exec_lo, s3
                                        ; implicit-def: $vgpr4
.LBB7_1749:
	s_and_not1_saveexec_b32 s1, s1
; %bb.1750:
	v_mov_b32_e32 v3, 0x7f
	v_cmp_lt_u32_e32 vcc_lo, 0x7f800000, v4
	s_delay_alu instid0(VALU_DEP_2)
	v_cndmask_b32_e32 v3, 0x7e, v3, vcc_lo
; %bb.1751:
	s_or_b32 exec_lo, exec_lo, s1
	v_lshrrev_b32_e32 v2, 24, v2
	s_delay_alu instid0(VALU_DEP_1)
	v_and_or_b32 v2, 0x80, v2, v3
	global_store_b8 v[10:11], v2, off
.LBB7_1752:
	s_mov_b32 s1, 0
.LBB7_1753:
	s_delay_alu instid0(SALU_CYCLE_1)
	s_and_not1_b32 vcc_lo, exec_lo, s1
	s_cbranch_vccnz .LBB7_1763
; %bb.1754:
	v_cvt_f32_f64_e32 v2, v[0:1]
	s_mov_b32 s1, exec_lo
                                        ; implicit-def: $vgpr3
	s_delay_alu instid0(VALU_DEP_1) | instskip(NEXT) | instid1(VALU_DEP_1)
	v_and_b32_e32 v4, 0x7fffffff, v2
	v_cmpx_gt_u32_e32 0x47800000, v4
	s_xor_b32 s1, exec_lo, s1
	s_cbranch_execz .LBB7_1760
; %bb.1755:
	s_mov_b32 s3, exec_lo
                                        ; implicit-def: $vgpr3
	v_cmpx_lt_u32_e32 0x387fffff, v4
	s_xor_b32 s3, exec_lo, s3
; %bb.1756:
	v_bfe_u32 v3, v2, 21, 1
	s_delay_alu instid0(VALU_DEP_1) | instskip(NEXT) | instid1(VALU_DEP_1)
	v_add3_u32 v3, v2, v3, 0x80fffff
	v_lshrrev_b32_e32 v3, 21, v3
; %bb.1757:
	s_and_not1_saveexec_b32 s3, s3
; %bb.1758:
	v_add_f32_e64 v3, 0x43000000, |v2|
; %bb.1759:
	s_or_b32 exec_lo, exec_lo, s3
                                        ; implicit-def: $vgpr4
.LBB7_1760:
	s_and_not1_saveexec_b32 s1, s1
; %bb.1761:
	v_mov_b32_e32 v3, 0x7f
	v_cmp_lt_u32_e32 vcc_lo, 0x7f800000, v4
	s_delay_alu instid0(VALU_DEP_2)
	v_cndmask_b32_e32 v3, 0x7c, v3, vcc_lo
; %bb.1762:
	s_or_b32 exec_lo, exec_lo, s1
	v_lshrrev_b32_e32 v2, 24, v2
	s_delay_alu instid0(VALU_DEP_1)
	v_and_or_b32 v2, 0x80, v2, v3
	global_store_b8 v[10:11], v2, off
.LBB7_1763:
	s_mov_b32 s1, 0
	s_mov_b32 s3, -1
.LBB7_1764:
	s_and_not1_b32 vcc_lo, exec_lo, s1
	s_mov_b32 s1, 0
	s_cbranch_vccnz .LBB7_1771
; %bb.1765:
	v_cmp_lt_i16_e32 vcc_lo, 14, v18
	s_mov_b32 s1, -1
	s_cbranch_vccz .LBB7_1769
; %bb.1766:
	v_cmp_eq_u16_e32 vcc_lo, 15, v18
	s_mov_b32 s0, -1
	s_cbranch_vccz .LBB7_1768
; %bb.1767:
	v_cvt_f32_f64_e32 v2, v[0:1]
	s_mov_b32 s0, 0
	s_mov_b32 s3, -1
	s_delay_alu instid0(VALU_DEP_1) | instskip(SKIP_1) | instid1(VALU_DEP_2)
	v_bfe_u32 v3, v2, 16, 1
	v_cmp_o_f32_e32 vcc_lo, v2, v2
	v_add3_u32 v3, v2, v3, 0x7fff
	s_delay_alu instid0(VALU_DEP_1) | instskip(NEXT) | instid1(VALU_DEP_1)
	v_lshrrev_b32_e32 v3, 16, v3
	v_cndmask_b32_e32 v2, 0x7fc0, v3, vcc_lo
	global_store_b16 v[10:11], v2, off
.LBB7_1768:
	s_mov_b32 s1, 0
.LBB7_1769:
	s_delay_alu instid0(SALU_CYCLE_1)
	s_and_b32 vcc_lo, exec_lo, s1
	s_mov_b32 s1, 0
	s_cbranch_vccz .LBB7_1771
; %bb.1770:
	v_cmp_ne_u16_e64 s0, 11, v18
	s_mov_b32 s1, -1
.LBB7_1771:
	s_delay_alu instid0(VALU_DEP_1)
	s_and_b32 vcc_lo, exec_lo, s0
	s_cbranch_vccnz .LBB7_2071
; %bb.1772:
	s_and_not1_b32 vcc_lo, exec_lo, s1
	s_cbranch_vccnz .LBB7_1774
.LBB7_1773:
	v_cmp_neq_f64_e32 vcc_lo, 0, v[0:1]
	s_mov_b32 s3, -1
	v_cndmask_b32_e64 v2, 0, 1, vcc_lo
	global_store_b8 v[10:11], v2, off
.LBB7_1774:
	s_mov_b32 s0, 0
	s_branch .LBB7_1776
.LBB7_1775:
	s_mov_b32 s0, -1
	s_mov_b32 s3, 0
.LBB7_1776:
	s_and_b32 vcc_lo, exec_lo, s0
	s_cbranch_vccz .LBB7_1815
; %bb.1777:
	v_cmp_gt_i16_e32 vcc_lo, 5, v18
	s_mov_b32 s0, -1
	s_cbranch_vccnz .LBB7_1798
; %bb.1778:
	v_cmp_gt_i16_e32 vcc_lo, 8, v18
	s_cbranch_vccnz .LBB7_1788
; %bb.1779:
	v_cmp_gt_i16_e32 vcc_lo, 9, v18
	s_cbranch_vccnz .LBB7_1785
; %bb.1780:
	v_cmp_lt_i16_e32 vcc_lo, 9, v18
	s_cbranch_vccz .LBB7_1782
; %bb.1781:
	v_mov_b32_e32 v2, 0
	s_mov_b32 s0, 0
	s_delay_alu instid0(VALU_DEP_1)
	v_mov_b32_e32 v3, v2
	global_store_b128 v[10:11], v[0:3], off
.LBB7_1782:
	s_and_not1_b32 vcc_lo, exec_lo, s0
	s_cbranch_vccnz .LBB7_1784
; %bb.1783:
	v_cvt_f32_f64_e32 v2, v[0:1]
	v_mov_b32_e32 v3, 0
	global_store_b64 v[10:11], v[2:3], off
.LBB7_1784:
	s_mov_b32 s0, 0
.LBB7_1785:
	s_delay_alu instid0(SALU_CYCLE_1)
	s_and_not1_b32 vcc_lo, exec_lo, s0
	s_cbranch_vccnz .LBB7_1787
; %bb.1786:
	v_cvt_f32_f64_e32 v2, v[0:1]
	s_delay_alu instid0(VALU_DEP_1) | instskip(NEXT) | instid1(VALU_DEP_1)
	v_cvt_f16_f32_e32 v2, v2
	v_and_b32_e32 v2, 0xffff, v2
	global_store_b32 v[10:11], v2, off
.LBB7_1787:
	s_mov_b32 s0, 0
.LBB7_1788:
	s_delay_alu instid0(SALU_CYCLE_1)
	s_and_not1_b32 vcc_lo, exec_lo, s0
	s_cbranch_vccnz .LBB7_1797
; %bb.1789:
	v_cmp_gt_i16_e32 vcc_lo, 6, v18
	s_mov_b32 s0, -1
	s_cbranch_vccnz .LBB7_1795
; %bb.1790:
	v_cmp_lt_i16_e32 vcc_lo, 6, v18
	s_cbranch_vccz .LBB7_1792
; %bb.1791:
	s_mov_b32 s0, 0
	global_store_b64 v[10:11], v[0:1], off
.LBB7_1792:
	s_and_not1_b32 vcc_lo, exec_lo, s0
	s_cbranch_vccnz .LBB7_1794
; %bb.1793:
	v_cvt_f32_f64_e32 v2, v[0:1]
	global_store_b32 v[10:11], v2, off
.LBB7_1794:
	s_mov_b32 s0, 0
.LBB7_1795:
	s_delay_alu instid0(SALU_CYCLE_1)
	s_and_not1_b32 vcc_lo, exec_lo, s0
	s_cbranch_vccnz .LBB7_1797
; %bb.1796:
	v_cvt_f32_f64_e32 v2, v[0:1]
	s_delay_alu instid0(VALU_DEP_1)
	v_cvt_f16_f32_e32 v2, v2
	global_store_b16 v[10:11], v2, off
.LBB7_1797:
	s_mov_b32 s0, 0
.LBB7_1798:
	s_delay_alu instid0(SALU_CYCLE_1)
	s_and_not1_b32 vcc_lo, exec_lo, s0
	s_cbranch_vccnz .LBB7_1814
; %bb.1799:
	v_cmp_gt_i16_e32 vcc_lo, 2, v18
	s_mov_b32 s0, -1
	s_cbranch_vccnz .LBB7_1809
; %bb.1800:
	v_cmp_gt_i16_e32 vcc_lo, 3, v18
	s_cbranch_vccnz .LBB7_1806
; %bb.1801:
	v_cmp_lt_i16_e32 vcc_lo, 3, v18
	s_cbranch_vccz .LBB7_1803
; %bb.1802:
	v_trunc_f64_e32 v[2:3], v[0:1]
	s_mov_b32 s0, 0
	s_delay_alu instid0(VALU_DEP_1) | instskip(NEXT) | instid1(VALU_DEP_1)
	v_ldexp_f64 v[4:5], v[2:3], 0xffffffe0
	v_floor_f64_e32 v[4:5], v[4:5]
	s_delay_alu instid0(VALU_DEP_1) | instskip(SKIP_1) | instid1(VALU_DEP_2)
	v_fma_f64 v[2:3], 0xc1f00000, v[4:5], v[2:3]
	v_cvt_i32_f64_e32 v4, v[4:5]
	v_cvt_u32_f64_e32 v3, v[2:3]
	global_store_b64 v[10:11], v[3:4], off
.LBB7_1803:
	s_and_not1_b32 vcc_lo, exec_lo, s0
	s_cbranch_vccnz .LBB7_1805
; %bb.1804:
	v_cvt_i32_f64_e32 v2, v[0:1]
	global_store_b32 v[10:11], v2, off
.LBB7_1805:
	s_mov_b32 s0, 0
.LBB7_1806:
	s_delay_alu instid0(SALU_CYCLE_1)
	s_and_not1_b32 vcc_lo, exec_lo, s0
	s_cbranch_vccnz .LBB7_1808
; %bb.1807:
	v_cvt_i32_f64_e32 v2, v[0:1]
	global_store_b16 v[10:11], v2, off
.LBB7_1808:
	s_mov_b32 s0, 0
.LBB7_1809:
	s_delay_alu instid0(SALU_CYCLE_1)
	s_and_not1_b32 vcc_lo, exec_lo, s0
	s_cbranch_vccnz .LBB7_1814
; %bb.1810:
	v_cmp_lt_i16_e32 vcc_lo, 0, v18
	s_mov_b32 s0, -1
	s_cbranch_vccz .LBB7_1812
; %bb.1811:
	v_cvt_i32_f64_e32 v2, v[0:1]
	s_mov_b32 s0, 0
	global_store_b8 v[10:11], v2, off
.LBB7_1812:
	s_and_not1_b32 vcc_lo, exec_lo, s0
	s_cbranch_vccnz .LBB7_1814
; %bb.1813:
	v_trunc_f64_e32 v[0:1], v[0:1]
	s_delay_alu instid0(VALU_DEP_1) | instskip(NEXT) | instid1(VALU_DEP_1)
	v_ldexp_f64 v[2:3], v[0:1], 0xffffffe0
	v_floor_f64_e32 v[2:3], v[2:3]
	s_delay_alu instid0(VALU_DEP_1) | instskip(NEXT) | instid1(VALU_DEP_1)
	v_fma_f64 v[0:1], 0xc1f00000, v[2:3], v[0:1]
	v_cvt_u32_f64_e32 v0, v[0:1]
	global_store_b8 v[10:11], v0, off
.LBB7_1814:
	s_mov_b32 s3, -1
.LBB7_1815:
	s_delay_alu instid0(SALU_CYCLE_1)
	s_and_not1_b32 vcc_lo, exec_lo, s3
	s_cbranch_vccnz .LBB7_2011
; %bb.1816:
	v_mul_f64 v[0:1], v[6:7], v[12:13]
	v_cmp_eq_f32_e32 vcc_lo, 1.0, v21
	v_add_nc_u32_e32 v10, s2, v16
	v_cmp_gt_i16_e64 s0, 11, v18
	s_delay_alu instid0(VALU_DEP_4) | instskip(NEXT) | instid1(VALU_DEP_3)
	v_cndmask_b32_e32 v1, v1, v7, vcc_lo
	v_ashrrev_i32_e32 v2, 31, v10
	v_add_co_u32 v4, s1, s4, v10
	v_cndmask_b32_e32 v0, v0, v6, vcc_lo
	s_and_b32 vcc_lo, exec_lo, s0
	s_delay_alu instid0(VALU_DEP_3)
	v_add_co_ci_u32_e64 v5, s1, s5, v2, s1
	s_cbranch_vccnz .LBB7_1894
; %bb.1817:
	v_cmp_lt_i16_e32 vcc_lo, 25, v18
	s_mov_b32 s6, -1
	s_mov_b32 s1, 0
	s_mov_b32 s3, 0
	;; [unrolled: 1-line block ×3, first 2 shown]
	s_cbranch_vccz .LBB7_1850
; %bb.1818:
	v_cmp_lt_i16_e32 vcc_lo, 28, v18
	s_cbranch_vccz .LBB7_1833
; %bb.1819:
	v_cmp_lt_i16_e32 vcc_lo, 43, v18
	;; [unrolled: 3-line block ×3, first 2 shown]
	s_cbranch_vccz .LBB7_1823
; %bb.1821:
	v_cmp_eq_u16_e32 vcc_lo, 46, v18
	s_mov_b32 s0, -1
	s_mov_b32 s6, 0
	s_cbranch_vccz .LBB7_1823
; %bb.1822:
	v_cvt_f32_f64_e32 v2, v[0:1]
	s_mov_b32 s0, 0
	s_mov_b32 s3, -1
	s_delay_alu instid0(VALU_DEP_1) | instskip(SKIP_1) | instid1(VALU_DEP_2)
	v_bfe_u32 v3, v2, 16, 1
	v_cmp_o_f32_e32 vcc_lo, v2, v2
	v_add3_u32 v3, v2, v3, 0x7fff
	s_delay_alu instid0(VALU_DEP_1) | instskip(NEXT) | instid1(VALU_DEP_1)
	v_lshrrev_b32_e32 v3, 16, v3
	v_cndmask_b32_e32 v2, 0x7fc0, v3, vcc_lo
	global_store_b32 v[4:5], v2, off
.LBB7_1823:
	s_and_b32 vcc_lo, exec_lo, s6
	s_cbranch_vccz .LBB7_1828
; %bb.1824:
	v_cmp_eq_u16_e32 vcc_lo, 44, v18
	s_mov_b32 s0, -1
	s_cbranch_vccz .LBB7_1828
; %bb.1825:
	v_cvt_f32_f64_e32 v2, v[0:1]
	v_mov_b32_e32 v3, 0xff
	s_mov_b32 s3, exec_lo
	s_delay_alu instid0(VALU_DEP_2) | instskip(NEXT) | instid1(VALU_DEP_1)
	v_bfe_u32 v6, v2, 23, 8
	v_cmpx_ne_u32_e32 0xff, v6
; %bb.1826:
	v_and_b32_e32 v3, 0x400000, v2
	v_and_or_b32 v6, 0x3fffff, v2, v6
	v_lshrrev_b32_e32 v2, 23, v2
	s_delay_alu instid0(VALU_DEP_3) | instskip(NEXT) | instid1(VALU_DEP_3)
	v_cmp_ne_u32_e32 vcc_lo, 0, v3
	v_cmp_ne_u32_e64 s0, 0, v6
	s_delay_alu instid0(VALU_DEP_1) | instskip(NEXT) | instid1(SALU_CYCLE_1)
	s_and_b32 s0, vcc_lo, s0
	v_cndmask_b32_e64 v3, 0, 1, s0
	s_delay_alu instid0(VALU_DEP_1)
	v_add_nc_u32_e32 v3, v2, v3
; %bb.1827:
	s_or_b32 exec_lo, exec_lo, s3
	s_mov_b32 s0, 0
	s_mov_b32 s3, -1
	global_store_b8 v[4:5], v3, off
.LBB7_1828:
	s_mov_b32 s6, 0
.LBB7_1829:
	s_delay_alu instid0(SALU_CYCLE_1)
	s_and_b32 vcc_lo, exec_lo, s6
	s_cbranch_vccz .LBB7_1832
; %bb.1830:
	v_cmp_eq_u16_e32 vcc_lo, 29, v18
	s_mov_b32 s0, -1
	s_cbranch_vccz .LBB7_1832
; %bb.1831:
	v_trunc_f64_e32 v[2:3], v[0:1]
	s_mov_b32 s0, 0
	s_mov_b32 s3, -1
	s_delay_alu instid0(VALU_DEP_1) | instskip(NEXT) | instid1(VALU_DEP_1)
	v_ldexp_f64 v[6:7], v[2:3], 0xffffffe0
	v_floor_f64_e32 v[6:7], v[6:7]
	s_delay_alu instid0(VALU_DEP_1) | instskip(SKIP_1) | instid1(VALU_DEP_2)
	v_fma_f64 v[2:3], 0xc1f00000, v[6:7], v[2:3]
	v_cvt_u32_f64_e32 v7, v[6:7]
	v_cvt_u32_f64_e32 v6, v[2:3]
	global_store_b64 v[4:5], v[6:7], off
.LBB7_1832:
	s_mov_b32 s6, 0
.LBB7_1833:
	s_delay_alu instid0(SALU_CYCLE_1)
	s_and_b32 vcc_lo, exec_lo, s6
	s_cbranch_vccz .LBB7_1849
; %bb.1834:
	v_cmp_gt_i16_e32 vcc_lo, 27, v18
	s_mov_b32 s3, -1
	s_cbranch_vccnz .LBB7_1840
; %bb.1835:
	v_cvt_u32_f64_e32 v2, v[0:1]
	v_cmp_lt_i16_e32 vcc_lo, 27, v18
	s_cbranch_vccz .LBB7_1837
; %bb.1836:
	s_mov_b32 s3, 0
	global_store_b32 v[4:5], v2, off
.LBB7_1837:
	s_and_not1_b32 vcc_lo, exec_lo, s3
	s_cbranch_vccnz .LBB7_1839
; %bb.1838:
	global_store_b16 v[4:5], v2, off
.LBB7_1839:
	s_mov_b32 s3, 0
.LBB7_1840:
	s_delay_alu instid0(SALU_CYCLE_1)
	s_and_not1_b32 vcc_lo, exec_lo, s3
	s_cbranch_vccnz .LBB7_1848
; %bb.1841:
	v_cvt_f32_f64_e32 v2, v[0:1]
	v_mov_b32_e32 v6, 0x80
	s_mov_b32 s3, exec_lo
	s_delay_alu instid0(VALU_DEP_2) | instskip(NEXT) | instid1(VALU_DEP_1)
	v_and_b32_e32 v3, 0x7fffffff, v2
	v_cmpx_gt_u32_e32 0x43800000, v3
	s_cbranch_execz .LBB7_1847
; %bb.1842:
	v_cmp_lt_u32_e32 vcc_lo, 0x3bffffff, v3
	s_mov_b32 s6, 0
                                        ; implicit-def: $vgpr3
	s_and_saveexec_b32 s7, vcc_lo
	s_delay_alu instid0(SALU_CYCLE_1)
	s_xor_b32 s7, exec_lo, s7
	s_cbranch_execz .LBB7_2075
; %bb.1843:
	v_bfe_u32 v3, v2, 20, 1
	s_mov_b32 s6, exec_lo
	s_delay_alu instid0(VALU_DEP_1) | instskip(NEXT) | instid1(VALU_DEP_1)
	v_add3_u32 v3, v2, v3, 0x487ffff
	v_lshrrev_b32_e32 v3, 20, v3
	s_or_saveexec_b32 s7, s7
                                        ; implicit-def: $sgpr8
	s_delay_alu instid0(SALU_CYCLE_1)
	s_xor_b32 exec_lo, exec_lo, s7
	s_cbranch_execnz .LBB7_2076
.LBB7_1844:
	s_or_b32 exec_lo, exec_lo, s7
	v_mov_b32_e32 v6, s8
	s_and_saveexec_b32 s7, s6
.LBB7_1845:
	v_lshrrev_b32_e32 v2, 24, v2
	s_delay_alu instid0(VALU_DEP_1)
	v_and_or_b32 v6, 0x80, v2, v3
.LBB7_1846:
	s_or_b32 exec_lo, exec_lo, s7
.LBB7_1847:
	s_delay_alu instid0(SALU_CYCLE_1)
	s_or_b32 exec_lo, exec_lo, s3
	global_store_b8 v[4:5], v6, off
.LBB7_1848:
	s_mov_b32 s3, -1
.LBB7_1849:
	s_mov_b32 s6, 0
.LBB7_1850:
	s_delay_alu instid0(SALU_CYCLE_1)
	s_and_b32 vcc_lo, exec_lo, s6
	s_cbranch_vccz .LBB7_1890
; %bb.1851:
	v_cmp_lt_i16_e32 vcc_lo, 22, v18
	s_mov_b32 s1, -1
	s_cbranch_vccz .LBB7_1883
; %bb.1852:
	v_cmp_gt_i16_e32 vcc_lo, 24, v18
	s_cbranch_vccnz .LBB7_1872
; %bb.1853:
	v_cmp_lt_i16_e32 vcc_lo, 24, v18
	s_cbranch_vccz .LBB7_1861
; %bb.1854:
	v_cvt_f32_f64_e32 v2, v[0:1]
	v_mov_b32_e32 v6, 0x80
	s_mov_b32 s1, exec_lo
	s_delay_alu instid0(VALU_DEP_2) | instskip(NEXT) | instid1(VALU_DEP_1)
	v_and_b32_e32 v3, 0x7fffffff, v2
	v_cmpx_gt_u32_e32 0x47800000, v3
	s_cbranch_execz .LBB7_1860
; %bb.1855:
	v_cmp_lt_u32_e32 vcc_lo, 0x37ffffff, v3
	s_mov_b32 s3, 0
                                        ; implicit-def: $vgpr3
	s_and_saveexec_b32 s6, vcc_lo
	s_delay_alu instid0(SALU_CYCLE_1)
	s_xor_b32 s6, exec_lo, s6
	s_cbranch_execz .LBB7_2081
; %bb.1856:
	v_bfe_u32 v3, v2, 21, 1
	s_mov_b32 s3, exec_lo
	s_delay_alu instid0(VALU_DEP_1) | instskip(NEXT) | instid1(VALU_DEP_1)
	v_add3_u32 v3, v2, v3, 0x88fffff
	v_lshrrev_b32_e32 v3, 21, v3
	s_or_saveexec_b32 s6, s6
                                        ; implicit-def: $sgpr7
	s_delay_alu instid0(SALU_CYCLE_1)
	s_xor_b32 exec_lo, exec_lo, s6
	s_cbranch_execnz .LBB7_2082
.LBB7_1857:
	s_or_b32 exec_lo, exec_lo, s6
	v_mov_b32_e32 v6, s7
	s_and_saveexec_b32 s6, s3
.LBB7_1858:
	v_lshrrev_b32_e32 v2, 24, v2
	s_delay_alu instid0(VALU_DEP_1)
	v_and_or_b32 v6, 0x80, v2, v3
.LBB7_1859:
	s_or_b32 exec_lo, exec_lo, s6
.LBB7_1860:
	s_delay_alu instid0(SALU_CYCLE_1)
	s_or_b32 exec_lo, exec_lo, s1
	s_mov_b32 s1, 0
	global_store_b8 v[4:5], v6, off
.LBB7_1861:
	s_and_b32 vcc_lo, exec_lo, s1
	s_cbranch_vccz .LBB7_1871
; %bb.1862:
	v_cvt_f32_f64_e32 v2, v[0:1]
	s_mov_b32 s1, exec_lo
                                        ; implicit-def: $vgpr3
	s_delay_alu instid0(VALU_DEP_1) | instskip(NEXT) | instid1(VALU_DEP_1)
	v_and_b32_e32 v6, 0x7fffffff, v2
	v_cmpx_gt_u32_e32 0x43f00000, v6
	s_xor_b32 s1, exec_lo, s1
	s_cbranch_execz .LBB7_1868
; %bb.1863:
	s_mov_b32 s3, exec_lo
                                        ; implicit-def: $vgpr3
	v_cmpx_lt_u32_e32 0x3c7fffff, v6
	s_xor_b32 s3, exec_lo, s3
; %bb.1864:
	v_bfe_u32 v3, v2, 20, 1
	s_delay_alu instid0(VALU_DEP_1) | instskip(NEXT) | instid1(VALU_DEP_1)
	v_add3_u32 v3, v2, v3, 0x407ffff
	v_and_b32_e32 v6, 0xff00000, v3
	v_lshrrev_b32_e32 v3, 20, v3
	s_delay_alu instid0(VALU_DEP_2) | instskip(NEXT) | instid1(VALU_DEP_2)
	v_cmp_ne_u32_e32 vcc_lo, 0x7f00000, v6
	v_cndmask_b32_e32 v3, 0x7e, v3, vcc_lo
; %bb.1865:
	s_and_not1_saveexec_b32 s3, s3
; %bb.1866:
	v_add_f32_e64 v3, 0x46800000, |v2|
; %bb.1867:
	s_or_b32 exec_lo, exec_lo, s3
                                        ; implicit-def: $vgpr6
.LBB7_1868:
	s_and_not1_saveexec_b32 s1, s1
; %bb.1869:
	v_mov_b32_e32 v3, 0x7f
	v_cmp_lt_u32_e32 vcc_lo, 0x7f800000, v6
	s_delay_alu instid0(VALU_DEP_2)
	v_cndmask_b32_e32 v3, 0x7e, v3, vcc_lo
; %bb.1870:
	s_or_b32 exec_lo, exec_lo, s1
	v_lshrrev_b32_e32 v2, 24, v2
	s_delay_alu instid0(VALU_DEP_1)
	v_and_or_b32 v2, 0x80, v2, v3
	global_store_b8 v[4:5], v2, off
.LBB7_1871:
	s_mov_b32 s1, 0
.LBB7_1872:
	s_delay_alu instid0(SALU_CYCLE_1)
	s_and_not1_b32 vcc_lo, exec_lo, s1
	s_cbranch_vccnz .LBB7_1882
; %bb.1873:
	v_cvt_f32_f64_e32 v2, v[0:1]
	s_mov_b32 s1, exec_lo
                                        ; implicit-def: $vgpr3
	s_delay_alu instid0(VALU_DEP_1) | instskip(NEXT) | instid1(VALU_DEP_1)
	v_and_b32_e32 v6, 0x7fffffff, v2
	v_cmpx_gt_u32_e32 0x47800000, v6
	s_xor_b32 s1, exec_lo, s1
	s_cbranch_execz .LBB7_1879
; %bb.1874:
	s_mov_b32 s3, exec_lo
                                        ; implicit-def: $vgpr3
	v_cmpx_lt_u32_e32 0x387fffff, v6
	s_xor_b32 s3, exec_lo, s3
; %bb.1875:
	v_bfe_u32 v3, v2, 21, 1
	s_delay_alu instid0(VALU_DEP_1) | instskip(NEXT) | instid1(VALU_DEP_1)
	v_add3_u32 v3, v2, v3, 0x80fffff
	v_lshrrev_b32_e32 v3, 21, v3
; %bb.1876:
	s_and_not1_saveexec_b32 s3, s3
; %bb.1877:
	v_add_f32_e64 v3, 0x43000000, |v2|
; %bb.1878:
	s_or_b32 exec_lo, exec_lo, s3
                                        ; implicit-def: $vgpr6
.LBB7_1879:
	s_and_not1_saveexec_b32 s1, s1
; %bb.1880:
	v_mov_b32_e32 v3, 0x7f
	v_cmp_lt_u32_e32 vcc_lo, 0x7f800000, v6
	s_delay_alu instid0(VALU_DEP_2)
	v_cndmask_b32_e32 v3, 0x7c, v3, vcc_lo
; %bb.1881:
	s_or_b32 exec_lo, exec_lo, s1
	v_lshrrev_b32_e32 v2, 24, v2
	s_delay_alu instid0(VALU_DEP_1)
	v_and_or_b32 v2, 0x80, v2, v3
	global_store_b8 v[4:5], v2, off
.LBB7_1882:
	s_mov_b32 s1, 0
	s_mov_b32 s3, -1
.LBB7_1883:
	s_and_not1_b32 vcc_lo, exec_lo, s1
	s_mov_b32 s1, 0
	s_cbranch_vccnz .LBB7_1890
; %bb.1884:
	v_cmp_lt_i16_e32 vcc_lo, 14, v18
	s_mov_b32 s1, -1
	s_cbranch_vccz .LBB7_1888
; %bb.1885:
	v_cmp_eq_u16_e32 vcc_lo, 15, v18
	s_mov_b32 s0, -1
	s_cbranch_vccz .LBB7_1887
; %bb.1886:
	v_cvt_f32_f64_e32 v2, v[0:1]
	s_mov_b32 s0, 0
	s_mov_b32 s3, -1
	s_delay_alu instid0(VALU_DEP_1) | instskip(SKIP_1) | instid1(VALU_DEP_2)
	v_bfe_u32 v3, v2, 16, 1
	v_cmp_o_f32_e32 vcc_lo, v2, v2
	v_add3_u32 v3, v2, v3, 0x7fff
	s_delay_alu instid0(VALU_DEP_1) | instskip(NEXT) | instid1(VALU_DEP_1)
	v_lshrrev_b32_e32 v3, 16, v3
	v_cndmask_b32_e32 v2, 0x7fc0, v3, vcc_lo
	global_store_b16 v[4:5], v2, off
.LBB7_1887:
	s_mov_b32 s1, 0
.LBB7_1888:
	s_delay_alu instid0(SALU_CYCLE_1)
	s_and_b32 vcc_lo, exec_lo, s1
	s_mov_b32 s1, 0
	s_cbranch_vccz .LBB7_1890
; %bb.1889:
	v_cmp_ne_u16_e64 s0, 11, v18
	s_mov_b32 s1, -1
.LBB7_1890:
	s_delay_alu instid0(VALU_DEP_1)
	s_and_b32 vcc_lo, exec_lo, s0
	s_cbranch_vccnz .LBB7_2079
; %bb.1891:
	s_and_not1_b32 vcc_lo, exec_lo, s1
	s_cbranch_vccnz .LBB7_1893
.LBB7_1892:
	v_cmp_neq_f64_e32 vcc_lo, 0, v[0:1]
	s_mov_b32 s3, -1
	v_cndmask_b32_e64 v2, 0, 1, vcc_lo
	global_store_b8 v[4:5], v2, off
.LBB7_1893:
	s_mov_b32 s0, 0
	s_branch .LBB7_1895
.LBB7_1894:
	s_mov_b32 s0, -1
	s_mov_b32 s3, 0
.LBB7_1895:
	s_and_b32 vcc_lo, exec_lo, s0
	s_cbranch_vccz .LBB7_1934
; %bb.1896:
	v_cmp_gt_i16_e32 vcc_lo, 5, v18
	s_mov_b32 s0, -1
	s_cbranch_vccnz .LBB7_1917
; %bb.1897:
	v_cmp_gt_i16_e32 vcc_lo, 8, v18
	s_cbranch_vccnz .LBB7_1907
; %bb.1898:
	v_cmp_gt_i16_e32 vcc_lo, 9, v18
	s_cbranch_vccnz .LBB7_1904
; %bb.1899:
	v_cmp_lt_i16_e32 vcc_lo, 9, v18
	s_cbranch_vccz .LBB7_1901
; %bb.1900:
	v_mov_b32_e32 v2, 0
	s_mov_b32 s0, 0
	s_delay_alu instid0(VALU_DEP_1)
	v_mov_b32_e32 v3, v2
	global_store_b128 v[4:5], v[0:3], off
.LBB7_1901:
	s_and_not1_b32 vcc_lo, exec_lo, s0
	s_cbranch_vccnz .LBB7_1903
; %bb.1902:
	v_cvt_f32_f64_e32 v2, v[0:1]
	v_mov_b32_e32 v3, 0
	global_store_b64 v[4:5], v[2:3], off
.LBB7_1903:
	s_mov_b32 s0, 0
.LBB7_1904:
	s_delay_alu instid0(SALU_CYCLE_1)
	s_and_not1_b32 vcc_lo, exec_lo, s0
	s_cbranch_vccnz .LBB7_1906
; %bb.1905:
	v_cvt_f32_f64_e32 v2, v[0:1]
	s_delay_alu instid0(VALU_DEP_1) | instskip(NEXT) | instid1(VALU_DEP_1)
	v_cvt_f16_f32_e32 v2, v2
	v_and_b32_e32 v2, 0xffff, v2
	global_store_b32 v[4:5], v2, off
.LBB7_1906:
	s_mov_b32 s0, 0
.LBB7_1907:
	s_delay_alu instid0(SALU_CYCLE_1)
	s_and_not1_b32 vcc_lo, exec_lo, s0
	s_cbranch_vccnz .LBB7_1916
; %bb.1908:
	v_cmp_gt_i16_e32 vcc_lo, 6, v18
	s_mov_b32 s0, -1
	s_cbranch_vccnz .LBB7_1914
; %bb.1909:
	v_cmp_lt_i16_e32 vcc_lo, 6, v18
	s_cbranch_vccz .LBB7_1911
; %bb.1910:
	s_mov_b32 s0, 0
	global_store_b64 v[4:5], v[0:1], off
.LBB7_1911:
	s_and_not1_b32 vcc_lo, exec_lo, s0
	s_cbranch_vccnz .LBB7_1913
; %bb.1912:
	v_cvt_f32_f64_e32 v2, v[0:1]
	global_store_b32 v[4:5], v2, off
.LBB7_1913:
	s_mov_b32 s0, 0
.LBB7_1914:
	s_delay_alu instid0(SALU_CYCLE_1)
	s_and_not1_b32 vcc_lo, exec_lo, s0
	s_cbranch_vccnz .LBB7_1916
; %bb.1915:
	v_cvt_f32_f64_e32 v2, v[0:1]
	s_delay_alu instid0(VALU_DEP_1)
	v_cvt_f16_f32_e32 v2, v2
	global_store_b16 v[4:5], v2, off
.LBB7_1916:
	s_mov_b32 s0, 0
.LBB7_1917:
	s_delay_alu instid0(SALU_CYCLE_1)
	s_and_not1_b32 vcc_lo, exec_lo, s0
	s_cbranch_vccnz .LBB7_1933
; %bb.1918:
	v_cmp_gt_i16_e32 vcc_lo, 2, v18
	s_mov_b32 s0, -1
	s_cbranch_vccnz .LBB7_1928
; %bb.1919:
	v_cmp_gt_i16_e32 vcc_lo, 3, v18
	s_cbranch_vccnz .LBB7_1925
; %bb.1920:
	v_cmp_lt_i16_e32 vcc_lo, 3, v18
	s_cbranch_vccz .LBB7_1922
; %bb.1921:
	v_trunc_f64_e32 v[2:3], v[0:1]
	s_mov_b32 s0, 0
	s_delay_alu instid0(VALU_DEP_1) | instskip(NEXT) | instid1(VALU_DEP_1)
	v_ldexp_f64 v[6:7], v[2:3], 0xffffffe0
	v_floor_f64_e32 v[6:7], v[6:7]
	s_delay_alu instid0(VALU_DEP_1) | instskip(SKIP_1) | instid1(VALU_DEP_2)
	v_fma_f64 v[2:3], 0xc1f00000, v[6:7], v[2:3]
	v_cvt_i32_f64_e32 v7, v[6:7]
	v_cvt_u32_f64_e32 v6, v[2:3]
	global_store_b64 v[4:5], v[6:7], off
.LBB7_1922:
	s_and_not1_b32 vcc_lo, exec_lo, s0
	s_cbranch_vccnz .LBB7_1924
; %bb.1923:
	v_cvt_i32_f64_e32 v2, v[0:1]
	global_store_b32 v[4:5], v2, off
.LBB7_1924:
	s_mov_b32 s0, 0
.LBB7_1925:
	s_delay_alu instid0(SALU_CYCLE_1)
	s_and_not1_b32 vcc_lo, exec_lo, s0
	s_cbranch_vccnz .LBB7_1927
; %bb.1926:
	v_cvt_i32_f64_e32 v2, v[0:1]
	global_store_b16 v[4:5], v2, off
.LBB7_1927:
	s_mov_b32 s0, 0
.LBB7_1928:
	s_delay_alu instid0(SALU_CYCLE_1)
	s_and_not1_b32 vcc_lo, exec_lo, s0
	s_cbranch_vccnz .LBB7_1933
; %bb.1929:
	v_cmp_lt_i16_e32 vcc_lo, 0, v18
	s_mov_b32 s0, -1
	s_cbranch_vccz .LBB7_1931
; %bb.1930:
	v_cvt_i32_f64_e32 v2, v[0:1]
	s_mov_b32 s0, 0
	global_store_b8 v[4:5], v2, off
.LBB7_1931:
	s_and_not1_b32 vcc_lo, exec_lo, s0
	s_cbranch_vccnz .LBB7_1933
; %bb.1932:
	v_trunc_f64_e32 v[0:1], v[0:1]
	s_delay_alu instid0(VALU_DEP_1) | instskip(NEXT) | instid1(VALU_DEP_1)
	v_ldexp_f64 v[2:3], v[0:1], 0xffffffe0
	v_floor_f64_e32 v[2:3], v[2:3]
	s_delay_alu instid0(VALU_DEP_1) | instskip(NEXT) | instid1(VALU_DEP_1)
	v_fma_f64 v[0:1], 0xc1f00000, v[2:3], v[0:1]
	v_cvt_u32_f64_e32 v0, v[0:1]
	global_store_b8 v[4:5], v0, off
.LBB7_1933:
	s_mov_b32 s3, -1
.LBB7_1934:
	s_delay_alu instid0(SALU_CYCLE_1)
	s_and_not1_b32 vcc_lo, exec_lo, s3
	s_cbranch_vccnz .LBB7_2011
; %bb.1935:
	v_mul_f64 v[0:1], v[8:9], v[14:15]
	v_cmp_eq_f32_e32 vcc_lo, 1.0, v22
	v_add_nc_u32_e32 v2, s2, v10
	v_cmp_gt_i16_e64 s0, 11, v18
	s_delay_alu instid0(VALU_DEP_4) | instskip(NEXT) | instid1(VALU_DEP_3)
	v_cndmask_b32_e32 v1, v1, v9, vcc_lo
	v_ashrrev_i32_e32 v3, 31, v2
	v_add_co_u32 v4, s1, s4, v2
	v_cndmask_b32_e32 v0, v0, v8, vcc_lo
	s_and_b32 vcc_lo, exec_lo, s0
	s_delay_alu instid0(VALU_DEP_3)
	v_add_co_ci_u32_e64 v5, s1, s5, v3, s1
	s_cbranch_vccnz .LBB7_2056
; %bb.1936:
	v_cmp_lt_i16_e32 vcc_lo, 25, v18
	s_mov_b32 s2, -1
	s_mov_b32 s1, 0
	s_mov_b32 s0, 0
	s_cbranch_vccz .LBB7_1969
; %bb.1937:
	v_cmp_lt_i16_e32 vcc_lo, 28, v18
	s_cbranch_vccz .LBB7_1953
; %bb.1938:
	v_cmp_lt_i16_e32 vcc_lo, 43, v18
	;; [unrolled: 3-line block ×3, first 2 shown]
	s_cbranch_vccz .LBB7_1943
; %bb.1940:
	v_cmp_eq_u16_e32 vcc_lo, 46, v18
	s_mov_b32 s0, -1
	s_cbranch_vccz .LBB7_1942
; %bb.1941:
	v_cvt_f32_f64_e32 v2, v[0:1]
	s_mov_b32 s0, 0
	s_delay_alu instid0(VALU_DEP_1) | instskip(SKIP_1) | instid1(VALU_DEP_2)
	v_bfe_u32 v3, v2, 16, 1
	v_cmp_o_f32_e32 vcc_lo, v2, v2
	v_add3_u32 v3, v2, v3, 0x7fff
	s_delay_alu instid0(VALU_DEP_1) | instskip(NEXT) | instid1(VALU_DEP_1)
	v_lshrrev_b32_e32 v3, 16, v3
	v_cndmask_b32_e32 v2, 0x7fc0, v3, vcc_lo
	global_store_b32 v[4:5], v2, off
.LBB7_1942:
	s_mov_b32 s2, 0
.LBB7_1943:
	s_delay_alu instid0(SALU_CYCLE_1)
	s_and_b32 vcc_lo, exec_lo, s2
	s_cbranch_vccz .LBB7_1948
; %bb.1944:
	v_cmp_eq_u16_e32 vcc_lo, 44, v18
	s_mov_b32 s0, -1
	s_cbranch_vccz .LBB7_1948
; %bb.1945:
	v_cvt_f32_f64_e32 v2, v[0:1]
	v_mov_b32_e32 v3, 0xff
	s_mov_b32 s2, exec_lo
	s_delay_alu instid0(VALU_DEP_2) | instskip(NEXT) | instid1(VALU_DEP_1)
	v_bfe_u32 v6, v2, 23, 8
	v_cmpx_ne_u32_e32 0xff, v6
; %bb.1946:
	v_and_b32_e32 v3, 0x400000, v2
	v_and_or_b32 v6, 0x3fffff, v2, v6
	v_lshrrev_b32_e32 v2, 23, v2
	s_delay_alu instid0(VALU_DEP_3) | instskip(NEXT) | instid1(VALU_DEP_3)
	v_cmp_ne_u32_e32 vcc_lo, 0, v3
	v_cmp_ne_u32_e64 s0, 0, v6
	s_delay_alu instid0(VALU_DEP_1) | instskip(NEXT) | instid1(SALU_CYCLE_1)
	s_and_b32 s0, vcc_lo, s0
	v_cndmask_b32_e64 v3, 0, 1, s0
	s_delay_alu instid0(VALU_DEP_1)
	v_add_nc_u32_e32 v3, v2, v3
; %bb.1947:
	s_or_b32 exec_lo, exec_lo, s2
	s_mov_b32 s0, 0
	global_store_b8 v[4:5], v3, off
.LBB7_1948:
	s_mov_b32 s2, 0
.LBB7_1949:
	s_delay_alu instid0(SALU_CYCLE_1)
	s_and_b32 vcc_lo, exec_lo, s2
	s_cbranch_vccz .LBB7_1952
; %bb.1950:
	v_cmp_eq_u16_e32 vcc_lo, 29, v18
	s_mov_b32 s0, -1
	s_cbranch_vccz .LBB7_1952
; %bb.1951:
	v_trunc_f64_e32 v[2:3], v[0:1]
	s_mov_b32 s0, 0
	s_delay_alu instid0(VALU_DEP_1) | instskip(NEXT) | instid1(VALU_DEP_1)
	v_ldexp_f64 v[6:7], v[2:3], 0xffffffe0
	v_floor_f64_e32 v[6:7], v[6:7]
	s_delay_alu instid0(VALU_DEP_1) | instskip(SKIP_1) | instid1(VALU_DEP_2)
	v_fma_f64 v[2:3], 0xc1f00000, v[6:7], v[2:3]
	v_cvt_u32_f64_e32 v7, v[6:7]
	v_cvt_u32_f64_e32 v6, v[2:3]
	global_store_b64 v[4:5], v[6:7], off
.LBB7_1952:
	s_mov_b32 s2, 0
.LBB7_1953:
	s_delay_alu instid0(SALU_CYCLE_1)
	s_and_b32 vcc_lo, exec_lo, s2
	s_cbranch_vccz .LBB7_1968
; %bb.1954:
	v_cmp_gt_i16_e32 vcc_lo, 27, v18
	s_mov_b32 s2, -1
	s_cbranch_vccnz .LBB7_1960
; %bb.1955:
	v_cvt_u32_f64_e32 v2, v[0:1]
	v_cmp_lt_i16_e32 vcc_lo, 27, v18
	s_cbranch_vccz .LBB7_1957
; %bb.1956:
	s_mov_b32 s2, 0
	global_store_b32 v[4:5], v2, off
.LBB7_1957:
	s_and_not1_b32 vcc_lo, exec_lo, s2
	s_cbranch_vccnz .LBB7_1959
; %bb.1958:
	global_store_b16 v[4:5], v2, off
.LBB7_1959:
	s_mov_b32 s2, 0
.LBB7_1960:
	s_delay_alu instid0(SALU_CYCLE_1)
	s_and_not1_b32 vcc_lo, exec_lo, s2
	s_cbranch_vccnz .LBB7_1968
; %bb.1961:
	v_cvt_f32_f64_e32 v2, v[0:1]
	v_mov_b32_e32 v6, 0x80
	s_mov_b32 s2, exec_lo
	s_delay_alu instid0(VALU_DEP_2) | instskip(NEXT) | instid1(VALU_DEP_1)
	v_and_b32_e32 v3, 0x7fffffff, v2
	v_cmpx_gt_u32_e32 0x43800000, v3
	s_cbranch_execz .LBB7_1967
; %bb.1962:
	v_cmp_lt_u32_e32 vcc_lo, 0x3bffffff, v3
	s_mov_b32 s3, 0
                                        ; implicit-def: $vgpr3
	s_and_saveexec_b32 s4, vcc_lo
	s_delay_alu instid0(SALU_CYCLE_1)
	s_xor_b32 s4, exec_lo, s4
	s_cbranch_execz .LBB7_2083
; %bb.1963:
	v_bfe_u32 v3, v2, 20, 1
	s_mov_b32 s3, exec_lo
	s_delay_alu instid0(VALU_DEP_1) | instskip(NEXT) | instid1(VALU_DEP_1)
	v_add3_u32 v3, v2, v3, 0x487ffff
	v_lshrrev_b32_e32 v3, 20, v3
	s_or_saveexec_b32 s4, s4
                                        ; implicit-def: $sgpr5
	s_delay_alu instid0(SALU_CYCLE_1)
	s_xor_b32 exec_lo, exec_lo, s4
	s_cbranch_execnz .LBB7_2084
.LBB7_1964:
	s_or_b32 exec_lo, exec_lo, s4
	v_mov_b32_e32 v6, s5
	s_and_saveexec_b32 s4, s3
.LBB7_1965:
	v_lshrrev_b32_e32 v2, 24, v2
	s_delay_alu instid0(VALU_DEP_1)
	v_and_or_b32 v6, 0x80, v2, v3
.LBB7_1966:
	s_or_b32 exec_lo, exec_lo, s4
.LBB7_1967:
	s_delay_alu instid0(SALU_CYCLE_1)
	s_or_b32 exec_lo, exec_lo, s2
	global_store_b8 v[4:5], v6, off
.LBB7_1968:
	s_mov_b32 s2, 0
.LBB7_1969:
	s_delay_alu instid0(SALU_CYCLE_1)
	s_and_b32 vcc_lo, exec_lo, s2
	s_cbranch_vccz .LBB7_2009
; %bb.1970:
	v_cmp_lt_i16_e32 vcc_lo, 22, v18
	s_mov_b32 s1, -1
	s_cbranch_vccz .LBB7_2002
; %bb.1971:
	v_cmp_gt_i16_e32 vcc_lo, 24, v18
	s_cbranch_vccnz .LBB7_1991
; %bb.1972:
	v_cmp_lt_i16_e32 vcc_lo, 24, v18
	s_cbranch_vccz .LBB7_1980
; %bb.1973:
	v_cvt_f32_f64_e32 v2, v[0:1]
	v_mov_b32_e32 v6, 0x80
	s_mov_b32 s1, exec_lo
	s_delay_alu instid0(VALU_DEP_2) | instskip(NEXT) | instid1(VALU_DEP_1)
	v_and_b32_e32 v3, 0x7fffffff, v2
	v_cmpx_gt_u32_e32 0x47800000, v3
	s_cbranch_execz .LBB7_1979
; %bb.1974:
	v_cmp_lt_u32_e32 vcc_lo, 0x37ffffff, v3
	s_mov_b32 s2, 0
                                        ; implicit-def: $vgpr3
	s_and_saveexec_b32 s3, vcc_lo
	s_delay_alu instid0(SALU_CYCLE_1)
	s_xor_b32 s3, exec_lo, s3
	s_cbranch_execz .LBB7_2089
; %bb.1975:
	v_bfe_u32 v3, v2, 21, 1
	s_mov_b32 s2, exec_lo
	s_delay_alu instid0(VALU_DEP_1) | instskip(NEXT) | instid1(VALU_DEP_1)
	v_add3_u32 v3, v2, v3, 0x88fffff
	v_lshrrev_b32_e32 v3, 21, v3
	s_or_saveexec_b32 s3, s3
                                        ; implicit-def: $sgpr4
	s_delay_alu instid0(SALU_CYCLE_1)
	s_xor_b32 exec_lo, exec_lo, s3
	s_cbranch_execnz .LBB7_2090
.LBB7_1976:
	s_or_b32 exec_lo, exec_lo, s3
	v_mov_b32_e32 v6, s4
	s_and_saveexec_b32 s3, s2
.LBB7_1977:
	v_lshrrev_b32_e32 v2, 24, v2
	s_delay_alu instid0(VALU_DEP_1)
	v_and_or_b32 v6, 0x80, v2, v3
.LBB7_1978:
	s_or_b32 exec_lo, exec_lo, s3
.LBB7_1979:
	s_delay_alu instid0(SALU_CYCLE_1)
	s_or_b32 exec_lo, exec_lo, s1
	s_mov_b32 s1, 0
	global_store_b8 v[4:5], v6, off
.LBB7_1980:
	s_and_b32 vcc_lo, exec_lo, s1
	s_cbranch_vccz .LBB7_1990
; %bb.1981:
	v_cvt_f32_f64_e32 v2, v[0:1]
	s_mov_b32 s1, exec_lo
                                        ; implicit-def: $vgpr3
	s_delay_alu instid0(VALU_DEP_1) | instskip(NEXT) | instid1(VALU_DEP_1)
	v_and_b32_e32 v6, 0x7fffffff, v2
	v_cmpx_gt_u32_e32 0x43f00000, v6
	s_xor_b32 s1, exec_lo, s1
	s_cbranch_execz .LBB7_1987
; %bb.1982:
	s_mov_b32 s2, exec_lo
                                        ; implicit-def: $vgpr3
	v_cmpx_lt_u32_e32 0x3c7fffff, v6
	s_xor_b32 s2, exec_lo, s2
; %bb.1983:
	v_bfe_u32 v3, v2, 20, 1
	s_delay_alu instid0(VALU_DEP_1) | instskip(NEXT) | instid1(VALU_DEP_1)
	v_add3_u32 v3, v2, v3, 0x407ffff
	v_and_b32_e32 v6, 0xff00000, v3
	v_lshrrev_b32_e32 v3, 20, v3
	s_delay_alu instid0(VALU_DEP_2) | instskip(NEXT) | instid1(VALU_DEP_2)
	v_cmp_ne_u32_e32 vcc_lo, 0x7f00000, v6
	v_cndmask_b32_e32 v3, 0x7e, v3, vcc_lo
; %bb.1984:
	s_and_not1_saveexec_b32 s2, s2
; %bb.1985:
	v_add_f32_e64 v3, 0x46800000, |v2|
; %bb.1986:
	s_or_b32 exec_lo, exec_lo, s2
                                        ; implicit-def: $vgpr6
.LBB7_1987:
	s_and_not1_saveexec_b32 s1, s1
; %bb.1988:
	v_mov_b32_e32 v3, 0x7f
	v_cmp_lt_u32_e32 vcc_lo, 0x7f800000, v6
	s_delay_alu instid0(VALU_DEP_2)
	v_cndmask_b32_e32 v3, 0x7e, v3, vcc_lo
; %bb.1989:
	s_or_b32 exec_lo, exec_lo, s1
	v_lshrrev_b32_e32 v2, 24, v2
	s_delay_alu instid0(VALU_DEP_1)
	v_and_or_b32 v2, 0x80, v2, v3
	global_store_b8 v[4:5], v2, off
.LBB7_1990:
	s_mov_b32 s1, 0
.LBB7_1991:
	s_delay_alu instid0(SALU_CYCLE_1)
	s_and_not1_b32 vcc_lo, exec_lo, s1
	s_cbranch_vccnz .LBB7_2001
; %bb.1992:
	v_cvt_f32_f64_e32 v2, v[0:1]
	s_mov_b32 s1, exec_lo
                                        ; implicit-def: $vgpr3
	s_delay_alu instid0(VALU_DEP_1) | instskip(NEXT) | instid1(VALU_DEP_1)
	v_and_b32_e32 v6, 0x7fffffff, v2
	v_cmpx_gt_u32_e32 0x47800000, v6
	s_xor_b32 s1, exec_lo, s1
	s_cbranch_execz .LBB7_1998
; %bb.1993:
	s_mov_b32 s2, exec_lo
                                        ; implicit-def: $vgpr3
	v_cmpx_lt_u32_e32 0x387fffff, v6
	s_xor_b32 s2, exec_lo, s2
; %bb.1994:
	v_bfe_u32 v3, v2, 21, 1
	s_delay_alu instid0(VALU_DEP_1) | instskip(NEXT) | instid1(VALU_DEP_1)
	v_add3_u32 v3, v2, v3, 0x80fffff
	v_lshrrev_b32_e32 v3, 21, v3
; %bb.1995:
	s_and_not1_saveexec_b32 s2, s2
; %bb.1996:
	v_add_f32_e64 v3, 0x43000000, |v2|
; %bb.1997:
	s_or_b32 exec_lo, exec_lo, s2
                                        ; implicit-def: $vgpr6
.LBB7_1998:
	s_and_not1_saveexec_b32 s1, s1
; %bb.1999:
	v_mov_b32_e32 v3, 0x7f
	v_cmp_lt_u32_e32 vcc_lo, 0x7f800000, v6
	s_delay_alu instid0(VALU_DEP_2)
	v_cndmask_b32_e32 v3, 0x7c, v3, vcc_lo
; %bb.2000:
	s_or_b32 exec_lo, exec_lo, s1
	v_lshrrev_b32_e32 v2, 24, v2
	s_delay_alu instid0(VALU_DEP_1)
	v_and_or_b32 v2, 0x80, v2, v3
	global_store_b8 v[4:5], v2, off
.LBB7_2001:
	s_mov_b32 s1, 0
.LBB7_2002:
	s_delay_alu instid0(SALU_CYCLE_1)
	s_and_not1_b32 vcc_lo, exec_lo, s1
	s_mov_b32 s1, 0
	s_cbranch_vccnz .LBB7_2009
; %bb.2003:
	v_cmp_lt_i16_e32 vcc_lo, 14, v18
	s_mov_b32 s1, -1
	s_cbranch_vccz .LBB7_2007
; %bb.2004:
	v_cmp_eq_u16_e32 vcc_lo, 15, v18
	s_mov_b32 s0, -1
	s_cbranch_vccz .LBB7_2006
; %bb.2005:
	v_cvt_f32_f64_e32 v2, v[0:1]
	s_mov_b32 s0, 0
	s_delay_alu instid0(VALU_DEP_1) | instskip(SKIP_1) | instid1(VALU_DEP_2)
	v_bfe_u32 v3, v2, 16, 1
	v_cmp_o_f32_e32 vcc_lo, v2, v2
	v_add3_u32 v3, v2, v3, 0x7fff
	s_delay_alu instid0(VALU_DEP_1) | instskip(NEXT) | instid1(VALU_DEP_1)
	v_lshrrev_b32_e32 v3, 16, v3
	v_cndmask_b32_e32 v2, 0x7fc0, v3, vcc_lo
	global_store_b16 v[4:5], v2, off
.LBB7_2006:
	s_mov_b32 s1, 0
.LBB7_2007:
	s_delay_alu instid0(SALU_CYCLE_1)
	s_and_b32 vcc_lo, exec_lo, s1
	s_mov_b32 s1, 0
	s_cbranch_vccz .LBB7_2009
; %bb.2008:
	v_cmp_ne_u16_e64 s0, 11, v18
	s_mov_b32 s1, -1
.LBB7_2009:
	s_delay_alu instid0(VALU_DEP_1)
	s_and_b32 vcc_lo, exec_lo, s0
	s_cbranch_vccnz .LBB7_2087
.LBB7_2010:
	s_mov_b32 s0, 0
	s_branch .LBB7_2012
.LBB7_2011:
	s_mov_b32 s0, 0
	s_mov_b32 s1, 0
                                        ; implicit-def: $vgpr18
                                        ; implicit-def: $vgpr4_vgpr5
                                        ; implicit-def: $vgpr0_vgpr1
.LBB7_2012:
	s_and_not1_b32 s2, s15, exec_lo
	s_and_b32 s3, s13, exec_lo
	s_and_b32 s0, s0, exec_lo
	;; [unrolled: 1-line block ×3, first 2 shown]
	s_or_b32 s15, s2, s3
.LBB7_2013:
	s_or_b32 exec_lo, exec_lo, s14
	s_and_saveexec_b32 s1, s15
	s_cbranch_execz .LBB7_2016
; %bb.2014:
	; divergent unreachable
	s_or_b32 exec_lo, exec_lo, s1
	s_and_saveexec_b32 s1, s13
	s_delay_alu instid0(SALU_CYCLE_1)
	s_xor_b32 s1, exec_lo, s1
	s_cbranch_execnz .LBB7_2017
.LBB7_2015:
	s_or_b32 exec_lo, exec_lo, s1
	s_and_saveexec_b32 s1, s0
	s_cbranch_execnz .LBB7_2018
	s_branch .LBB7_2055
.LBB7_2016:
	s_or_b32 exec_lo, exec_lo, s1
	s_and_saveexec_b32 s1, s13
	s_delay_alu instid0(SALU_CYCLE_1)
	s_xor_b32 s1, exec_lo, s1
	s_cbranch_execz .LBB7_2015
.LBB7_2017:
	s_waitcnt vmcnt(0)
	s_delay_alu instid0(VALU_DEP_1)
	v_cmp_neq_f64_e32 vcc_lo, 0, v[0:1]
	v_cndmask_b32_e64 v2, 0, 1, vcc_lo
	global_store_b8 v[4:5], v2, off
	s_or_b32 exec_lo, exec_lo, s1
	s_and_saveexec_b32 s1, s0
	s_cbranch_execz .LBB7_2055
.LBB7_2018:
	v_cmp_gt_i16_e32 vcc_lo, 5, v18
	s_mov_b32 s0, -1
	s_cbranch_vccnz .LBB7_2039
; %bb.2019:
	v_cmp_gt_i16_e32 vcc_lo, 8, v18
	s_cbranch_vccnz .LBB7_2029
; %bb.2020:
	v_cmp_gt_i16_e32 vcc_lo, 9, v18
	s_cbranch_vccnz .LBB7_2026
; %bb.2021:
	v_cmp_lt_i16_e32 vcc_lo, 9, v18
	s_cbranch_vccz .LBB7_2023
; %bb.2022:
	s_waitcnt vmcnt(0)
	v_mov_b32_e32 v2, 0
	s_mov_b32 s0, 0
	s_delay_alu instid0(VALU_DEP_1)
	v_mov_b32_e32 v3, v2
	global_store_b128 v[4:5], v[0:3], off
.LBB7_2023:
	s_and_not1_b32 vcc_lo, exec_lo, s0
	s_cbranch_vccnz .LBB7_2025
; %bb.2024:
	s_waitcnt vmcnt(0)
	v_cvt_f32_f64_e32 v2, v[0:1]
	v_mov_b32_e32 v3, 0
	global_store_b64 v[4:5], v[2:3], off
.LBB7_2025:
	s_mov_b32 s0, 0
.LBB7_2026:
	s_delay_alu instid0(SALU_CYCLE_1)
	s_and_not1_b32 vcc_lo, exec_lo, s0
	s_cbranch_vccnz .LBB7_2028
; %bb.2027:
	s_waitcnt vmcnt(0)
	v_cvt_f32_f64_e32 v2, v[0:1]
	s_delay_alu instid0(VALU_DEP_1) | instskip(NEXT) | instid1(VALU_DEP_1)
	v_cvt_f16_f32_e32 v2, v2
	v_and_b32_e32 v2, 0xffff, v2
	global_store_b32 v[4:5], v2, off
.LBB7_2028:
	s_mov_b32 s0, 0
.LBB7_2029:
	s_delay_alu instid0(SALU_CYCLE_1)
	s_and_not1_b32 vcc_lo, exec_lo, s0
	s_cbranch_vccnz .LBB7_2038
; %bb.2030:
	v_cmp_gt_i16_e32 vcc_lo, 6, v18
	s_mov_b32 s0, -1
	s_cbranch_vccnz .LBB7_2036
; %bb.2031:
	v_cmp_lt_i16_e32 vcc_lo, 6, v18
	s_cbranch_vccz .LBB7_2033
; %bb.2032:
	s_mov_b32 s0, 0
	s_waitcnt vmcnt(0)
	global_store_b64 v[4:5], v[0:1], off
.LBB7_2033:
	s_and_not1_b32 vcc_lo, exec_lo, s0
	s_cbranch_vccnz .LBB7_2035
; %bb.2034:
	s_waitcnt vmcnt(0)
	v_cvt_f32_f64_e32 v2, v[0:1]
	global_store_b32 v[4:5], v2, off
.LBB7_2035:
	s_mov_b32 s0, 0
.LBB7_2036:
	s_delay_alu instid0(SALU_CYCLE_1)
	s_and_not1_b32 vcc_lo, exec_lo, s0
	s_cbranch_vccnz .LBB7_2038
; %bb.2037:
	s_waitcnt vmcnt(0)
	v_cvt_f32_f64_e32 v2, v[0:1]
	s_delay_alu instid0(VALU_DEP_1)
	v_cvt_f16_f32_e32 v2, v2
	global_store_b16 v[4:5], v2, off
.LBB7_2038:
	s_mov_b32 s0, 0
.LBB7_2039:
	s_delay_alu instid0(SALU_CYCLE_1)
	s_and_not1_b32 vcc_lo, exec_lo, s0
	s_cbranch_vccnz .LBB7_2055
; %bb.2040:
	v_cmp_gt_i16_e32 vcc_lo, 2, v18
	s_mov_b32 s0, -1
	s_cbranch_vccnz .LBB7_2050
; %bb.2041:
	v_cmp_gt_i16_e32 vcc_lo, 3, v18
	s_cbranch_vccnz .LBB7_2047
; %bb.2042:
	v_cmp_lt_i16_e32 vcc_lo, 3, v18
	s_cbranch_vccz .LBB7_2044
; %bb.2043:
	s_waitcnt vmcnt(0)
	v_trunc_f64_e32 v[2:3], v[0:1]
	s_mov_b32 s0, 0
	s_delay_alu instid0(VALU_DEP_1) | instskip(NEXT) | instid1(VALU_DEP_1)
	v_ldexp_f64 v[6:7], v[2:3], 0xffffffe0
	v_floor_f64_e32 v[6:7], v[6:7]
	s_delay_alu instid0(VALU_DEP_1) | instskip(SKIP_1) | instid1(VALU_DEP_2)
	v_fma_f64 v[2:3], 0xc1f00000, v[6:7], v[2:3]
	v_cvt_i32_f64_e32 v7, v[6:7]
	v_cvt_u32_f64_e32 v6, v[2:3]
	global_store_b64 v[4:5], v[6:7], off
.LBB7_2044:
	s_and_not1_b32 vcc_lo, exec_lo, s0
	s_cbranch_vccnz .LBB7_2046
; %bb.2045:
	s_waitcnt vmcnt(0)
	v_cvt_i32_f64_e32 v2, v[0:1]
	global_store_b32 v[4:5], v2, off
.LBB7_2046:
	s_mov_b32 s0, 0
.LBB7_2047:
	s_delay_alu instid0(SALU_CYCLE_1)
	s_and_not1_b32 vcc_lo, exec_lo, s0
	s_cbranch_vccnz .LBB7_2049
; %bb.2048:
	s_waitcnt vmcnt(0)
	v_cvt_i32_f64_e32 v2, v[0:1]
	global_store_b16 v[4:5], v2, off
.LBB7_2049:
	s_mov_b32 s0, 0
.LBB7_2050:
	s_delay_alu instid0(SALU_CYCLE_1)
	s_and_not1_b32 vcc_lo, exec_lo, s0
	s_cbranch_vccnz .LBB7_2055
; %bb.2051:
	v_cmp_lt_i16_e32 vcc_lo, 0, v18
	s_mov_b32 s0, -1
	s_cbranch_vccz .LBB7_2053
; %bb.2052:
	s_waitcnt vmcnt(0)
	v_cvt_i32_f64_e32 v2, v[0:1]
	s_mov_b32 s0, 0
	global_store_b8 v[4:5], v2, off
.LBB7_2053:
	s_and_not1_b32 vcc_lo, exec_lo, s0
	s_cbranch_vccnz .LBB7_2055
; %bb.2054:
	s_waitcnt vmcnt(0)
	v_trunc_f64_e32 v[0:1], v[0:1]
	s_delay_alu instid0(VALU_DEP_1) | instskip(NEXT) | instid1(VALU_DEP_1)
	v_ldexp_f64 v[2:3], v[0:1], 0xffffffe0
	v_floor_f64_e32 v[2:3], v[2:3]
	s_delay_alu instid0(VALU_DEP_1) | instskip(NEXT) | instid1(VALU_DEP_1)
	v_fma_f64 v[0:1], 0xc1f00000, v[2:3], v[0:1]
	v_cvt_u32_f64_e32 v0, v[0:1]
	global_store_b8 v[4:5], v0, off
	s_nop 0
	s_sendmsg sendmsg(MSG_DEALLOC_VGPRS)
	s_endpgm
.LBB7_2055:
	s_nop 0
	s_sendmsg sendmsg(MSG_DEALLOC_VGPRS)
	s_endpgm
.LBB7_2056:
	s_mov_b32 s1, 0
	s_mov_b32 s0, -1
	s_branch .LBB7_2012
.LBB7_2057:
	s_cbranch_execnz .LBB7_2061
; %bb.2058:
	s_or_b32 s13, s13, exec_lo
                                        ; implicit-def: $vgpr8_vgpr9
	s_cbranch_execz .LBB7_1524
	s_branch .LBB7_1525
.LBB7_2059:
	s_or_saveexec_b32 s7, s7
                                        ; implicit-def: $sgpr8
	s_delay_alu instid0(SALU_CYCLE_1)
	s_xor_b32 exec_lo, exec_lo, s7
	s_cbranch_execz .LBB7_1606
.LBB7_2060:
	v_add_f32_e64 v3, 0x46000000, |v2|
	s_and_not1_b32 s6, s6, exec_lo
	s_mov_b32 s8, 0
	s_delay_alu instid0(VALU_DEP_1) | instskip(NEXT) | instid1(VALU_DEP_1)
	v_and_b32_e32 v3, 0xff, v3
	v_cmp_ne_u32_e32 vcc_lo, 0, v3
	s_and_b32 s9, vcc_lo, exec_lo
	s_delay_alu instid0(SALU_CYCLE_1)
	s_or_b32 s6, s6, s9
	s_or_b32 exec_lo, exec_lo, s7
	v_mov_b32_e32 v19, s8
	s_and_saveexec_b32 s7, s6
	s_cbranch_execnz .LBB7_1607
	s_branch .LBB7_1608
.LBB7_2061:
	s_trap 2
	s_sendmsg_rtn_b32 s0, sendmsg(MSG_RTN_GET_DOORBELL)
	s_mov_b32 ttmp2, m0
	s_waitcnt lgkmcnt(0)
	s_and_b32 s0, s0, 0x3ff
	s_delay_alu instid0(SALU_CYCLE_1) | instskip(NEXT) | instid1(SALU_CYCLE_1)
	s_bitset1_b32 s0, 10
	s_mov_b32 m0, s0
	s_sendmsg sendmsg(MSG_INTERRUPT)
	s_mov_b32 m0, ttmp2
.LBB7_2062:                             ; =>This Inner Loop Header: Depth=1
	s_sethalt 5
	s_branch .LBB7_2062
.LBB7_2063:
	s_cbranch_execnz .LBB7_2069
; %bb.2064:
	s_or_b32 s13, s13, exec_lo
	s_cbranch_execz .LBB7_1654
	s_branch .LBB7_1655
.LBB7_2065:
	s_or_saveexec_b32 s6, s6
                                        ; implicit-def: $sgpr7
	s_delay_alu instid0(SALU_CYCLE_1)
	s_xor_b32 exec_lo, exec_lo, s6
	s_cbranch_execz .LBB7_1619
.LBB7_2066:
	v_add_f32_e64 v3, 0x42800000, |v2|
	s_and_not1_b32 s3, s3, exec_lo
	s_mov_b32 s7, 0
	s_delay_alu instid0(VALU_DEP_1) | instskip(NEXT) | instid1(VALU_DEP_1)
	v_and_b32_e32 v3, 0xff, v3
	v_cmp_ne_u32_e32 vcc_lo, 0, v3
	s_and_b32 s8, vcc_lo, exec_lo
	s_delay_alu instid0(SALU_CYCLE_1)
	s_or_b32 s3, s3, s8
	s_or_b32 exec_lo, exec_lo, s6
	v_mov_b32_e32 v19, s7
	s_and_saveexec_b32 s6, s3
	s_cbranch_execnz .LBB7_1620
	s_branch .LBB7_1621
.LBB7_2067:
	s_or_saveexec_b32 s7, s7
                                        ; implicit-def: $sgpr8
	s_delay_alu instid0(SALU_CYCLE_1)
	s_xor_b32 exec_lo, exec_lo, s7
	s_cbranch_execz .LBB7_1725
.LBB7_2068:
	v_add_f32_e64 v3, 0x46000000, |v2|
	s_and_not1_b32 s6, s6, exec_lo
	s_mov_b32 s8, 0
	s_delay_alu instid0(VALU_DEP_1) | instskip(NEXT) | instid1(VALU_DEP_1)
	v_and_b32_e32 v3, 0xff, v3
	v_cmp_ne_u32_e32 vcc_lo, 0, v3
	s_and_b32 s9, vcc_lo, exec_lo
	s_delay_alu instid0(SALU_CYCLE_1)
	s_or_b32 s6, s6, s9
	s_or_b32 exec_lo, exec_lo, s7
	v_mov_b32_e32 v4, s8
	s_and_saveexec_b32 s7, s6
	s_cbranch_execnz .LBB7_1726
	s_branch .LBB7_1727
.LBB7_2069:
	s_trap 2
	s_sendmsg_rtn_b32 s0, sendmsg(MSG_RTN_GET_DOORBELL)
	s_mov_b32 ttmp2, m0
	s_waitcnt lgkmcnt(0)
	s_and_b32 s0, s0, 0x3ff
	s_delay_alu instid0(SALU_CYCLE_1) | instskip(NEXT) | instid1(SALU_CYCLE_1)
	s_bitset1_b32 s0, 10
	s_mov_b32 m0, s0
	s_sendmsg sendmsg(MSG_INTERRUPT)
	s_mov_b32 m0, ttmp2
.LBB7_2070:                             ; =>This Inner Loop Header: Depth=1
	s_sethalt 5
	s_branch .LBB7_2070
.LBB7_2071:
	s_cbranch_execnz .LBB7_2077
; %bb.2072:
	s_or_b32 s13, s13, exec_lo
	s_cbranch_execz .LBB7_1773
	s_branch .LBB7_1774
.LBB7_2073:
	s_or_saveexec_b32 s6, s6
                                        ; implicit-def: $sgpr7
	s_delay_alu instid0(SALU_CYCLE_1)
	s_xor_b32 exec_lo, exec_lo, s6
	s_cbranch_execz .LBB7_1738
.LBB7_2074:
	v_add_f32_e64 v3, 0x42800000, |v2|
	s_and_not1_b32 s3, s3, exec_lo
	s_mov_b32 s7, 0
	s_delay_alu instid0(VALU_DEP_1) | instskip(NEXT) | instid1(VALU_DEP_1)
	v_and_b32_e32 v3, 0xff, v3
	v_cmp_ne_u32_e32 vcc_lo, 0, v3
	s_and_b32 s8, vcc_lo, exec_lo
	s_delay_alu instid0(SALU_CYCLE_1)
	s_or_b32 s3, s3, s8
	s_or_b32 exec_lo, exec_lo, s6
	v_mov_b32_e32 v4, s7
	s_and_saveexec_b32 s6, s3
	s_cbranch_execnz .LBB7_1739
	s_branch .LBB7_1740
.LBB7_2075:
	s_or_saveexec_b32 s7, s7
                                        ; implicit-def: $sgpr8
	s_delay_alu instid0(SALU_CYCLE_1)
	s_xor_b32 exec_lo, exec_lo, s7
	s_cbranch_execz .LBB7_1844
.LBB7_2076:
	v_add_f32_e64 v3, 0x46000000, |v2|
	s_and_not1_b32 s6, s6, exec_lo
	s_mov_b32 s8, 0
	s_delay_alu instid0(VALU_DEP_1) | instskip(NEXT) | instid1(VALU_DEP_1)
	v_and_b32_e32 v3, 0xff, v3
	v_cmp_ne_u32_e32 vcc_lo, 0, v3
	s_and_b32 s9, vcc_lo, exec_lo
	s_delay_alu instid0(SALU_CYCLE_1)
	s_or_b32 s6, s6, s9
	s_or_b32 exec_lo, exec_lo, s7
	v_mov_b32_e32 v6, s8
	s_and_saveexec_b32 s7, s6
	s_cbranch_execnz .LBB7_1845
	s_branch .LBB7_1846
.LBB7_2077:
	s_trap 2
	s_sendmsg_rtn_b32 s0, sendmsg(MSG_RTN_GET_DOORBELL)
	s_mov_b32 ttmp2, m0
	s_waitcnt lgkmcnt(0)
	s_and_b32 s0, s0, 0x3ff
	s_delay_alu instid0(SALU_CYCLE_1) | instskip(NEXT) | instid1(SALU_CYCLE_1)
	s_bitset1_b32 s0, 10
	s_mov_b32 m0, s0
	s_sendmsg sendmsg(MSG_INTERRUPT)
	s_mov_b32 m0, ttmp2
.LBB7_2078:                             ; =>This Inner Loop Header: Depth=1
	s_sethalt 5
	s_branch .LBB7_2078
.LBB7_2079:
	s_cbranch_execnz .LBB7_2085
; %bb.2080:
	s_or_b32 s13, s13, exec_lo
	s_cbranch_execz .LBB7_1892
	s_branch .LBB7_1893
.LBB7_2081:
	s_or_saveexec_b32 s6, s6
                                        ; implicit-def: $sgpr7
	s_delay_alu instid0(SALU_CYCLE_1)
	s_xor_b32 exec_lo, exec_lo, s6
	s_cbranch_execz .LBB7_1857
.LBB7_2082:
	v_add_f32_e64 v3, 0x42800000, |v2|
	s_and_not1_b32 s3, s3, exec_lo
	s_mov_b32 s7, 0
	s_delay_alu instid0(VALU_DEP_1) | instskip(NEXT) | instid1(VALU_DEP_1)
	v_and_b32_e32 v3, 0xff, v3
	v_cmp_ne_u32_e32 vcc_lo, 0, v3
	s_and_b32 s8, vcc_lo, exec_lo
	s_delay_alu instid0(SALU_CYCLE_1)
	s_or_b32 s3, s3, s8
	s_or_b32 exec_lo, exec_lo, s6
	v_mov_b32_e32 v6, s7
	s_and_saveexec_b32 s6, s3
	s_cbranch_execnz .LBB7_1858
	s_branch .LBB7_1859
.LBB7_2083:
	s_or_saveexec_b32 s4, s4
                                        ; implicit-def: $sgpr5
	s_delay_alu instid0(SALU_CYCLE_1)
	s_xor_b32 exec_lo, exec_lo, s4
	s_cbranch_execz .LBB7_1964
.LBB7_2084:
	v_add_f32_e64 v3, 0x46000000, |v2|
	s_and_not1_b32 s3, s3, exec_lo
	s_mov_b32 s5, 0
	s_delay_alu instid0(VALU_DEP_1) | instskip(NEXT) | instid1(VALU_DEP_1)
	v_and_b32_e32 v3, 0xff, v3
	v_cmp_ne_u32_e32 vcc_lo, 0, v3
	s_and_b32 s6, vcc_lo, exec_lo
	s_delay_alu instid0(SALU_CYCLE_1)
	s_or_b32 s3, s3, s6
	s_or_b32 exec_lo, exec_lo, s4
	v_mov_b32_e32 v6, s5
	s_and_saveexec_b32 s4, s3
	s_cbranch_execnz .LBB7_1965
	s_branch .LBB7_1966
.LBB7_2085:
	s_trap 2
	s_sendmsg_rtn_b32 s0, sendmsg(MSG_RTN_GET_DOORBELL)
	s_mov_b32 ttmp2, m0
	s_waitcnt lgkmcnt(0)
	s_and_b32 s0, s0, 0x3ff
	s_delay_alu instid0(SALU_CYCLE_1) | instskip(NEXT) | instid1(SALU_CYCLE_1)
	s_bitset1_b32 s0, 10
	s_mov_b32 m0, s0
	s_sendmsg sendmsg(MSG_INTERRUPT)
	s_mov_b32 m0, ttmp2
.LBB7_2086:                             ; =>This Inner Loop Header: Depth=1
	s_sethalt 5
	s_branch .LBB7_2086
.LBB7_2087:
	s_cbranch_execnz .LBB7_2091
; %bb.2088:
	s_mov_b32 s1, 0
	s_or_b32 s13, s13, exec_lo
	s_branch .LBB7_2010
.LBB7_2089:
	s_or_saveexec_b32 s3, s3
                                        ; implicit-def: $sgpr4
	s_delay_alu instid0(SALU_CYCLE_1)
	s_xor_b32 exec_lo, exec_lo, s3
	s_cbranch_execz .LBB7_1976
.LBB7_2090:
	v_add_f32_e64 v3, 0x42800000, |v2|
	s_and_not1_b32 s2, s2, exec_lo
	s_mov_b32 s4, 0
	s_delay_alu instid0(VALU_DEP_1) | instskip(NEXT) | instid1(VALU_DEP_1)
	v_and_b32_e32 v3, 0xff, v3
	v_cmp_ne_u32_e32 vcc_lo, 0, v3
	s_and_b32 s5, vcc_lo, exec_lo
	s_delay_alu instid0(SALU_CYCLE_1)
	s_or_b32 s2, s2, s5
	s_or_b32 exec_lo, exec_lo, s3
	v_mov_b32_e32 v6, s4
	s_and_saveexec_b32 s3, s2
	s_cbranch_execnz .LBB7_1977
	s_branch .LBB7_1978
.LBB7_2091:
	s_trap 2
	s_sendmsg_rtn_b32 s0, sendmsg(MSG_RTN_GET_DOORBELL)
	s_mov_b32 ttmp2, m0
	s_waitcnt lgkmcnt(0)
	s_and_b32 s0, s0, 0x3ff
	s_delay_alu instid0(SALU_CYCLE_1) | instskip(NEXT) | instid1(SALU_CYCLE_1)
	s_bitset1_b32 s0, 10
	s_mov_b32 m0, s0
	s_sendmsg sendmsg(MSG_INTERRUPT)
	s_mov_b32 m0, ttmp2
.LBB7_2092:                             ; =>This Inner Loop Header: Depth=1
	s_sethalt 5
	s_branch .LBB7_2092
	.section	.rodata,"a",@progbits
	.p2align	6, 0x0
	.amdhsa_kernel _ZN2at6native32elementwise_kernel_manual_unrollILi128ELi4EZNS0_15gpu_kernel_implIZZZNS0_12_GLOBAL__N_139_amp_non_finite_check_and_unscale_cuda_ERNS_6TensorES5_RKS4_ENKUlvE_clEvENKUlvE_clEvEUldE_EEvRNS_18TensorIteratorBaseERKT_EUlibE_EEviT1_
		.amdhsa_group_segment_fixed_size 0
		.amdhsa_private_segment_fixed_size 0
		.amdhsa_kernarg_size 56
		.amdhsa_user_sgpr_count 15
		.amdhsa_user_sgpr_dispatch_ptr 0
		.amdhsa_user_sgpr_queue_ptr 0
		.amdhsa_user_sgpr_kernarg_segment_ptr 1
		.amdhsa_user_sgpr_dispatch_id 0
		.amdhsa_user_sgpr_private_segment_size 0
		.amdhsa_wavefront_size32 1
		.amdhsa_uses_dynamic_stack 0
		.amdhsa_enable_private_segment 0
		.amdhsa_system_sgpr_workgroup_id_x 1
		.amdhsa_system_sgpr_workgroup_id_y 0
		.amdhsa_system_sgpr_workgroup_id_z 0
		.amdhsa_system_sgpr_workgroup_info 0
		.amdhsa_system_vgpr_workitem_id 0
		.amdhsa_next_free_vgpr 26
		.amdhsa_next_free_sgpr 30
		.amdhsa_reserve_vcc 1
		.amdhsa_float_round_mode_32 0
		.amdhsa_float_round_mode_16_64 0
		.amdhsa_float_denorm_mode_32 3
		.amdhsa_float_denorm_mode_16_64 3
		.amdhsa_dx10_clamp 1
		.amdhsa_ieee_mode 1
		.amdhsa_fp16_overflow 0
		.amdhsa_workgroup_processor_mode 1
		.amdhsa_memory_ordered 1
		.amdhsa_forward_progress 0
		.amdhsa_shared_vgpr_count 0
		.amdhsa_exception_fp_ieee_invalid_op 0
		.amdhsa_exception_fp_denorm_src 0
		.amdhsa_exception_fp_ieee_div_zero 0
		.amdhsa_exception_fp_ieee_overflow 0
		.amdhsa_exception_fp_ieee_underflow 0
		.amdhsa_exception_fp_ieee_inexact 0
		.amdhsa_exception_int_div_zero 0
	.end_amdhsa_kernel
	.section	.text._ZN2at6native32elementwise_kernel_manual_unrollILi128ELi4EZNS0_15gpu_kernel_implIZZZNS0_12_GLOBAL__N_139_amp_non_finite_check_and_unscale_cuda_ERNS_6TensorES5_RKS4_ENKUlvE_clEvENKUlvE_clEvEUldE_EEvRNS_18TensorIteratorBaseERKT_EUlibE_EEviT1_,"axG",@progbits,_ZN2at6native32elementwise_kernel_manual_unrollILi128ELi4EZNS0_15gpu_kernel_implIZZZNS0_12_GLOBAL__N_139_amp_non_finite_check_and_unscale_cuda_ERNS_6TensorES5_RKS4_ENKUlvE_clEvENKUlvE_clEvEUldE_EEvRNS_18TensorIteratorBaseERKT_EUlibE_EEviT1_,comdat
.Lfunc_end7:
	.size	_ZN2at6native32elementwise_kernel_manual_unrollILi128ELi4EZNS0_15gpu_kernel_implIZZZNS0_12_GLOBAL__N_139_amp_non_finite_check_and_unscale_cuda_ERNS_6TensorES5_RKS4_ENKUlvE_clEvENKUlvE_clEvEUldE_EEvRNS_18TensorIteratorBaseERKT_EUlibE_EEviT1_, .Lfunc_end7-_ZN2at6native32elementwise_kernel_manual_unrollILi128ELi4EZNS0_15gpu_kernel_implIZZZNS0_12_GLOBAL__N_139_amp_non_finite_check_and_unscale_cuda_ERNS_6TensorES5_RKS4_ENKUlvE_clEvENKUlvE_clEvEUldE_EEvRNS_18TensorIteratorBaseERKT_EUlibE_EEviT1_
                                        ; -- End function
	.section	.AMDGPU.csdata,"",@progbits
; Kernel info:
; codeLenInByte = 36112
; NumSgprs: 32
; NumVgprs: 26
; ScratchSize: 0
; MemoryBound: 1
; FloatMode: 240
; IeeeMode: 1
; LDSByteSize: 0 bytes/workgroup (compile time only)
; SGPRBlocks: 3
; VGPRBlocks: 3
; NumSGPRsForWavesPerEU: 32
; NumVGPRsForWavesPerEU: 26
; Occupancy: 16
; WaveLimiterHint : 0
; COMPUTE_PGM_RSRC2:SCRATCH_EN: 0
; COMPUTE_PGM_RSRC2:USER_SGPR: 15
; COMPUTE_PGM_RSRC2:TRAP_HANDLER: 0
; COMPUTE_PGM_RSRC2:TGID_X_EN: 1
; COMPUTE_PGM_RSRC2:TGID_Y_EN: 0
; COMPUTE_PGM_RSRC2:TGID_Z_EN: 0
; COMPUTE_PGM_RSRC2:TIDIG_COMP_CNT: 0
	.section	.text._ZN2at6native32elementwise_kernel_manual_unrollILi128ELi4EZNS0_15gpu_kernel_implIZZZNS0_12_GLOBAL__N_139_amp_non_finite_check_and_unscale_cuda_ERNS_6TensorES5_RKS4_ENKUlvE_clEvENKUlvE_clEvEUldE_EEvRNS_18TensorIteratorBaseERKT_EUlibE0_EEviT1_,"axG",@progbits,_ZN2at6native32elementwise_kernel_manual_unrollILi128ELi4EZNS0_15gpu_kernel_implIZZZNS0_12_GLOBAL__N_139_amp_non_finite_check_and_unscale_cuda_ERNS_6TensorES5_RKS4_ENKUlvE_clEvENKUlvE_clEvEUldE_EEvRNS_18TensorIteratorBaseERKT_EUlibE0_EEviT1_,comdat
	.globl	_ZN2at6native32elementwise_kernel_manual_unrollILi128ELi4EZNS0_15gpu_kernel_implIZZZNS0_12_GLOBAL__N_139_amp_non_finite_check_and_unscale_cuda_ERNS_6TensorES5_RKS4_ENKUlvE_clEvENKUlvE_clEvEUldE_EEvRNS_18TensorIteratorBaseERKT_EUlibE0_EEviT1_ ; -- Begin function _ZN2at6native32elementwise_kernel_manual_unrollILi128ELi4EZNS0_15gpu_kernel_implIZZZNS0_12_GLOBAL__N_139_amp_non_finite_check_and_unscale_cuda_ERNS_6TensorES5_RKS4_ENKUlvE_clEvENKUlvE_clEvEUldE_EEvRNS_18TensorIteratorBaseERKT_EUlibE0_EEviT1_
	.p2align	8
	.type	_ZN2at6native32elementwise_kernel_manual_unrollILi128ELi4EZNS0_15gpu_kernel_implIZZZNS0_12_GLOBAL__N_139_amp_non_finite_check_and_unscale_cuda_ERNS_6TensorES5_RKS4_ENKUlvE_clEvENKUlvE_clEvEUldE_EEvRNS_18TensorIteratorBaseERKT_EUlibE0_EEviT1_,@function
_ZN2at6native32elementwise_kernel_manual_unrollILi128ELi4EZNS0_15gpu_kernel_implIZZZNS0_12_GLOBAL__N_139_amp_non_finite_check_and_unscale_cuda_ERNS_6TensorES5_RKS4_ENKUlvE_clEvENKUlvE_clEvEUldE_EEvRNS_18TensorIteratorBaseERKT_EUlibE0_EEviT1_: ; @_ZN2at6native32elementwise_kernel_manual_unrollILi128ELi4EZNS0_15gpu_kernel_implIZZZNS0_12_GLOBAL__N_139_amp_non_finite_check_and_unscale_cuda_ERNS_6TensorES5_RKS4_ENKUlvE_clEvENKUlvE_clEvEUldE_EEvRNS_18TensorIteratorBaseERKT_EUlibE0_EEviT1_
; %bb.0:
	s_clause 0x1
	s_load_b32 s28, s[0:1], 0x8
	s_load_b32 s36, s[0:1], 0x0
	v_lshl_or_b32 v9, s15, 9, v0
	s_or_b32 s20, s0, 8
	s_mov_b32 s3, -1
	s_mov_b32 s30, 0
	s_mov_b32 s21, s1
	v_or_b32_e32 v3, 0x180, v9
	s_mov_b32 s12, 0
	s_mov_b32 s2, exec_lo
	s_waitcnt lgkmcnt(0)
	s_add_i32 s29, s28, -1
	s_delay_alu instid0(SALU_CYCLE_1)
	s_cmp_gt_u32 s29, 1
	s_cselect_b32 s31, -1, 0
	v_cmpx_le_i32_e64 s36, v3
	s_xor_b32 s33, exec_lo, s2
	s_cbranch_execz .LBB8_1084
; %bb.1:
	s_clause 0x4
	s_load_b32 s34, s[20:21], 0x168
	s_load_b128 s[16:19], s[20:21], 0x4
	s_load_b64 s[22:23], s[20:21], 0x14
	s_load_b128 s[12:15], s[20:21], 0xc4
	s_load_b256 s[4:11], s[20:21], 0x148
	s_cmp_lg_u32 s28, 0
	s_mov_b32 s42, 0
	s_cselect_b32 s38, -1, 0
	s_add_u32 s24, s20, 0xc4
	s_addc_u32 s25, s21, 0
	s_min_u32 s37, s29, 15
	s_cmp_gt_u32 s28, 1
	s_mov_b32 s40, 0
	s_cselect_b32 s35, -1, 0
	s_mov_b32 s39, 0
	s_mov_b32 s41, exec_lo
	s_waitcnt lgkmcnt(0)
	v_lshrrev_b16 v8, 8, s34
	v_cmpx_gt_i32_e64 s36, v9
	s_cbranch_execz .LBB8_265
; %bb.2:
	s_and_not1_b32 vcc_lo, exec_lo, s31
	s_cbranch_vccnz .LBB8_7
; %bb.3:
	v_dual_mov_b32 v0, 0 :: v_dual_mov_b32 v1, 0
	s_and_not1_b32 vcc_lo, exec_lo, s38
	s_cbranch_vccnz .LBB8_12
; %bb.4:
	v_mov_b32_e32 v0, 0
	s_add_i32 s43, s37, 1
	s_cmp_eq_u32 s29, 2
	s_cbranch_scc1 .LBB8_8
; %bb.5:
	v_dual_mov_b32 v1, 0 :: v_dual_mov_b32 v0, 0
	v_mov_b32_e32 v2, v9
	s_and_b32 s40, s43, 28
	s_mov_b32 s44, 0
	s_mov_b64 s[2:3], s[24:25]
	s_mov_b64 s[26:27], s[20:21]
.LBB8_6:                                ; =>This Inner Loop Header: Depth=1
	s_clause 0x1
	s_load_b256 s[48:55], s[26:27], 0x4
	s_load_b128 s[64:67], s[26:27], 0x24
	s_load_b256 s[56:63], s[2:3], 0x0
	s_add_u32 s26, s26, 48
	s_addc_u32 s27, s27, 0
	s_add_i32 s44, s44, 4
	s_add_u32 s2, s2, 32
	s_addc_u32 s3, s3, 0
	s_cmp_lg_u32 s40, s44
	s_waitcnt lgkmcnt(0)
	v_mul_hi_u32 v3, s49, v2
	s_delay_alu instid0(VALU_DEP_1) | instskip(NEXT) | instid1(VALU_DEP_1)
	v_add_nc_u32_e32 v3, v2, v3
	v_lshrrev_b32_e32 v3, s50, v3
	s_delay_alu instid0(VALU_DEP_1) | instskip(SKIP_1) | instid1(VALU_DEP_2)
	v_mul_hi_u32 v4, s52, v3
	v_mul_lo_u32 v6, v3, s48
	v_add_nc_u32_e32 v4, v3, v4
	s_delay_alu instid0(VALU_DEP_2) | instskip(NEXT) | instid1(VALU_DEP_2)
	v_sub_nc_u32_e32 v2, v2, v6
	v_lshrrev_b32_e32 v4, s53, v4
	s_delay_alu instid0(VALU_DEP_2) | instskip(SKIP_1) | instid1(VALU_DEP_3)
	v_mul_lo_u32 v6, v2, s56
	v_mul_lo_u32 v10, v2, s57
	v_mul_hi_u32 v5, s55, v4
	s_delay_alu instid0(VALU_DEP_1) | instskip(NEXT) | instid1(VALU_DEP_1)
	v_add_nc_u32_e32 v5, v4, v5
	v_lshrrev_b32_e32 v5, s64, v5
	s_delay_alu instid0(VALU_DEP_1) | instskip(SKIP_1) | instid1(VALU_DEP_2)
	v_mul_hi_u32 v7, s66, v5
	v_mul_lo_u32 v11, v5, s54
	v_add_nc_u32_e32 v2, v5, v7
	v_mul_lo_u32 v7, v4, s51
	s_delay_alu instid0(VALU_DEP_3) | instskip(NEXT) | instid1(VALU_DEP_3)
	v_sub_nc_u32_e32 v4, v4, v11
	v_lshrrev_b32_e32 v2, s67, v2
	s_delay_alu instid0(VALU_DEP_2) | instskip(SKIP_2) | instid1(VALU_DEP_4)
	v_mul_lo_u32 v11, v4, s60
	v_mul_lo_u32 v4, v4, s61
	v_sub_nc_u32_e32 v3, v3, v7
	v_mul_lo_u32 v12, v2, s65
	s_delay_alu instid0(VALU_DEP_2) | instskip(SKIP_1) | instid1(VALU_DEP_3)
	v_mul_lo_u32 v7, v3, s58
	v_mul_lo_u32 v3, v3, s59
	v_sub_nc_u32_e32 v5, v5, v12
	s_delay_alu instid0(VALU_DEP_3) | instskip(NEXT) | instid1(VALU_DEP_2)
	v_add3_u32 v0, v6, v0, v7
	v_mul_lo_u32 v12, v5, s62
	v_mul_lo_u32 v5, v5, s63
	v_add3_u32 v1, v10, v1, v3
	s_delay_alu instid0(VALU_DEP_3) | instskip(NEXT) | instid1(VALU_DEP_2)
	v_add3_u32 v0, v11, v0, v12
	v_add3_u32 v1, v4, v1, v5
	s_cbranch_scc1 .LBB8_6
	s_branch .LBB8_9
.LBB8_7:
	s_mov_b32 s39, -1
                                        ; implicit-def: $vgpr0
                                        ; implicit-def: $vgpr1
	s_branch .LBB8_12
.LBB8_8:
	v_dual_mov_b32 v2, v9 :: v_dual_mov_b32 v1, 0
.LBB8_9:
	s_and_b32 s43, s43, 3
	s_delay_alu instid0(SALU_CYCLE_1)
	s_cmp_eq_u32 s43, 0
	s_cbranch_scc1 .LBB8_12
; %bb.10:
	s_lshl_b32 s2, s40, 3
	s_mul_i32 s26, s40, 12
	s_add_u32 s2, s2, s20
	s_addc_u32 s3, s21, 0
	s_add_u32 s2, s2, 0xc4
	s_addc_u32 s3, s3, 0
	;; [unrolled: 2-line block ×3, first 2 shown]
	.p2align	6
.LBB8_11:                               ; =>This Inner Loop Header: Depth=1
	s_clause 0x1
	s_load_b64 s[44:45], s[26:27], 0x4
	s_load_b32 s40, s[26:27], 0xc
	s_load_b64 s[46:47], s[2:3], 0x0
	s_add_u32 s26, s26, 12
	s_addc_u32 s27, s27, 0
	s_add_u32 s2, s2, 8
	s_addc_u32 s3, s3, 0
	s_add_i32 s43, s43, -1
	s_delay_alu instid0(SALU_CYCLE_1) | instskip(SKIP_2) | instid1(VALU_DEP_1)
	s_cmp_lg_u32 s43, 0
	s_waitcnt lgkmcnt(0)
	v_mul_hi_u32 v3, s45, v2
	v_add_nc_u32_e32 v3, v2, v3
	s_delay_alu instid0(VALU_DEP_1) | instskip(NEXT) | instid1(VALU_DEP_1)
	v_lshrrev_b32_e32 v6, s40, v3
	v_mul_lo_u32 v3, v6, s44
	s_delay_alu instid0(VALU_DEP_1) | instskip(NEXT) | instid1(VALU_DEP_1)
	v_sub_nc_u32_e32 v2, v2, v3
	v_mad_u64_u32 v[3:4], null, v2, s46, v[0:1]
	v_mad_u64_u32 v[4:5], null, v2, s47, v[1:2]
	v_mov_b32_e32 v2, v6
	s_delay_alu instid0(VALU_DEP_2)
	v_dual_mov_b32 v0, v3 :: v_dual_mov_b32 v1, v4
	s_cbranch_scc1 .LBB8_11
.LBB8_12:
	s_and_not1_b32 vcc_lo, exec_lo, s39
	s_cbranch_vccnz .LBB8_15
; %bb.13:
	v_mul_hi_u32 v0, s17, v9
	s_and_not1_b32 vcc_lo, exec_lo, s35
	s_delay_alu instid0(VALU_DEP_1) | instskip(NEXT) | instid1(VALU_DEP_1)
	v_add_nc_u32_e32 v0, v9, v0
	v_lshrrev_b32_e32 v2, s18, v0
	s_delay_alu instid0(VALU_DEP_1) | instskip(NEXT) | instid1(VALU_DEP_1)
	v_mul_lo_u32 v0, v2, s16
	v_sub_nc_u32_e32 v1, v9, v0
	s_delay_alu instid0(VALU_DEP_1)
	v_mul_lo_u32 v0, v1, s12
	v_mul_lo_u32 v1, v1, s13
	s_cbranch_vccnz .LBB8_15
; %bb.14:
	v_mul_hi_u32 v3, s22, v2
	s_delay_alu instid0(VALU_DEP_1) | instskip(NEXT) | instid1(VALU_DEP_1)
	v_add_nc_u32_e32 v3, v2, v3
	v_lshrrev_b32_e32 v3, s23, v3
	s_delay_alu instid0(VALU_DEP_1) | instskip(NEXT) | instid1(VALU_DEP_1)
	v_mul_lo_u32 v3, v3, s19
	v_sub_nc_u32_e32 v5, v2, v3
	s_delay_alu instid0(VALU_DEP_1) | instskip(NEXT) | instid1(VALU_DEP_1)
	v_mad_u64_u32 v[2:3], null, v5, s14, v[0:1]
	v_mad_u64_u32 v[3:4], null, v5, s15, v[1:2]
	s_delay_alu instid0(VALU_DEP_1)
	v_dual_mov_b32 v0, v2 :: v_dual_mov_b32 v1, v3
.LBB8_15:
	v_cmp_gt_i16_e32 vcc_lo, 11, v8
	s_delay_alu instid0(VALU_DEP_2) | instskip(NEXT) | instid1(VALU_DEP_1)
	v_add_co_u32 v1, s2, s6, v1
	v_add_co_ci_u32_e64 v2, null, s7, 0, s2
	s_mov_b32 s26, 0
	s_cbranch_vccnz .LBB8_22
; %bb.16:
	v_cmp_lt_i16_e32 vcc_lo, 25, v8
	s_cbranch_vccz .LBB8_143
; %bb.17:
	v_cmp_lt_i16_e32 vcc_lo, 28, v8
	s_cbranch_vccz .LBB8_144
	;; [unrolled: 3-line block ×4, first 2 shown]
; %bb.20:
	v_cmp_eq_u16_e32 vcc_lo, 46, v8
	s_mov_b32 s3, 0
	s_cbranch_vccz .LBB8_147
; %bb.21:
	global_load_b32 v3, v[1:2], off
	s_mov_b32 s2, -1
	s_waitcnt vmcnt(0)
	v_lshlrev_b32_e32 v3, 16, v3
	s_delay_alu instid0(VALU_DEP_1)
	v_cvt_f64_f32_e32 v[6:7], v3
	s_branch .LBB8_149
.LBB8_22:
	s_mov_b32 s2, 0
                                        ; implicit-def: $vgpr6_vgpr7
	s_cbranch_execnz .LBB8_215
.LBB8_23:
	s_and_not1_b32 vcc_lo, exec_lo, s2
	s_cbranch_vccnz .LBB8_262
.LBB8_24:
	s_waitcnt vmcnt(0)
	s_delay_alu instid0(VALU_DEP_1) | instskip(SKIP_1) | instid1(VALU_DEP_1)
	v_cvt_f32_f64_e32 v1, v[6:7]
	s_mov_b32 s2, exec_lo
	v_cmpx_nlg_f32_e64 0x7f800000, |v1|
	s_cbranch_execz .LBB8_26
; %bb.25:
	v_dual_mov_b32 v1, 0 :: v_dual_mov_b32 v2, 1.0
	global_store_b32 v1, v2, s[8:9]
.LBB8_26:
	s_or_b32 exec_lo, exec_lo, s2
	v_mov_b32_e32 v1, 0
	v_and_b32_e64 v10, 0xff, s34
	s_mov_b32 s3, 0
	global_load_b32 v4, v1, s[10:11]
	v_cmp_gt_i16_e32 vcc_lo, 11, v10
	s_and_b32 vcc_lo, exec_lo, vcc_lo
	s_waitcnt vmcnt(0)
	v_cvt_f64_f32_e32 v[1:2], v4
	v_cmp_eq_f32_e64 s2, 1.0, v4
	v_add_co_u32 v4, s27, s4, v0
	s_delay_alu instid0(VALU_DEP_1) | instskip(SKIP_1) | instid1(VALU_DEP_4)
	v_add_co_ci_u32_e64 v5, null, s5, 0, s27
	s_mov_b32 s27, -1
	v_mul_f64 v[2:3], v[6:7], v[1:2]
	s_delay_alu instid0(VALU_DEP_1) | instskip(NEXT) | instid1(VALU_DEP_2)
	v_cndmask_b32_e64 v1, v3, v7, s2
	v_cndmask_b32_e64 v0, v2, v6, s2
	s_mov_b32 s2, 0
	s_cbranch_vccnz .LBB8_103
; %bb.27:
	v_cmp_lt_i16_e32 vcc_lo, 25, v10
	s_cbranch_vccz .LBB8_60
; %bb.28:
	v_cmp_lt_i16_e32 vcc_lo, 28, v10
	s_cbranch_vccz .LBB8_43
	;; [unrolled: 3-line block ×4, first 2 shown]
; %bb.31:
	v_cmp_eq_u16_e32 vcc_lo, 46, v10
	s_mov_b32 s27, 0
	s_mov_b32 s3, -1
	s_cbranch_vccz .LBB8_33
; %bb.32:
	v_cvt_f32_f64_e32 v2, v[0:1]
	s_mov_b32 s2, -1
	s_mov_b32 s3, 0
	s_delay_alu instid0(VALU_DEP_1) | instskip(SKIP_1) | instid1(VALU_DEP_2)
	v_bfe_u32 v3, v2, 16, 1
	v_cmp_o_f32_e32 vcc_lo, v2, v2
	v_add3_u32 v3, v2, v3, 0x7fff
	s_delay_alu instid0(VALU_DEP_1) | instskip(NEXT) | instid1(VALU_DEP_1)
	v_lshrrev_b32_e32 v3, 16, v3
	v_cndmask_b32_e32 v2, 0x7fc0, v3, vcc_lo
	global_store_b32 v[4:5], v2, off
.LBB8_33:
	s_and_b32 vcc_lo, exec_lo, s27
	s_cbranch_vccz .LBB8_38
; %bb.34:
	v_cmp_eq_u16_e32 vcc_lo, 44, v10
	s_mov_b32 s3, -1
	s_cbranch_vccz .LBB8_38
; %bb.35:
	v_cvt_f32_f64_e32 v2, v[0:1]
	v_mov_b32_e32 v3, 0xff
	s_mov_b32 s3, exec_lo
	s_delay_alu instid0(VALU_DEP_2) | instskip(NEXT) | instid1(VALU_DEP_1)
	v_bfe_u32 v6, v2, 23, 8
	v_cmpx_ne_u32_e32 0xff, v6
; %bb.36:
	v_and_b32_e32 v3, 0x400000, v2
	v_and_or_b32 v6, 0x3fffff, v2, v6
	v_lshrrev_b32_e32 v2, 23, v2
	s_delay_alu instid0(VALU_DEP_3) | instskip(NEXT) | instid1(VALU_DEP_3)
	v_cmp_ne_u32_e32 vcc_lo, 0, v3
	v_cmp_ne_u32_e64 s2, 0, v6
	s_delay_alu instid0(VALU_DEP_1) | instskip(NEXT) | instid1(SALU_CYCLE_1)
	s_and_b32 s2, vcc_lo, s2
	v_cndmask_b32_e64 v3, 0, 1, s2
	s_delay_alu instid0(VALU_DEP_1)
	v_add_nc_u32_e32 v3, v2, v3
; %bb.37:
	s_or_b32 exec_lo, exec_lo, s3
	s_mov_b32 s2, -1
	s_mov_b32 s3, 0
	global_store_b8 v[4:5], v3, off
.LBB8_38:
	s_mov_b32 s27, 0
.LBB8_39:
	s_delay_alu instid0(SALU_CYCLE_1)
	s_and_b32 vcc_lo, exec_lo, s27
	s_cbranch_vccz .LBB8_42
; %bb.40:
	v_cmp_eq_u16_e32 vcc_lo, 29, v10
	s_mov_b32 s3, -1
	s_cbranch_vccz .LBB8_42
; %bb.41:
	v_trunc_f64_e32 v[2:3], v[0:1]
	s_mov_b32 s2, -1
	s_mov_b32 s3, 0
	s_delay_alu instid0(VALU_DEP_1) | instskip(NEXT) | instid1(VALU_DEP_1)
	v_ldexp_f64 v[6:7], v[2:3], 0xffffffe0
	v_floor_f64_e32 v[6:7], v[6:7]
	s_delay_alu instid0(VALU_DEP_1) | instskip(SKIP_1) | instid1(VALU_DEP_2)
	v_fma_f64 v[2:3], 0xc1f00000, v[6:7], v[2:3]
	v_cvt_u32_f64_e32 v7, v[6:7]
	v_cvt_u32_f64_e32 v6, v[2:3]
	global_store_b64 v[4:5], v[6:7], off
.LBB8_42:
	s_mov_b32 s27, 0
.LBB8_43:
	s_delay_alu instid0(SALU_CYCLE_1)
	s_and_b32 vcc_lo, exec_lo, s27
	s_cbranch_vccz .LBB8_59
; %bb.44:
	v_cmp_gt_i16_e32 vcc_lo, 27, v10
	s_mov_b32 s2, -1
	s_cbranch_vccnz .LBB8_50
; %bb.45:
	v_cmp_lt_i16_e32 vcc_lo, 27, v10
	s_cbranch_vccz .LBB8_47
; %bb.46:
	v_cvt_u32_f64_e32 v2, v[0:1]
	s_mov_b32 s2, 0
	global_store_b32 v[4:5], v2, off
.LBB8_47:
	s_and_not1_b32 vcc_lo, exec_lo, s2
	s_cbranch_vccnz .LBB8_49
; %bb.48:
	v_cvt_u32_f64_e32 v2, v[0:1]
	global_store_b16 v[4:5], v2, off
.LBB8_49:
	s_mov_b32 s2, 0
.LBB8_50:
	s_delay_alu instid0(SALU_CYCLE_1)
	s_and_not1_b32 vcc_lo, exec_lo, s2
	s_cbranch_vccnz .LBB8_58
; %bb.51:
	v_cvt_f32_f64_e32 v2, v[0:1]
	v_mov_b32_e32 v6, 0x80
	s_mov_b32 s2, exec_lo
	s_delay_alu instid0(VALU_DEP_2) | instskip(NEXT) | instid1(VALU_DEP_1)
	v_and_b32_e32 v3, 0x7fffffff, v2
	v_cmpx_gt_u32_e32 0x43800000, v3
	s_cbranch_execz .LBB8_57
; %bb.52:
	v_cmp_lt_u32_e32 vcc_lo, 0x3bffffff, v3
	s_mov_b32 s27, 0
                                        ; implicit-def: $vgpr3
	s_and_saveexec_b32 s39, vcc_lo
	s_delay_alu instid0(SALU_CYCLE_1)
	s_xor_b32 s39, exec_lo, s39
	s_cbranch_execz .LBB8_152
; %bb.53:
	v_bfe_u32 v3, v2, 20, 1
	s_mov_b32 s27, exec_lo
	s_delay_alu instid0(VALU_DEP_1) | instskip(NEXT) | instid1(VALU_DEP_1)
	v_add3_u32 v3, v2, v3, 0x487ffff
	v_lshrrev_b32_e32 v3, 20, v3
	s_or_saveexec_b32 s39, s39
                                        ; implicit-def: $sgpr40
	s_delay_alu instid0(SALU_CYCLE_1)
	s_xor_b32 exec_lo, exec_lo, s39
	s_cbranch_execnz .LBB8_153
.LBB8_54:
	s_or_b32 exec_lo, exec_lo, s39
	v_mov_b32_e32 v6, s40
	s_and_saveexec_b32 s39, s27
.LBB8_55:
	v_lshrrev_b32_e32 v2, 24, v2
	s_delay_alu instid0(VALU_DEP_1)
	v_and_or_b32 v6, 0x80, v2, v3
.LBB8_56:
	s_or_b32 exec_lo, exec_lo, s39
.LBB8_57:
	s_delay_alu instid0(SALU_CYCLE_1)
	s_or_b32 exec_lo, exec_lo, s2
	global_store_b8 v[4:5], v6, off
.LBB8_58:
	s_mov_b32 s2, -1
.LBB8_59:
	s_mov_b32 s27, 0
.LBB8_60:
	s_delay_alu instid0(SALU_CYCLE_1)
	s_and_b32 vcc_lo, exec_lo, s27
	s_cbranch_vccz .LBB8_101
; %bb.61:
	v_cmp_lt_i16_e32 vcc_lo, 22, v10
	s_mov_b32 s27, -1
	s_cbranch_vccz .LBB8_93
; %bb.62:
	v_cmp_gt_i16_e32 vcc_lo, 24, v10
	s_mov_b32 s2, -1
	s_cbranch_vccnz .LBB8_82
; %bb.63:
	v_cmp_lt_i16_e32 vcc_lo, 24, v10
	s_cbranch_vccz .LBB8_71
; %bb.64:
	v_cvt_f32_f64_e32 v2, v[0:1]
	v_mov_b32_e32 v6, 0x80
	s_mov_b32 s2, exec_lo
	s_delay_alu instid0(VALU_DEP_2) | instskip(NEXT) | instid1(VALU_DEP_1)
	v_and_b32_e32 v3, 0x7fffffff, v2
	v_cmpx_gt_u32_e32 0x47800000, v3
	s_cbranch_execz .LBB8_70
; %bb.65:
	v_cmp_lt_u32_e32 vcc_lo, 0x37ffffff, v3
	s_mov_b32 s27, 0
                                        ; implicit-def: $vgpr3
	s_and_saveexec_b32 s39, vcc_lo
	s_delay_alu instid0(SALU_CYCLE_1)
	s_xor_b32 s39, exec_lo, s39
	s_cbranch_execz .LBB8_345
; %bb.66:
	v_bfe_u32 v3, v2, 21, 1
	s_mov_b32 s27, exec_lo
	s_delay_alu instid0(VALU_DEP_1) | instskip(NEXT) | instid1(VALU_DEP_1)
	v_add3_u32 v3, v2, v3, 0x88fffff
	v_lshrrev_b32_e32 v3, 21, v3
	s_or_saveexec_b32 s39, s39
                                        ; implicit-def: $sgpr40
	s_delay_alu instid0(SALU_CYCLE_1)
	s_xor_b32 exec_lo, exec_lo, s39
	s_cbranch_execnz .LBB8_346
.LBB8_67:
	s_or_b32 exec_lo, exec_lo, s39
	v_mov_b32_e32 v6, s40
	s_and_saveexec_b32 s39, s27
.LBB8_68:
	v_lshrrev_b32_e32 v2, 24, v2
	s_delay_alu instid0(VALU_DEP_1)
	v_and_or_b32 v6, 0x80, v2, v3
.LBB8_69:
	s_or_b32 exec_lo, exec_lo, s39
.LBB8_70:
	s_delay_alu instid0(SALU_CYCLE_1)
	s_or_b32 exec_lo, exec_lo, s2
	s_mov_b32 s2, 0
	global_store_b8 v[4:5], v6, off
.LBB8_71:
	s_and_b32 vcc_lo, exec_lo, s2
	s_cbranch_vccz .LBB8_81
; %bb.72:
	v_cvt_f32_f64_e32 v2, v[0:1]
	s_mov_b32 s2, exec_lo
                                        ; implicit-def: $vgpr3
	s_delay_alu instid0(VALU_DEP_1) | instskip(NEXT) | instid1(VALU_DEP_1)
	v_and_b32_e32 v6, 0x7fffffff, v2
	v_cmpx_gt_u32_e32 0x43f00000, v6
	s_xor_b32 s2, exec_lo, s2
	s_cbranch_execz .LBB8_78
; %bb.73:
	s_mov_b32 s27, exec_lo
                                        ; implicit-def: $vgpr3
	v_cmpx_lt_u32_e32 0x3c7fffff, v6
	s_xor_b32 s27, exec_lo, s27
; %bb.74:
	v_bfe_u32 v3, v2, 20, 1
	s_delay_alu instid0(VALU_DEP_1) | instskip(NEXT) | instid1(VALU_DEP_1)
	v_add3_u32 v3, v2, v3, 0x407ffff
	v_and_b32_e32 v6, 0xff00000, v3
	v_lshrrev_b32_e32 v3, 20, v3
	s_delay_alu instid0(VALU_DEP_2) | instskip(NEXT) | instid1(VALU_DEP_2)
	v_cmp_ne_u32_e32 vcc_lo, 0x7f00000, v6
	v_cndmask_b32_e32 v3, 0x7e, v3, vcc_lo
; %bb.75:
	s_and_not1_saveexec_b32 s27, s27
; %bb.76:
	v_add_f32_e64 v3, 0x46800000, |v2|
; %bb.77:
	s_or_b32 exec_lo, exec_lo, s27
                                        ; implicit-def: $vgpr6
.LBB8_78:
	s_and_not1_saveexec_b32 s2, s2
; %bb.79:
	v_mov_b32_e32 v3, 0x7f
	v_cmp_lt_u32_e32 vcc_lo, 0x7f800000, v6
	s_delay_alu instid0(VALU_DEP_2)
	v_cndmask_b32_e32 v3, 0x7e, v3, vcc_lo
; %bb.80:
	s_or_b32 exec_lo, exec_lo, s2
	v_lshrrev_b32_e32 v2, 24, v2
	s_delay_alu instid0(VALU_DEP_1)
	v_and_or_b32 v2, 0x80, v2, v3
	global_store_b8 v[4:5], v2, off
.LBB8_81:
	s_mov_b32 s2, 0
.LBB8_82:
	s_delay_alu instid0(SALU_CYCLE_1)
	s_and_not1_b32 vcc_lo, exec_lo, s2
	s_cbranch_vccnz .LBB8_92
; %bb.83:
	v_cvt_f32_f64_e32 v2, v[0:1]
	s_mov_b32 s2, exec_lo
                                        ; implicit-def: $vgpr3
	s_delay_alu instid0(VALU_DEP_1) | instskip(NEXT) | instid1(VALU_DEP_1)
	v_and_b32_e32 v6, 0x7fffffff, v2
	v_cmpx_gt_u32_e32 0x47800000, v6
	s_xor_b32 s2, exec_lo, s2
	s_cbranch_execz .LBB8_89
; %bb.84:
	s_mov_b32 s27, exec_lo
                                        ; implicit-def: $vgpr3
	v_cmpx_lt_u32_e32 0x387fffff, v6
	s_xor_b32 s27, exec_lo, s27
; %bb.85:
	v_bfe_u32 v3, v2, 21, 1
	s_delay_alu instid0(VALU_DEP_1) | instskip(NEXT) | instid1(VALU_DEP_1)
	v_add3_u32 v3, v2, v3, 0x80fffff
	v_lshrrev_b32_e32 v3, 21, v3
; %bb.86:
	s_and_not1_saveexec_b32 s27, s27
; %bb.87:
	v_add_f32_e64 v3, 0x43000000, |v2|
; %bb.88:
	s_or_b32 exec_lo, exec_lo, s27
                                        ; implicit-def: $vgpr6
.LBB8_89:
	s_and_not1_saveexec_b32 s2, s2
; %bb.90:
	v_mov_b32_e32 v3, 0x7f
	v_cmp_lt_u32_e32 vcc_lo, 0x7f800000, v6
	s_delay_alu instid0(VALU_DEP_2)
	v_cndmask_b32_e32 v3, 0x7c, v3, vcc_lo
; %bb.91:
	s_or_b32 exec_lo, exec_lo, s2
	v_lshrrev_b32_e32 v2, 24, v2
	s_delay_alu instid0(VALU_DEP_1)
	v_and_or_b32 v2, 0x80, v2, v3
	global_store_b8 v[4:5], v2, off
.LBB8_92:
	s_mov_b32 s27, 0
	s_mov_b32 s2, -1
.LBB8_93:
	s_and_not1_b32 vcc_lo, exec_lo, s27
	s_cbranch_vccnz .LBB8_101
; %bb.94:
	v_cmp_lt_i16_e32 vcc_lo, 14, v10
	s_mov_b32 s27, -1
	s_cbranch_vccz .LBB8_98
; %bb.95:
	v_cmp_eq_u16_e32 vcc_lo, 15, v10
	s_mov_b32 s3, -1
	s_cbranch_vccz .LBB8_97
; %bb.96:
	v_cvt_f32_f64_e32 v2, v[0:1]
	s_mov_b32 s2, -1
	s_mov_b32 s3, 0
	s_delay_alu instid0(VALU_DEP_1) | instskip(SKIP_1) | instid1(VALU_DEP_2)
	v_bfe_u32 v3, v2, 16, 1
	v_cmp_o_f32_e32 vcc_lo, v2, v2
	v_add3_u32 v3, v2, v3, 0x7fff
	s_delay_alu instid0(VALU_DEP_1) | instskip(NEXT) | instid1(VALU_DEP_1)
	v_lshrrev_b32_e32 v3, 16, v3
	v_cndmask_b32_e32 v2, 0x7fc0, v3, vcc_lo
	global_store_b16 v[4:5], v2, off
.LBB8_97:
	s_mov_b32 s27, 0
.LBB8_98:
	s_delay_alu instid0(SALU_CYCLE_1)
	s_and_b32 vcc_lo, exec_lo, s27
	s_cbranch_vccz .LBB8_101
; %bb.99:
	v_cmp_eq_u16_e32 vcc_lo, 11, v10
	s_mov_b32 s3, -1
	s_cbranch_vccz .LBB8_101
; %bb.100:
	v_cmp_neq_f64_e32 vcc_lo, 0, v[0:1]
	s_mov_b32 s2, -1
	s_mov_b32 s3, 0
	v_cndmask_b32_e64 v2, 0, 1, vcc_lo
	global_store_b8 v[4:5], v2, off
.LBB8_101:
.LBB8_102:
	s_and_not1_b32 vcc_lo, exec_lo, s2
	s_cbranch_vccz .LBB8_142
	s_branch .LBB8_263
.LBB8_103:
	s_and_b32 vcc_lo, exec_lo, s27
	s_cbranch_vccz .LBB8_102
; %bb.104:
	v_cmp_gt_i16_e32 vcc_lo, 5, v10
	s_mov_b32 s2, -1
	s_cbranch_vccnz .LBB8_125
; %bb.105:
	v_cmp_gt_i16_e32 vcc_lo, 8, v10
	s_cbranch_vccnz .LBB8_115
; %bb.106:
	v_cmp_gt_i16_e32 vcc_lo, 9, v10
	s_cbranch_vccnz .LBB8_112
; %bb.107:
	v_cmp_lt_i16_e32 vcc_lo, 9, v10
	s_cbranch_vccz .LBB8_109
; %bb.108:
	v_mov_b32_e32 v2, 0
	s_mov_b32 s2, 0
	s_delay_alu instid0(VALU_DEP_1)
	v_mov_b32_e32 v3, v2
	global_store_b128 v[4:5], v[0:3], off
.LBB8_109:
	s_and_not1_b32 vcc_lo, exec_lo, s2
	s_cbranch_vccnz .LBB8_111
; %bb.110:
	v_cvt_f32_f64_e32 v2, v[0:1]
	v_mov_b32_e32 v3, 0
	global_store_b64 v[4:5], v[2:3], off
.LBB8_111:
	s_mov_b32 s2, 0
.LBB8_112:
	s_delay_alu instid0(SALU_CYCLE_1)
	s_and_not1_b32 vcc_lo, exec_lo, s2
	s_cbranch_vccnz .LBB8_114
; %bb.113:
	v_cvt_f32_f64_e32 v2, v[0:1]
	s_delay_alu instid0(VALU_DEP_1) | instskip(NEXT) | instid1(VALU_DEP_1)
	v_cvt_f16_f32_e32 v2, v2
	v_and_b32_e32 v2, 0xffff, v2
	global_store_b32 v[4:5], v2, off
.LBB8_114:
	s_mov_b32 s2, 0
.LBB8_115:
	s_delay_alu instid0(SALU_CYCLE_1)
	s_and_not1_b32 vcc_lo, exec_lo, s2
	s_cbranch_vccnz .LBB8_124
; %bb.116:
	v_cmp_gt_i16_e32 vcc_lo, 6, v10
	s_mov_b32 s2, -1
	s_cbranch_vccnz .LBB8_122
; %bb.117:
	v_cmp_lt_i16_e32 vcc_lo, 6, v10
	s_cbranch_vccz .LBB8_119
; %bb.118:
	s_mov_b32 s2, 0
	global_store_b64 v[4:5], v[0:1], off
.LBB8_119:
	s_and_not1_b32 vcc_lo, exec_lo, s2
	s_cbranch_vccnz .LBB8_121
; %bb.120:
	v_cvt_f32_f64_e32 v2, v[0:1]
	global_store_b32 v[4:5], v2, off
.LBB8_121:
	s_mov_b32 s2, 0
.LBB8_122:
	s_delay_alu instid0(SALU_CYCLE_1)
	s_and_not1_b32 vcc_lo, exec_lo, s2
	s_cbranch_vccnz .LBB8_124
; %bb.123:
	v_cvt_f32_f64_e32 v2, v[0:1]
	s_delay_alu instid0(VALU_DEP_1)
	v_cvt_f16_f32_e32 v2, v2
	global_store_b16 v[4:5], v2, off
.LBB8_124:
	s_mov_b32 s2, 0
.LBB8_125:
	s_delay_alu instid0(SALU_CYCLE_1)
	s_and_not1_b32 vcc_lo, exec_lo, s2
	s_cbranch_vccnz .LBB8_141
; %bb.126:
	v_cmp_gt_i16_e32 vcc_lo, 2, v10
	s_mov_b32 s2, -1
	s_cbranch_vccnz .LBB8_136
; %bb.127:
	v_cmp_gt_i16_e32 vcc_lo, 3, v10
	s_cbranch_vccnz .LBB8_133
; %bb.128:
	v_cmp_lt_i16_e32 vcc_lo, 3, v10
	s_cbranch_vccz .LBB8_130
; %bb.129:
	v_trunc_f64_e32 v[2:3], v[0:1]
	s_mov_b32 s2, 0
	s_delay_alu instid0(VALU_DEP_1) | instskip(NEXT) | instid1(VALU_DEP_1)
	v_ldexp_f64 v[6:7], v[2:3], 0xffffffe0
	v_floor_f64_e32 v[6:7], v[6:7]
	s_delay_alu instid0(VALU_DEP_1) | instskip(SKIP_1) | instid1(VALU_DEP_2)
	v_fma_f64 v[2:3], 0xc1f00000, v[6:7], v[2:3]
	v_cvt_i32_f64_e32 v7, v[6:7]
	v_cvt_u32_f64_e32 v6, v[2:3]
	global_store_b64 v[4:5], v[6:7], off
.LBB8_130:
	s_and_not1_b32 vcc_lo, exec_lo, s2
	s_cbranch_vccnz .LBB8_132
; %bb.131:
	v_cvt_i32_f64_e32 v2, v[0:1]
	global_store_b32 v[4:5], v2, off
.LBB8_132:
	s_mov_b32 s2, 0
.LBB8_133:
	s_delay_alu instid0(SALU_CYCLE_1)
	s_and_not1_b32 vcc_lo, exec_lo, s2
	s_cbranch_vccnz .LBB8_135
; %bb.134:
	v_cvt_i32_f64_e32 v2, v[0:1]
	global_store_b16 v[4:5], v2, off
.LBB8_135:
	s_mov_b32 s2, 0
.LBB8_136:
	s_delay_alu instid0(SALU_CYCLE_1)
	s_and_not1_b32 vcc_lo, exec_lo, s2
	s_cbranch_vccnz .LBB8_141
; %bb.137:
	v_cmp_lt_i16_e32 vcc_lo, 0, v10
	s_mov_b32 s2, -1
	s_cbranch_vccz .LBB8_139
; %bb.138:
	v_cvt_i32_f64_e32 v2, v[0:1]
	s_mov_b32 s2, 0
	global_store_b8 v[4:5], v2, off
.LBB8_139:
	s_and_not1_b32 vcc_lo, exec_lo, s2
	s_cbranch_vccnz .LBB8_141
; %bb.140:
	v_trunc_f64_e32 v[0:1], v[0:1]
	s_delay_alu instid0(VALU_DEP_1) | instskip(NEXT) | instid1(VALU_DEP_1)
	v_ldexp_f64 v[2:3], v[0:1], 0xffffffe0
	v_floor_f64_e32 v[2:3], v[2:3]
	s_delay_alu instid0(VALU_DEP_1) | instskip(NEXT) | instid1(VALU_DEP_1)
	v_fma_f64 v[0:1], 0xc1f00000, v[2:3], v[0:1]
	v_cvt_u32_f64_e32 v0, v[0:1]
	global_store_b8 v[4:5], v0, off
.LBB8_141:
.LBB8_142:
	v_add_nc_u32_e32 v9, 0x80, v9
	s_mov_b32 s2, -1
	s_branch .LBB8_264
.LBB8_143:
	s_mov_b32 s2, 0
                                        ; implicit-def: $vgpr6_vgpr7
	s_cbranch_execnz .LBB8_182
	s_branch .LBB8_214
.LBB8_144:
	s_mov_b32 s3, -1
	s_mov_b32 s2, 0
                                        ; implicit-def: $vgpr6_vgpr7
	s_branch .LBB8_161
.LBB8_145:
	s_mov_b32 s3, -1
	s_mov_b32 s2, 0
                                        ; implicit-def: $vgpr6_vgpr7
	s_branch .LBB8_156
.LBB8_146:
	s_mov_b32 s3, -1
	s_branch .LBB8_148
.LBB8_147:
	s_mov_b32 s26, -1
.LBB8_148:
	s_mov_b32 s2, 0
                                        ; implicit-def: $vgpr6_vgpr7
.LBB8_149:
	s_and_b32 vcc_lo, exec_lo, s3
	s_cbranch_vccz .LBB8_155
; %bb.150:
	v_cmp_eq_u16_e32 vcc_lo, 44, v8
	s_cbranch_vccz .LBB8_154
; %bb.151:
	global_load_u8 v5, v[1:2], off
	s_mov_b32 s26, 0
	s_mov_b32 s2, -1
	s_waitcnt vmcnt(0)
	v_cmp_ne_u32_e32 vcc_lo, 0xff, v5
	v_lshlrev_b32_e32 v3, 23, v5
	s_delay_alu instid0(VALU_DEP_1) | instskip(NEXT) | instid1(VALU_DEP_1)
	v_cvt_f64_f32_e32 v[3:4], v3
	v_cndmask_b32_e32 v4, 0x7ff80000, v4, vcc_lo
	s_delay_alu instid0(VALU_DEP_2) | instskip(SKIP_1) | instid1(VALU_DEP_3)
	v_cndmask_b32_e32 v3, 0x20000000, v3, vcc_lo
	v_cmp_ne_u32_e32 vcc_lo, 0, v5
	v_cndmask_b32_e32 v7, 0x38000000, v4, vcc_lo
	s_delay_alu instid0(VALU_DEP_3)
	v_cndmask_b32_e32 v6, 0, v3, vcc_lo
	s_branch .LBB8_155
.LBB8_152:
	s_or_saveexec_b32 s39, s39
                                        ; implicit-def: $sgpr40
	s_delay_alu instid0(SALU_CYCLE_1)
	s_xor_b32 exec_lo, exec_lo, s39
	s_cbranch_execz .LBB8_54
.LBB8_153:
	v_add_f32_e64 v3, 0x46000000, |v2|
	s_and_not1_b32 s27, s27, exec_lo
	s_mov_b32 s40, 0
	s_delay_alu instid0(VALU_DEP_1) | instskip(NEXT) | instid1(VALU_DEP_1)
	v_and_b32_e32 v3, 0xff, v3
	v_cmp_ne_u32_e32 vcc_lo, 0, v3
	s_and_b32 s43, vcc_lo, exec_lo
	s_delay_alu instid0(SALU_CYCLE_1)
	s_or_b32 s27, s27, s43
	s_or_b32 exec_lo, exec_lo, s39
	v_mov_b32_e32 v6, s40
	s_and_saveexec_b32 s39, s27
	s_cbranch_execnz .LBB8_55
	s_branch .LBB8_56
.LBB8_154:
	s_mov_b32 s26, -1
                                        ; implicit-def: $vgpr6_vgpr7
.LBB8_155:
	s_mov_b32 s3, 0
.LBB8_156:
	s_delay_alu instid0(SALU_CYCLE_1)
	s_and_b32 vcc_lo, exec_lo, s3
	s_cbranch_vccz .LBB8_160
; %bb.157:
	v_cmp_eq_u16_e32 vcc_lo, 29, v8
	s_cbranch_vccz .LBB8_159
; %bb.158:
	global_load_b64 v[3:4], v[1:2], off
	s_mov_b32 s2, -1
	s_mov_b32 s26, 0
	s_mov_b32 s3, 0
	s_waitcnt vmcnt(0)
	v_cvt_f64_u32_e32 v[4:5], v4
	v_cvt_f64_u32_e32 v[6:7], v3
	s_delay_alu instid0(VALU_DEP_2) | instskip(NEXT) | instid1(VALU_DEP_1)
	v_ldexp_f64 v[4:5], v[4:5], 32
	v_add_f64 v[6:7], v[4:5], v[6:7]
	s_branch .LBB8_161
.LBB8_159:
	s_mov_b32 s26, -1
                                        ; implicit-def: $vgpr6_vgpr7
.LBB8_160:
	s_mov_b32 s3, 0
.LBB8_161:
	s_delay_alu instid0(SALU_CYCLE_1)
	s_and_b32 vcc_lo, exec_lo, s3
	s_cbranch_vccz .LBB8_181
; %bb.162:
	v_cmp_gt_i16_e32 vcc_lo, 27, v8
	s_cbranch_vccnz .LBB8_165
; %bb.163:
	v_cmp_lt_i16_e32 vcc_lo, 27, v8
	s_cbranch_vccz .LBB8_166
; %bb.164:
	global_load_b32 v3, v[1:2], off
	s_mov_b32 s2, 0
	s_waitcnt vmcnt(0)
	v_cvt_f64_u32_e32 v[6:7], v3
	s_branch .LBB8_167
.LBB8_165:
	s_mov_b32 s2, -1
                                        ; implicit-def: $vgpr6_vgpr7
	s_branch .LBB8_170
.LBB8_166:
	s_mov_b32 s2, -1
                                        ; implicit-def: $vgpr6_vgpr7
.LBB8_167:
	s_delay_alu instid0(SALU_CYCLE_1)
	s_and_not1_b32 vcc_lo, exec_lo, s2
	s_cbranch_vccnz .LBB8_169
; %bb.168:
	global_load_u16 v3, v[1:2], off
	s_waitcnt vmcnt(0)
	v_cvt_f64_u32_e32 v[6:7], v3
.LBB8_169:
	s_mov_b32 s2, 0
.LBB8_170:
	s_delay_alu instid0(SALU_CYCLE_1)
	s_and_not1_b32 vcc_lo, exec_lo, s2
	s_cbranch_vccnz .LBB8_180
; %bb.171:
	global_load_u8 v3, v[1:2], off
	s_mov_b32 s27, 0
	s_mov_b32 s39, exec_lo
                                        ; implicit-def: $sgpr2_sgpr3
	s_waitcnt vmcnt(0)
	v_cmpx_lt_i16_e32 0x7f, v3
	s_xor_b32 s39, exec_lo, s39
	s_cbranch_execz .LBB8_175
; %bb.172:
	s_mov_b32 s40, -1
	s_mov_b32 s27, exec_lo
                                        ; implicit-def: $sgpr2_sgpr3
	v_cmpx_eq_u16_e32 0x80, v3
; %bb.173:
	s_mov_b32 s3, 0x7ff80000
	s_brev_b32 s2, 4
	s_xor_b32 s40, exec_lo, -1
; %bb.174:
	s_or_b32 exec_lo, exec_lo, s27
	s_delay_alu instid0(SALU_CYCLE_1)
	s_and_b32 s27, s40, exec_lo
.LBB8_175:
	s_or_saveexec_b32 s39, s39
	v_dual_mov_b32 v7, s3 :: v_dual_mov_b32 v6, s2
	s_xor_b32 exec_lo, exec_lo, s39
; %bb.176:
	v_cmp_ne_u16_e32 vcc_lo, 0, v3
	v_mov_b32_e32 v6, 0
	v_mov_b32_e32 v7, 0
	s_and_not1_b32 s2, s27, exec_lo
	s_and_b32 s3, vcc_lo, exec_lo
	s_delay_alu instid0(SALU_CYCLE_1)
	s_or_b32 s27, s2, s3
; %bb.177:
	s_or_b32 exec_lo, exec_lo, s39
	s_and_saveexec_b32 s2, s27
	s_cbranch_execz .LBB8_179
; %bb.178:
	v_and_b32_e32 v4, 0xffff, v3
	v_lshlrev_b32_e32 v3, 24, v3
	s_delay_alu instid0(VALU_DEP_2) | instskip(NEXT) | instid1(VALU_DEP_2)
	v_and_b32_e32 v5, 7, v4
	v_and_b32_e32 v3, 0x80000000, v3
	s_delay_alu instid0(VALU_DEP_2) | instskip(NEXT) | instid1(VALU_DEP_1)
	v_clz_i32_u32_e32 v6, v5
	v_min_u32_e32 v6, 32, v6
	s_delay_alu instid0(VALU_DEP_1) | instskip(SKIP_1) | instid1(VALU_DEP_2)
	v_subrev_nc_u32_e32 v7, 28, v6
	v_sub_nc_u32_e32 v6, 29, v6
	v_lshlrev_b32_e32 v7, v7, v4
	v_bfe_u32 v4, v4, 3, 4
	s_delay_alu instid0(VALU_DEP_2) | instskip(NEXT) | instid1(VALU_DEP_2)
	v_and_b32_e32 v7, 7, v7
	v_cmp_eq_u32_e32 vcc_lo, 0, v4
	s_delay_alu instid0(VALU_DEP_2) | instskip(NEXT) | instid1(VALU_DEP_1)
	v_dual_cndmask_b32 v4, v4, v6 :: v_dual_cndmask_b32 v5, v5, v7
	v_lshl_add_u32 v4, v4, 23, 0x3b800000
	s_delay_alu instid0(VALU_DEP_2) | instskip(NEXT) | instid1(VALU_DEP_1)
	v_lshlrev_b32_e32 v5, 20, v5
	v_or3_b32 v3, v3, v4, v5
	s_delay_alu instid0(VALU_DEP_1)
	v_cvt_f64_f32_e32 v[6:7], v3
.LBB8_179:
	s_or_b32 exec_lo, exec_lo, s2
.LBB8_180:
	s_mov_b32 s2, -1
.LBB8_181:
	s_branch .LBB8_214
.LBB8_182:
	v_cmp_lt_i16_e32 vcc_lo, 22, v8
	s_cbranch_vccz .LBB8_194
; %bb.183:
	v_cmp_gt_i16_e32 vcc_lo, 24, v8
	s_cbranch_vccnz .LBB8_195
; %bb.184:
	v_cmp_lt_i16_e32 vcc_lo, 24, v8
	s_cbranch_vccz .LBB8_196
; %bb.185:
	global_load_u8 v3, v[1:2], off
	s_mov_b32 s27, 0
	s_mov_b32 s39, exec_lo
                                        ; implicit-def: $sgpr2_sgpr3
	s_waitcnt vmcnt(0)
	v_cmpx_lt_i16_e32 0x7f, v3
	s_xor_b32 s39, exec_lo, s39
	s_cbranch_execz .LBB8_189
; %bb.186:
	s_mov_b32 s40, -1
	s_mov_b32 s27, exec_lo
                                        ; implicit-def: $sgpr2_sgpr3
	v_cmpx_eq_u16_e32 0x80, v3
; %bb.187:
	s_mov_b32 s3, 0x7ff80000
	s_brev_b32 s2, 4
	s_xor_b32 s40, exec_lo, -1
; %bb.188:
	s_or_b32 exec_lo, exec_lo, s27
	s_delay_alu instid0(SALU_CYCLE_1)
	s_and_b32 s27, s40, exec_lo
.LBB8_189:
	s_or_saveexec_b32 s39, s39
	v_dual_mov_b32 v7, s3 :: v_dual_mov_b32 v6, s2
	s_xor_b32 exec_lo, exec_lo, s39
; %bb.190:
	v_cmp_ne_u16_e32 vcc_lo, 0, v3
	v_mov_b32_e32 v6, 0
	v_mov_b32_e32 v7, 0
	s_and_not1_b32 s2, s27, exec_lo
	s_and_b32 s3, vcc_lo, exec_lo
	s_delay_alu instid0(SALU_CYCLE_1)
	s_or_b32 s27, s2, s3
; %bb.191:
	s_or_b32 exec_lo, exec_lo, s39
	s_and_saveexec_b32 s2, s27
	s_cbranch_execz .LBB8_193
; %bb.192:
	v_and_b32_e32 v4, 0xffff, v3
	v_lshlrev_b32_e32 v3, 24, v3
	s_delay_alu instid0(VALU_DEP_2) | instskip(NEXT) | instid1(VALU_DEP_2)
	v_and_b32_e32 v5, 3, v4
	v_and_b32_e32 v3, 0x80000000, v3
	s_delay_alu instid0(VALU_DEP_2) | instskip(NEXT) | instid1(VALU_DEP_1)
	v_clz_i32_u32_e32 v6, v5
	v_min_u32_e32 v6, 32, v6
	s_delay_alu instid0(VALU_DEP_1) | instskip(SKIP_1) | instid1(VALU_DEP_2)
	v_subrev_nc_u32_e32 v7, 29, v6
	v_sub_nc_u32_e32 v6, 30, v6
	v_lshlrev_b32_e32 v7, v7, v4
	v_bfe_u32 v4, v4, 2, 5
	s_delay_alu instid0(VALU_DEP_2) | instskip(NEXT) | instid1(VALU_DEP_2)
	v_and_b32_e32 v7, 3, v7
	v_cmp_eq_u32_e32 vcc_lo, 0, v4
	s_delay_alu instid0(VALU_DEP_2) | instskip(NEXT) | instid1(VALU_DEP_1)
	v_dual_cndmask_b32 v4, v4, v6 :: v_dual_cndmask_b32 v5, v5, v7
	v_lshl_add_u32 v4, v4, 23, 0x37800000
	s_delay_alu instid0(VALU_DEP_2) | instskip(NEXT) | instid1(VALU_DEP_1)
	v_lshlrev_b32_e32 v5, 21, v5
	v_or3_b32 v3, v3, v4, v5
	s_delay_alu instid0(VALU_DEP_1)
	v_cvt_f64_f32_e32 v[6:7], v3
.LBB8_193:
	s_or_b32 exec_lo, exec_lo, s2
	s_mov_b32 s2, 0
	s_branch .LBB8_197
.LBB8_194:
	s_mov_b32 s3, -1
                                        ; implicit-def: $vgpr6_vgpr7
	s_branch .LBB8_203
.LBB8_195:
	s_mov_b32 s2, -1
                                        ; implicit-def: $vgpr6_vgpr7
	s_branch .LBB8_200
.LBB8_196:
	s_mov_b32 s2, -1
                                        ; implicit-def: $vgpr6_vgpr7
.LBB8_197:
	s_delay_alu instid0(SALU_CYCLE_1)
	s_and_b32 vcc_lo, exec_lo, s2
	s_cbranch_vccz .LBB8_199
; %bb.198:
	global_load_u8 v3, v[1:2], off
	s_waitcnt vmcnt(0)
	v_lshlrev_b32_e32 v3, 24, v3
	s_delay_alu instid0(VALU_DEP_1) | instskip(NEXT) | instid1(VALU_DEP_1)
	v_and_b32_e32 v4, 0x7f000000, v3
	v_clz_i32_u32_e32 v5, v4
	v_add_nc_u32_e32 v7, 0x1000000, v4
	v_cmp_ne_u32_e32 vcc_lo, 0, v4
	s_delay_alu instid0(VALU_DEP_3) | instskip(NEXT) | instid1(VALU_DEP_1)
	v_min_u32_e32 v5, 32, v5
	v_sub_nc_u32_e64 v5, v5, 4 clamp
	s_delay_alu instid0(VALU_DEP_1) | instskip(SKIP_1) | instid1(VALU_DEP_2)
	v_lshlrev_b32_e32 v6, v5, v4
	v_lshlrev_b32_e32 v5, 23, v5
	v_lshrrev_b32_e32 v6, 4, v6
	s_delay_alu instid0(VALU_DEP_1) | instskip(SKIP_1) | instid1(VALU_DEP_2)
	v_sub_nc_u32_e32 v5, v6, v5
	v_ashrrev_i32_e32 v6, 8, v7
	v_add_nc_u32_e32 v5, 0x3c000000, v5
	s_delay_alu instid0(VALU_DEP_1) | instskip(NEXT) | instid1(VALU_DEP_1)
	v_and_or_b32 v5, 0x7f800000, v6, v5
	v_cndmask_b32_e32 v4, 0, v5, vcc_lo
	s_delay_alu instid0(VALU_DEP_1) | instskip(NEXT) | instid1(VALU_DEP_1)
	v_and_or_b32 v3, 0x80000000, v3, v4
	v_cvt_f64_f32_e32 v[6:7], v3
.LBB8_199:
	s_mov_b32 s2, 0
.LBB8_200:
	s_delay_alu instid0(SALU_CYCLE_1)
	s_and_not1_b32 vcc_lo, exec_lo, s2
	s_cbranch_vccnz .LBB8_202
; %bb.201:
	global_load_u8 v3, v[1:2], off
	s_waitcnt vmcnt(0)
	v_lshlrev_b32_e32 v4, 25, v3
	v_lshlrev_b16 v3, 8, v3
	s_delay_alu instid0(VALU_DEP_2) | instskip(NEXT) | instid1(VALU_DEP_2)
	v_lshrrev_b32_e32 v5, 4, v4
	v_and_or_b32 v6, 0x7f00, v3, 0.5
	v_bfe_i32 v3, v3, 0, 16
	s_delay_alu instid0(VALU_DEP_3) | instskip(NEXT) | instid1(VALU_DEP_1)
	v_or_b32_e32 v5, 0x70000000, v5
	v_dual_add_f32 v6, -0.5, v6 :: v_dual_mul_f32 v5, 0x7800000, v5
	v_cmp_gt_u32_e32 vcc_lo, 0x8000000, v4
	s_delay_alu instid0(VALU_DEP_2) | instskip(NEXT) | instid1(VALU_DEP_1)
	v_cndmask_b32_e32 v4, v5, v6, vcc_lo
	v_and_or_b32 v3, 0x80000000, v3, v4
	s_delay_alu instid0(VALU_DEP_1)
	v_cvt_f64_f32_e32 v[6:7], v3
.LBB8_202:
	s_mov_b32 s3, 0
	s_mov_b32 s2, -1
.LBB8_203:
	s_and_not1_b32 vcc_lo, exec_lo, s3
	s_cbranch_vccnz .LBB8_214
; %bb.204:
	v_cmp_lt_i16_e32 vcc_lo, 14, v8
	s_cbranch_vccz .LBB8_207
; %bb.205:
	v_cmp_eq_u16_e32 vcc_lo, 15, v8
	s_cbranch_vccz .LBB8_208
; %bb.206:
	global_load_u16 v3, v[1:2], off
	s_mov_b32 s2, -1
	s_mov_b32 s26, 0
	s_waitcnt vmcnt(0)
	v_lshlrev_b32_e32 v3, 16, v3
	s_delay_alu instid0(VALU_DEP_1)
	v_cvt_f64_f32_e32 v[6:7], v3
	s_branch .LBB8_209
.LBB8_207:
	s_mov_b32 s3, -1
                                        ; implicit-def: $vgpr6_vgpr7
	s_branch .LBB8_210
.LBB8_208:
	s_mov_b32 s26, -1
                                        ; implicit-def: $vgpr6_vgpr7
.LBB8_209:
	s_mov_b32 s3, 0
.LBB8_210:
	s_delay_alu instid0(SALU_CYCLE_1)
	s_and_b32 vcc_lo, exec_lo, s3
	s_cbranch_vccz .LBB8_214
; %bb.211:
	v_cmp_eq_u16_e32 vcc_lo, 11, v8
	s_cbranch_vccz .LBB8_213
; %bb.212:
	global_load_u8 v3, v[1:2], off
	v_mov_b32_e32 v6, 0
	s_mov_b32 s26, 0
	s_mov_b32 s2, -1
	s_waitcnt vmcnt(0)
	v_cmp_ne_u16_e32 vcc_lo, 0, v3
	v_cndmask_b32_e64 v7, 0, 0x3ff00000, vcc_lo
	s_branch .LBB8_214
.LBB8_213:
	s_mov_b32 s26, -1
                                        ; implicit-def: $vgpr6_vgpr7
.LBB8_214:
	s_branch .LBB8_23
.LBB8_215:
	v_cmp_gt_i16_e32 vcc_lo, 5, v8
	s_cbranch_vccnz .LBB8_220
; %bb.216:
	v_cmp_gt_i16_e32 vcc_lo, 8, v8
	s_cbranch_vccnz .LBB8_221
; %bb.217:
	;; [unrolled: 3-line block ×3, first 2 shown]
	v_cmp_lt_i16_e32 vcc_lo, 9, v8
	s_cbranch_vccz .LBB8_223
; %bb.219:
	global_load_b64 v[6:7], v[1:2], off
	s_mov_b32 s2, 0
	s_branch .LBB8_224
.LBB8_220:
                                        ; implicit-def: $vgpr6_vgpr7
	s_branch .LBB8_242
.LBB8_221:
	s_mov_b32 s2, -1
                                        ; implicit-def: $vgpr6_vgpr7
	s_branch .LBB8_230
.LBB8_222:
	s_mov_b32 s2, -1
                                        ; implicit-def: $vgpr6_vgpr7
	s_branch .LBB8_227
.LBB8_223:
	s_mov_b32 s2, -1
                                        ; implicit-def: $vgpr6_vgpr7
.LBB8_224:
	s_delay_alu instid0(SALU_CYCLE_1)
	s_and_not1_b32 vcc_lo, exec_lo, s2
	s_cbranch_vccnz .LBB8_226
; %bb.225:
	global_load_b32 v3, v[1:2], off
	s_waitcnt vmcnt(0)
	v_cvt_f64_f32_e32 v[6:7], v3
.LBB8_226:
	s_mov_b32 s2, 0
.LBB8_227:
	s_delay_alu instid0(SALU_CYCLE_1)
	s_and_not1_b32 vcc_lo, exec_lo, s2
	s_cbranch_vccnz .LBB8_229
; %bb.228:
	global_load_b32 v3, v[1:2], off
	s_waitcnt vmcnt(0)
	v_cvt_f32_f16_e32 v3, v3
	s_delay_alu instid0(VALU_DEP_1)
	v_cvt_f64_f32_e32 v[6:7], v3
.LBB8_229:
	s_mov_b32 s2, 0
.LBB8_230:
	s_delay_alu instid0(SALU_CYCLE_1)
	s_and_not1_b32 vcc_lo, exec_lo, s2
	s_cbranch_vccnz .LBB8_241
; %bb.231:
	v_cmp_gt_i16_e32 vcc_lo, 6, v8
	s_cbranch_vccnz .LBB8_234
; %bb.232:
	v_cmp_lt_i16_e32 vcc_lo, 6, v8
	s_cbranch_vccz .LBB8_235
; %bb.233:
	global_load_b64 v[6:7], v[1:2], off
	s_mov_b32 s2, 0
	s_branch .LBB8_236
.LBB8_234:
	s_mov_b32 s2, -1
                                        ; implicit-def: $vgpr6_vgpr7
	s_branch .LBB8_239
.LBB8_235:
	s_mov_b32 s2, -1
                                        ; implicit-def: $vgpr6_vgpr7
.LBB8_236:
	s_delay_alu instid0(SALU_CYCLE_1)
	s_and_not1_b32 vcc_lo, exec_lo, s2
	s_cbranch_vccnz .LBB8_238
; %bb.237:
	global_load_b32 v3, v[1:2], off
	s_waitcnt vmcnt(0)
	v_cvt_f64_f32_e32 v[6:7], v3
.LBB8_238:
	s_mov_b32 s2, 0
.LBB8_239:
	s_delay_alu instid0(SALU_CYCLE_1)
	s_and_not1_b32 vcc_lo, exec_lo, s2
	s_cbranch_vccnz .LBB8_241
; %bb.240:
	global_load_u16 v3, v[1:2], off
	s_waitcnt vmcnt(0)
	v_cvt_f32_f16_e32 v3, v3
	s_delay_alu instid0(VALU_DEP_1)
	v_cvt_f64_f32_e32 v[6:7], v3
.LBB8_241:
	s_cbranch_execnz .LBB8_261
.LBB8_242:
	v_cmp_gt_i16_e32 vcc_lo, 2, v8
	s_cbranch_vccnz .LBB8_246
; %bb.243:
	v_cmp_gt_i16_e32 vcc_lo, 3, v8
	s_cbranch_vccnz .LBB8_247
; %bb.244:
	v_cmp_lt_i16_e32 vcc_lo, 3, v8
	s_cbranch_vccz .LBB8_248
; %bb.245:
	global_load_b64 v[3:4], v[1:2], off
	s_mov_b32 s2, 0
	s_waitcnt vmcnt(0)
	v_cvt_f64_i32_e32 v[4:5], v4
	v_cvt_f64_u32_e32 v[6:7], v3
	s_delay_alu instid0(VALU_DEP_2) | instskip(NEXT) | instid1(VALU_DEP_1)
	v_ldexp_f64 v[4:5], v[4:5], 32
	v_add_f64 v[6:7], v[4:5], v[6:7]
	s_branch .LBB8_249
.LBB8_246:
	s_mov_b32 s2, -1
                                        ; implicit-def: $vgpr6_vgpr7
	s_branch .LBB8_255
.LBB8_247:
	s_mov_b32 s2, -1
                                        ; implicit-def: $vgpr6_vgpr7
	s_branch .LBB8_252
.LBB8_248:
	s_mov_b32 s2, -1
                                        ; implicit-def: $vgpr6_vgpr7
.LBB8_249:
	s_delay_alu instid0(SALU_CYCLE_1)
	s_and_not1_b32 vcc_lo, exec_lo, s2
	s_cbranch_vccnz .LBB8_251
; %bb.250:
	global_load_b32 v3, v[1:2], off
	s_waitcnt vmcnt(0)
	v_cvt_f64_i32_e32 v[6:7], v3
.LBB8_251:
	s_mov_b32 s2, 0
.LBB8_252:
	s_delay_alu instid0(SALU_CYCLE_1)
	s_and_not1_b32 vcc_lo, exec_lo, s2
	s_cbranch_vccnz .LBB8_254
; %bb.253:
	global_load_i16 v3, v[1:2], off
	s_waitcnt vmcnt(0)
	v_cvt_f64_i32_e32 v[6:7], v3
.LBB8_254:
	s_mov_b32 s2, 0
.LBB8_255:
	s_delay_alu instid0(SALU_CYCLE_1)
	s_and_not1_b32 vcc_lo, exec_lo, s2
	s_cbranch_vccnz .LBB8_261
; %bb.256:
	v_cmp_lt_i16_e32 vcc_lo, 0, v8
	s_mov_b32 s2, 0
	s_cbranch_vccz .LBB8_258
; %bb.257:
	global_load_i8 v3, v[1:2], off
	s_waitcnt vmcnt(0)
	v_cvt_f64_i32_e32 v[6:7], v3
	s_branch .LBB8_259
.LBB8_258:
	s_mov_b32 s2, -1
                                        ; implicit-def: $vgpr6_vgpr7
.LBB8_259:
	s_delay_alu instid0(SALU_CYCLE_1)
	s_and_not1_b32 vcc_lo, exec_lo, s2
	s_cbranch_vccnz .LBB8_261
; %bb.260:
	global_load_u8 v1, v[1:2], off
	s_waitcnt vmcnt(0)
	v_cvt_f64_u32_e32 v[6:7], v1
.LBB8_261:
	s_branch .LBB8_24
.LBB8_262:
	s_mov_b32 s3, 0
.LBB8_263:
	s_mov_b32 s2, 0
                                        ; implicit-def: $vgpr9
.LBB8_264:
	s_and_b32 s39, s3, exec_lo
	s_and_b32 s40, s26, exec_lo
	s_or_not1_b32 s3, s2, exec_lo
.LBB8_265:
	s_or_b32 exec_lo, exec_lo, s41
	s_mov_b32 s26, 0
	s_mov_b32 s2, 0
                                        ; implicit-def: $vgpr0_vgpr1
                                        ; implicit-def: $vgpr2
                                        ; implicit-def: $vgpr6_vgpr7
	s_and_saveexec_b32 s41, s3
	s_cbranch_execz .LBB8_912
; %bb.266:
	s_mov_b32 s2, -1
	s_mov_b32 s42, s40
	s_mov_b32 s43, s39
	s_mov_b32 s44, exec_lo
	v_cmpx_gt_i32_e64 s36, v9
	s_cbranch_execz .LBB8_537
; %bb.267:
	s_and_not1_b32 vcc_lo, exec_lo, s31
	s_cbranch_vccnz .LBB8_272
; %bb.268:
	v_dual_mov_b32 v0, 0 :: v_dual_mov_b32 v1, 0
	s_and_not1_b32 vcc_lo, exec_lo, s38
	s_mov_b32 s42, 0
	s_cbranch_vccnz .LBB8_277
; %bb.269:
	v_mov_b32_e32 v0, 0
	s_add_i32 s45, s37, 1
	s_cmp_eq_u32 s29, 2
	s_mov_b32 s43, 0
	s_cbranch_scc1 .LBB8_273
; %bb.270:
	v_dual_mov_b32 v1, 0 :: v_dual_mov_b32 v0, 0
	v_mov_b32_e32 v2, v9
	s_and_b32 s43, s45, 28
	s_mov_b32 s46, 0
	s_mov_b64 s[2:3], s[24:25]
	s_mov_b64 s[26:27], s[20:21]
.LBB8_271:                              ; =>This Inner Loop Header: Depth=1
	s_clause 0x1
	s_load_b256 s[48:55], s[26:27], 0x4
	s_load_b128 s[64:67], s[26:27], 0x24
	s_load_b256 s[56:63], s[2:3], 0x0
	s_add_u32 s26, s26, 48
	s_addc_u32 s27, s27, 0
	s_add_i32 s46, s46, 4
	s_add_u32 s2, s2, 32
	s_addc_u32 s3, s3, 0
	s_cmp_eq_u32 s43, s46
	s_waitcnt lgkmcnt(0)
	v_mul_hi_u32 v3, s49, v2
	s_delay_alu instid0(VALU_DEP_1) | instskip(NEXT) | instid1(VALU_DEP_1)
	v_add_nc_u32_e32 v3, v2, v3
	v_lshrrev_b32_e32 v3, s50, v3
	s_delay_alu instid0(VALU_DEP_1) | instskip(SKIP_2) | instid1(VALU_DEP_2)
	v_mul_hi_u32 v4, s52, v3
	s_waitcnt vmcnt(0)
	v_mul_lo_u32 v6, v3, s48
	v_add_nc_u32_e32 v4, v3, v4
	s_delay_alu instid0(VALU_DEP_2) | instskip(NEXT) | instid1(VALU_DEP_2)
	v_sub_nc_u32_e32 v2, v2, v6
	v_lshrrev_b32_e32 v4, s53, v4
	s_delay_alu instid0(VALU_DEP_2) | instskip(SKIP_1) | instid1(VALU_DEP_3)
	v_mul_lo_u32 v6, v2, s56
	v_mul_lo_u32 v10, v2, s57
	v_mul_hi_u32 v5, s55, v4
	s_delay_alu instid0(VALU_DEP_1) | instskip(NEXT) | instid1(VALU_DEP_1)
	v_add_nc_u32_e32 v5, v4, v5
	v_lshrrev_b32_e32 v5, s64, v5
	s_delay_alu instid0(VALU_DEP_1) | instskip(SKIP_1) | instid1(VALU_DEP_2)
	v_mul_hi_u32 v7, s66, v5
	v_mul_lo_u32 v11, v5, s54
	v_add_nc_u32_e32 v2, v5, v7
	v_mul_lo_u32 v7, v4, s51
	s_delay_alu instid0(VALU_DEP_3) | instskip(NEXT) | instid1(VALU_DEP_3)
	v_sub_nc_u32_e32 v4, v4, v11
	v_lshrrev_b32_e32 v2, s67, v2
	s_delay_alu instid0(VALU_DEP_2) | instskip(SKIP_2) | instid1(VALU_DEP_4)
	v_mul_lo_u32 v11, v4, s60
	v_mul_lo_u32 v4, v4, s61
	v_sub_nc_u32_e32 v3, v3, v7
	v_mul_lo_u32 v12, v2, s65
	s_delay_alu instid0(VALU_DEP_2) | instskip(SKIP_1) | instid1(VALU_DEP_3)
	v_mul_lo_u32 v7, v3, s58
	v_mul_lo_u32 v3, v3, s59
	v_sub_nc_u32_e32 v5, v5, v12
	s_delay_alu instid0(VALU_DEP_3) | instskip(NEXT) | instid1(VALU_DEP_2)
	v_add3_u32 v0, v6, v0, v7
	v_mul_lo_u32 v12, v5, s62
	v_mul_lo_u32 v5, v5, s63
	v_add3_u32 v1, v10, v1, v3
	s_delay_alu instid0(VALU_DEP_3) | instskip(NEXT) | instid1(VALU_DEP_2)
	v_add3_u32 v0, v11, v0, v12
	v_add3_u32 v1, v4, v1, v5
	s_cbranch_scc0 .LBB8_271
	s_branch .LBB8_274
.LBB8_272:
	s_mov_b32 s42, -1
                                        ; implicit-def: $vgpr0
                                        ; implicit-def: $vgpr1
	s_branch .LBB8_277
.LBB8_273:
	v_dual_mov_b32 v2, v9 :: v_dual_mov_b32 v1, 0
.LBB8_274:
	s_and_b32 s45, s45, 3
	s_delay_alu instid0(SALU_CYCLE_1)
	s_cmp_eq_u32 s45, 0
	s_cbranch_scc1 .LBB8_277
; %bb.275:
	s_lshl_b32 s2, s43, 3
	s_mul_i32 s26, s43, 12
	s_add_u32 s2, s2, s20
	s_addc_u32 s3, s21, 0
	s_add_u32 s2, s2, 0xc4
	s_addc_u32 s3, s3, 0
	;; [unrolled: 2-line block ×3, first 2 shown]
	.p2align	6
.LBB8_276:                              ; =>This Inner Loop Header: Depth=1
	s_clause 0x1
	s_load_b64 s[46:47], s[26:27], 0x4
	s_load_b32 s43, s[26:27], 0xc
	s_load_b64 s[48:49], s[2:3], 0x0
	s_add_u32 s26, s26, 12
	s_addc_u32 s27, s27, 0
	s_add_u32 s2, s2, 8
	s_addc_u32 s3, s3, 0
	s_add_i32 s45, s45, -1
	s_delay_alu instid0(SALU_CYCLE_1) | instskip(SKIP_2) | instid1(VALU_DEP_1)
	s_cmp_lg_u32 s45, 0
	s_waitcnt lgkmcnt(0)
	v_mul_hi_u32 v3, s47, v2
	v_add_nc_u32_e32 v3, v2, v3
	s_waitcnt vmcnt(0)
	s_delay_alu instid0(VALU_DEP_1) | instskip(NEXT) | instid1(VALU_DEP_1)
	v_lshrrev_b32_e32 v6, s43, v3
	v_mul_lo_u32 v3, v6, s46
	s_delay_alu instid0(VALU_DEP_1) | instskip(NEXT) | instid1(VALU_DEP_1)
	v_sub_nc_u32_e32 v2, v2, v3
	v_mad_u64_u32 v[3:4], null, v2, s48, v[0:1]
	v_mad_u64_u32 v[4:5], null, v2, s49, v[1:2]
	v_mov_b32_e32 v2, v6
	s_delay_alu instid0(VALU_DEP_2)
	v_dual_mov_b32 v0, v3 :: v_dual_mov_b32 v1, v4
	s_cbranch_scc1 .LBB8_276
.LBB8_277:
	s_and_not1_b32 vcc_lo, exec_lo, s42
	s_cbranch_vccnz .LBB8_280
; %bb.278:
	v_mul_hi_u32 v0, s17, v9
	s_and_not1_b32 vcc_lo, exec_lo, s35
	s_delay_alu instid0(VALU_DEP_1) | instskip(NEXT) | instid1(VALU_DEP_1)
	v_add_nc_u32_e32 v0, v9, v0
	v_lshrrev_b32_e32 v2, s18, v0
	s_delay_alu instid0(VALU_DEP_1) | instskip(NEXT) | instid1(VALU_DEP_1)
	v_mul_lo_u32 v0, v2, s16
	v_sub_nc_u32_e32 v1, v9, v0
	s_delay_alu instid0(VALU_DEP_1)
	v_mul_lo_u32 v0, v1, s12
	v_mul_lo_u32 v1, v1, s13
	s_cbranch_vccnz .LBB8_280
; %bb.279:
	v_mul_hi_u32 v3, s22, v2
	s_delay_alu instid0(VALU_DEP_1) | instskip(NEXT) | instid1(VALU_DEP_1)
	v_add_nc_u32_e32 v3, v2, v3
	v_lshrrev_b32_e32 v3, s23, v3
	s_delay_alu instid0(VALU_DEP_1) | instskip(NEXT) | instid1(VALU_DEP_1)
	v_mul_lo_u32 v3, v3, s19
	v_sub_nc_u32_e32 v5, v2, v3
	s_delay_alu instid0(VALU_DEP_1) | instskip(NEXT) | instid1(VALU_DEP_1)
	v_mad_u64_u32 v[2:3], null, v5, s14, v[0:1]
	v_mad_u64_u32 v[3:4], null, v5, s15, v[1:2]
	s_delay_alu instid0(VALU_DEP_1)
	v_dual_mov_b32 v0, v2 :: v_dual_mov_b32 v1, v3
.LBB8_280:
	v_cmp_gt_i16_e32 vcc_lo, 11, v8
	s_delay_alu instid0(VALU_DEP_2) | instskip(NEXT) | instid1(VALU_DEP_1)
	v_add_co_u32 v1, s2, s6, v1
	v_add_co_ci_u32_e64 v2, null, s7, 0, s2
	s_mov_b32 s2, 0
	s_cbranch_vccnz .LBB8_287
; %bb.281:
	v_cmp_lt_i16_e32 vcc_lo, 25, v8
	s_cbranch_vccz .LBB8_338
; %bb.282:
	v_cmp_lt_i16_e32 vcc_lo, 28, v8
	s_cbranch_vccz .LBB8_339
; %bb.283:
	v_cmp_lt_i16_e32 vcc_lo, 43, v8
	s_cbranch_vccz .LBB8_341
; %bb.284:
	v_cmp_lt_i16_e32 vcc_lo, 45, v8
	s_cbranch_vccz .LBB8_343
; %bb.285:
	v_cmp_eq_u16_e32 vcc_lo, 46, v8
	s_mov_b32 s3, 0
	s_cbranch_vccz .LBB8_347
; %bb.286:
	global_load_b32 v3, v[1:2], off
	s_mov_b32 s2, -1
	s_mov_b32 s26, 0
	s_waitcnt vmcnt(0)
	v_lshlrev_b32_e32 v3, 16, v3
	s_delay_alu instid0(VALU_DEP_1)
	v_cvt_f64_f32_e32 v[6:7], v3
	s_branch .LBB8_349
.LBB8_287:
	s_mov_b32 s26, s40
                                        ; implicit-def: $vgpr6_vgpr7
	s_cbranch_execnz .LBB8_486
.LBB8_288:
	s_and_not1_b32 vcc_lo, exec_lo, s2
	s_cbranch_vccnz .LBB8_534
.LBB8_289:
	s_waitcnt vmcnt(0)
	s_delay_alu instid0(VALU_DEP_1) | instskip(SKIP_1) | instid1(VALU_DEP_1)
	v_cvt_f32_f64_e32 v1, v[6:7]
	s_mov_b32 s2, exec_lo
	v_cmpx_nlg_f32_e64 0x7f800000, |v1|
	s_cbranch_execz .LBB8_291
; %bb.290:
	v_dual_mov_b32 v1, 0 :: v_dual_mov_b32 v2, 1.0
	global_store_b32 v1, v2, s[8:9]
.LBB8_291:
	s_or_b32 exec_lo, exec_lo, s2
	v_mov_b32_e32 v1, 0
	v_and_b32_e64 v10, 0xff, s34
	s_mov_b32 s3, 0
	global_load_b32 v4, v1, s[10:11]
	v_cmp_gt_i16_e32 vcc_lo, 11, v10
	s_and_b32 vcc_lo, exec_lo, vcc_lo
	s_waitcnt vmcnt(0)
	v_cvt_f64_f32_e32 v[1:2], v4
	v_cmp_eq_f32_e64 s2, 1.0, v4
	v_add_co_u32 v4, s27, s4, v0
	s_delay_alu instid0(VALU_DEP_1) | instskip(SKIP_1) | instid1(VALU_DEP_4)
	v_add_co_ci_u32_e64 v5, null, s5, 0, s27
	s_mov_b32 s27, -1
	v_mul_f64 v[2:3], v[6:7], v[1:2]
	s_delay_alu instid0(VALU_DEP_1) | instskip(NEXT) | instid1(VALU_DEP_2)
	v_cndmask_b32_e64 v1, v3, v7, s2
	v_cndmask_b32_e64 v0, v2, v6, s2
	s_mov_b32 s2, s39
	s_cbranch_vccnz .LBB8_298
; %bb.292:
	v_cmp_lt_i16_e32 vcc_lo, 25, v10
	s_cbranch_vccz .LBB8_340
; %bb.293:
	v_cmp_lt_i16_e32 vcc_lo, 28, v10
	s_cbranch_vccz .LBB8_342
	;; [unrolled: 3-line block ×4, first 2 shown]
; %bb.296:
	v_cmp_eq_u16_e32 vcc_lo, 46, v10
	s_mov_b32 s27, 0
	s_mov_b32 s2, -1
	s_cbranch_vccz .LBB8_353
; %bb.297:
	v_cvt_f32_f64_e32 v2, v[0:1]
	s_mov_b32 s3, -1
	s_mov_b32 s2, 0
	s_delay_alu instid0(VALU_DEP_1) | instskip(SKIP_1) | instid1(VALU_DEP_2)
	v_bfe_u32 v3, v2, 16, 1
	v_cmp_o_f32_e32 vcc_lo, v2, v2
	v_add3_u32 v3, v2, v3, 0x7fff
	s_delay_alu instid0(VALU_DEP_1) | instskip(NEXT) | instid1(VALU_DEP_1)
	v_lshrrev_b32_e32 v3, 16, v3
	v_cndmask_b32_e32 v2, 0x7fc0, v3, vcc_lo
	global_store_b32 v[4:5], v2, off
	s_branch .LBB8_353
.LBB8_298:
	s_and_b32 vcc_lo, exec_lo, s27
	s_cbranch_vccz .LBB8_422
; %bb.299:
	v_cmp_gt_i16_e32 vcc_lo, 5, v10
	s_mov_b32 s3, -1
	s_cbranch_vccnz .LBB8_320
; %bb.300:
	v_cmp_gt_i16_e32 vcc_lo, 8, v10
	s_cbranch_vccnz .LBB8_310
; %bb.301:
	v_cmp_gt_i16_e32 vcc_lo, 9, v10
	s_cbranch_vccnz .LBB8_307
; %bb.302:
	v_cmp_lt_i16_e32 vcc_lo, 9, v10
	s_cbranch_vccz .LBB8_304
; %bb.303:
	v_mov_b32_e32 v2, 0
	s_mov_b32 s3, 0
	s_delay_alu instid0(VALU_DEP_1)
	v_mov_b32_e32 v3, v2
	global_store_b128 v[4:5], v[0:3], off
.LBB8_304:
	s_and_not1_b32 vcc_lo, exec_lo, s3
	s_cbranch_vccnz .LBB8_306
; %bb.305:
	v_cvt_f32_f64_e32 v2, v[0:1]
	v_mov_b32_e32 v3, 0
	global_store_b64 v[4:5], v[2:3], off
.LBB8_306:
	s_mov_b32 s3, 0
.LBB8_307:
	s_delay_alu instid0(SALU_CYCLE_1)
	s_and_not1_b32 vcc_lo, exec_lo, s3
	s_cbranch_vccnz .LBB8_309
; %bb.308:
	v_cvt_f32_f64_e32 v2, v[0:1]
	s_delay_alu instid0(VALU_DEP_1) | instskip(NEXT) | instid1(VALU_DEP_1)
	v_cvt_f16_f32_e32 v2, v2
	v_and_b32_e32 v2, 0xffff, v2
	global_store_b32 v[4:5], v2, off
.LBB8_309:
	s_mov_b32 s3, 0
.LBB8_310:
	s_delay_alu instid0(SALU_CYCLE_1)
	s_and_not1_b32 vcc_lo, exec_lo, s3
	s_cbranch_vccnz .LBB8_319
; %bb.311:
	v_cmp_gt_i16_e32 vcc_lo, 6, v10
	s_mov_b32 s3, -1
	s_cbranch_vccnz .LBB8_317
; %bb.312:
	v_cmp_lt_i16_e32 vcc_lo, 6, v10
	s_cbranch_vccz .LBB8_314
; %bb.313:
	s_mov_b32 s3, 0
	global_store_b64 v[4:5], v[0:1], off
.LBB8_314:
	s_and_not1_b32 vcc_lo, exec_lo, s3
	s_cbranch_vccnz .LBB8_316
; %bb.315:
	v_cvt_f32_f64_e32 v2, v[0:1]
	global_store_b32 v[4:5], v2, off
.LBB8_316:
	s_mov_b32 s3, 0
.LBB8_317:
	s_delay_alu instid0(SALU_CYCLE_1)
	s_and_not1_b32 vcc_lo, exec_lo, s3
	s_cbranch_vccnz .LBB8_319
; %bb.318:
	v_cvt_f32_f64_e32 v2, v[0:1]
	s_delay_alu instid0(VALU_DEP_1)
	v_cvt_f16_f32_e32 v2, v2
	global_store_b16 v[4:5], v2, off
.LBB8_319:
	s_mov_b32 s3, 0
.LBB8_320:
	s_delay_alu instid0(SALU_CYCLE_1)
	s_and_not1_b32 vcc_lo, exec_lo, s3
	s_cbranch_vccnz .LBB8_336
; %bb.321:
	v_cmp_gt_i16_e32 vcc_lo, 2, v10
	s_mov_b32 s3, -1
	s_cbranch_vccnz .LBB8_331
; %bb.322:
	v_cmp_gt_i16_e32 vcc_lo, 3, v10
	s_cbranch_vccnz .LBB8_328
; %bb.323:
	v_cmp_lt_i16_e32 vcc_lo, 3, v10
	s_cbranch_vccz .LBB8_325
; %bb.324:
	v_trunc_f64_e32 v[2:3], v[0:1]
	s_mov_b32 s3, 0
	s_delay_alu instid0(VALU_DEP_1) | instskip(NEXT) | instid1(VALU_DEP_1)
	v_ldexp_f64 v[6:7], v[2:3], 0xffffffe0
	v_floor_f64_e32 v[6:7], v[6:7]
	s_delay_alu instid0(VALU_DEP_1) | instskip(SKIP_1) | instid1(VALU_DEP_2)
	v_fma_f64 v[2:3], 0xc1f00000, v[6:7], v[2:3]
	v_cvt_i32_f64_e32 v7, v[6:7]
	v_cvt_u32_f64_e32 v6, v[2:3]
	global_store_b64 v[4:5], v[6:7], off
.LBB8_325:
	s_and_not1_b32 vcc_lo, exec_lo, s3
	s_cbranch_vccnz .LBB8_327
; %bb.326:
	v_cvt_i32_f64_e32 v2, v[0:1]
	global_store_b32 v[4:5], v2, off
.LBB8_327:
	s_mov_b32 s3, 0
.LBB8_328:
	s_delay_alu instid0(SALU_CYCLE_1)
	s_and_not1_b32 vcc_lo, exec_lo, s3
	s_cbranch_vccnz .LBB8_330
; %bb.329:
	v_cvt_i32_f64_e32 v2, v[0:1]
	global_store_b16 v[4:5], v2, off
.LBB8_330:
	s_mov_b32 s3, 0
.LBB8_331:
	s_delay_alu instid0(SALU_CYCLE_1)
	s_and_not1_b32 vcc_lo, exec_lo, s3
	s_cbranch_vccnz .LBB8_336
; %bb.332:
	v_cmp_lt_i16_e32 vcc_lo, 0, v10
	s_mov_b32 s3, -1
	s_cbranch_vccz .LBB8_334
; %bb.333:
	v_cvt_i32_f64_e32 v2, v[0:1]
	s_mov_b32 s3, 0
	global_store_b8 v[4:5], v2, off
.LBB8_334:
	s_and_not1_b32 vcc_lo, exec_lo, s3
	s_cbranch_vccnz .LBB8_336
; %bb.335:
	v_trunc_f64_e32 v[0:1], v[0:1]
	s_delay_alu instid0(VALU_DEP_1) | instskip(NEXT) | instid1(VALU_DEP_1)
	v_ldexp_f64 v[2:3], v[0:1], 0xffffffe0
	v_floor_f64_e32 v[2:3], v[2:3]
	s_delay_alu instid0(VALU_DEP_1) | instskip(NEXT) | instid1(VALU_DEP_1)
	v_fma_f64 v[0:1], 0xc1f00000, v[2:3], v[0:1]
	v_cvt_u32_f64_e32 v0, v[0:1]
	global_store_b8 v[4:5], v0, off
.LBB8_336:
	s_branch .LBB8_423
.LBB8_337:
	s_mov_b32 s3, 0
	s_branch .LBB8_535
.LBB8_338:
	s_mov_b32 s3, -1
	s_mov_b32 s26, s40
                                        ; implicit-def: $vgpr6_vgpr7
	s_branch .LBB8_452
.LBB8_339:
	s_mov_b32 s3, -1
	s_mov_b32 s26, s40
                                        ; implicit-def: $vgpr6_vgpr7
	s_branch .LBB8_431
.LBB8_340:
	s_mov_b32 s2, s39
	s_branch .LBB8_380
.LBB8_341:
	s_mov_b32 s3, -1
	s_mov_b32 s26, s40
                                        ; implicit-def: $vgpr6_vgpr7
	s_branch .LBB8_426
.LBB8_342:
	s_mov_b32 s2, s39
	s_branch .LBB8_363
.LBB8_343:
	s_mov_b32 s3, -1
	s_mov_b32 s26, s40
	s_branch .LBB8_348
.LBB8_344:
	s_mov_b32 s2, s39
	s_branch .LBB8_359
.LBB8_345:
	s_or_saveexec_b32 s39, s39
                                        ; implicit-def: $sgpr40
	s_delay_alu instid0(SALU_CYCLE_1)
	s_xor_b32 exec_lo, exec_lo, s39
	s_cbranch_execz .LBB8_67
.LBB8_346:
	v_add_f32_e64 v3, 0x42800000, |v2|
	s_and_not1_b32 s27, s27, exec_lo
	s_mov_b32 s40, 0
	s_delay_alu instid0(VALU_DEP_1) | instskip(NEXT) | instid1(VALU_DEP_1)
	v_and_b32_e32 v3, 0xff, v3
	v_cmp_ne_u32_e32 vcc_lo, 0, v3
	s_and_b32 s43, vcc_lo, exec_lo
	s_delay_alu instid0(SALU_CYCLE_1)
	s_or_b32 s27, s27, s43
	s_or_b32 exec_lo, exec_lo, s39
	v_mov_b32_e32 v6, s40
	s_and_saveexec_b32 s39, s27
	s_cbranch_execnz .LBB8_68
	s_branch .LBB8_69
.LBB8_347:
	s_mov_b32 s26, -1
.LBB8_348:
                                        ; implicit-def: $vgpr6_vgpr7
.LBB8_349:
	s_and_b32 vcc_lo, exec_lo, s3
	s_cbranch_vccz .LBB8_425
; %bb.350:
	v_cmp_eq_u16_e32 vcc_lo, 44, v8
	s_cbranch_vccz .LBB8_424
; %bb.351:
	global_load_u8 v5, v[1:2], off
	s_mov_b32 s26, 0
	s_mov_b32 s2, -1
	s_waitcnt vmcnt(0)
	v_cmp_ne_u32_e32 vcc_lo, 0xff, v5
	v_lshlrev_b32_e32 v3, 23, v5
	s_delay_alu instid0(VALU_DEP_1) | instskip(NEXT) | instid1(VALU_DEP_1)
	v_cvt_f64_f32_e32 v[3:4], v3
	v_cndmask_b32_e32 v4, 0x7ff80000, v4, vcc_lo
	s_delay_alu instid0(VALU_DEP_2) | instskip(SKIP_1) | instid1(VALU_DEP_3)
	v_cndmask_b32_e32 v3, 0x20000000, v3, vcc_lo
	v_cmp_ne_u32_e32 vcc_lo, 0, v5
	v_cndmask_b32_e32 v7, 0x38000000, v4, vcc_lo
	s_delay_alu instid0(VALU_DEP_3)
	v_cndmask_b32_e32 v6, 0, v3, vcc_lo
	s_branch .LBB8_425
.LBB8_352:
	s_mov_b32 s2, s39
.LBB8_353:
	s_and_b32 vcc_lo, exec_lo, s27
	s_cbranch_vccz .LBB8_358
; %bb.354:
	v_cmp_eq_u16_e32 vcc_lo, 44, v10
	s_mov_b32 s2, -1
	s_cbranch_vccz .LBB8_358
; %bb.355:
	v_cvt_f32_f64_e32 v2, v[0:1]
	v_mov_b32_e32 v3, 0xff
	s_mov_b32 s3, exec_lo
	s_delay_alu instid0(VALU_DEP_2) | instskip(NEXT) | instid1(VALU_DEP_1)
	v_bfe_u32 v6, v2, 23, 8
	v_cmpx_ne_u32_e32 0xff, v6
; %bb.356:
	v_and_b32_e32 v3, 0x400000, v2
	v_and_or_b32 v6, 0x3fffff, v2, v6
	v_lshrrev_b32_e32 v2, 23, v2
	s_delay_alu instid0(VALU_DEP_3) | instskip(NEXT) | instid1(VALU_DEP_3)
	v_cmp_ne_u32_e32 vcc_lo, 0, v3
	v_cmp_ne_u32_e64 s2, 0, v6
	s_delay_alu instid0(VALU_DEP_1) | instskip(NEXT) | instid1(SALU_CYCLE_1)
	s_and_b32 s2, vcc_lo, s2
	v_cndmask_b32_e64 v3, 0, 1, s2
	s_delay_alu instid0(VALU_DEP_1)
	v_add_nc_u32_e32 v3, v2, v3
; %bb.357:
	s_or_b32 exec_lo, exec_lo, s3
	s_mov_b32 s3, -1
	s_mov_b32 s2, 0
	global_store_b8 v[4:5], v3, off
.LBB8_358:
	s_mov_b32 s27, 0
.LBB8_359:
	s_delay_alu instid0(SALU_CYCLE_1)
	s_and_b32 vcc_lo, exec_lo, s27
	s_cbranch_vccz .LBB8_362
; %bb.360:
	v_cmp_eq_u16_e32 vcc_lo, 29, v10
	s_mov_b32 s2, -1
	s_cbranch_vccz .LBB8_362
; %bb.361:
	v_trunc_f64_e32 v[2:3], v[0:1]
	s_mov_b32 s3, -1
	s_mov_b32 s2, 0
	s_mov_b32 s27, 0
	s_delay_alu instid0(VALU_DEP_1) | instskip(NEXT) | instid1(VALU_DEP_1)
	v_ldexp_f64 v[6:7], v[2:3], 0xffffffe0
	v_floor_f64_e32 v[6:7], v[6:7]
	s_delay_alu instid0(VALU_DEP_1) | instskip(SKIP_1) | instid1(VALU_DEP_2)
	v_fma_f64 v[2:3], 0xc1f00000, v[6:7], v[2:3]
	v_cvt_u32_f64_e32 v7, v[6:7]
	v_cvt_u32_f64_e32 v6, v[2:3]
	global_store_b64 v[4:5], v[6:7], off
	s_branch .LBB8_363
.LBB8_362:
	s_mov_b32 s27, 0
.LBB8_363:
	s_delay_alu instid0(SALU_CYCLE_1)
	s_and_b32 vcc_lo, exec_lo, s27
	s_cbranch_vccz .LBB8_379
; %bb.364:
	v_cmp_gt_i16_e32 vcc_lo, 27, v10
	s_mov_b32 s3, -1
	s_cbranch_vccnz .LBB8_370
; %bb.365:
	v_cmp_lt_i16_e32 vcc_lo, 27, v10
	s_cbranch_vccz .LBB8_367
; %bb.366:
	v_cvt_u32_f64_e32 v2, v[0:1]
	s_mov_b32 s3, 0
	global_store_b32 v[4:5], v2, off
.LBB8_367:
	s_and_not1_b32 vcc_lo, exec_lo, s3
	s_cbranch_vccnz .LBB8_369
; %bb.368:
	v_cvt_u32_f64_e32 v2, v[0:1]
	global_store_b16 v[4:5], v2, off
.LBB8_369:
	s_mov_b32 s3, 0
.LBB8_370:
	s_delay_alu instid0(SALU_CYCLE_1)
	s_and_not1_b32 vcc_lo, exec_lo, s3
	s_cbranch_vccnz .LBB8_378
; %bb.371:
	v_cvt_f32_f64_e32 v2, v[0:1]
	v_mov_b32_e32 v6, 0x80
	s_mov_b32 s3, exec_lo
	s_delay_alu instid0(VALU_DEP_2) | instskip(NEXT) | instid1(VALU_DEP_1)
	v_and_b32_e32 v3, 0x7fffffff, v2
	v_cmpx_gt_u32_e32 0x43800000, v3
	s_cbranch_execz .LBB8_377
; %bb.372:
	v_cmp_lt_u32_e32 vcc_lo, 0x3bffffff, v3
	s_mov_b32 s27, 0
                                        ; implicit-def: $vgpr3
	s_and_saveexec_b32 s42, vcc_lo
	s_delay_alu instid0(SALU_CYCLE_1)
	s_xor_b32 s42, exec_lo, s42
	s_cbranch_execz .LBB8_563
; %bb.373:
	v_bfe_u32 v3, v2, 20, 1
	s_mov_b32 s27, exec_lo
	s_delay_alu instid0(VALU_DEP_1) | instskip(NEXT) | instid1(VALU_DEP_1)
	v_add3_u32 v3, v2, v3, 0x487ffff
	v_lshrrev_b32_e32 v3, 20, v3
	s_or_saveexec_b32 s42, s42
                                        ; implicit-def: $sgpr43
	s_delay_alu instid0(SALU_CYCLE_1)
	s_xor_b32 exec_lo, exec_lo, s42
	s_cbranch_execnz .LBB8_564
.LBB8_374:
	s_or_b32 exec_lo, exec_lo, s42
	v_mov_b32_e32 v6, s43
	s_and_saveexec_b32 s42, s27
.LBB8_375:
	v_lshrrev_b32_e32 v2, 24, v2
	s_delay_alu instid0(VALU_DEP_1)
	v_and_or_b32 v6, 0x80, v2, v3
.LBB8_376:
	s_or_b32 exec_lo, exec_lo, s42
.LBB8_377:
	s_delay_alu instid0(SALU_CYCLE_1)
	s_or_b32 exec_lo, exec_lo, s3
	global_store_b8 v[4:5], v6, off
.LBB8_378:
	s_mov_b32 s3, -1
.LBB8_379:
	s_mov_b32 s27, 0
.LBB8_380:
	s_delay_alu instid0(SALU_CYCLE_1)
	s_and_b32 vcc_lo, exec_lo, s27
	s_cbranch_vccz .LBB8_421
; %bb.381:
	v_cmp_lt_i16_e32 vcc_lo, 22, v10
	s_mov_b32 s27, -1
	s_cbranch_vccz .LBB8_413
; %bb.382:
	v_cmp_gt_i16_e32 vcc_lo, 24, v10
	s_mov_b32 s3, -1
	s_cbranch_vccnz .LBB8_402
; %bb.383:
	v_cmp_lt_i16_e32 vcc_lo, 24, v10
	s_cbranch_vccz .LBB8_391
; %bb.384:
	v_cvt_f32_f64_e32 v2, v[0:1]
	v_mov_b32_e32 v6, 0x80
	s_mov_b32 s3, exec_lo
	s_delay_alu instid0(VALU_DEP_2) | instskip(NEXT) | instid1(VALU_DEP_1)
	v_and_b32_e32 v3, 0x7fffffff, v2
	v_cmpx_gt_u32_e32 0x47800000, v3
	s_cbranch_execz .LBB8_390
; %bb.385:
	v_cmp_lt_u32_e32 vcc_lo, 0x37ffffff, v3
	s_mov_b32 s27, 0
                                        ; implicit-def: $vgpr3
	s_and_saveexec_b32 s42, vcc_lo
	s_delay_alu instid0(SALU_CYCLE_1)
	s_xor_b32 s42, exec_lo, s42
	s_cbranch_execz .LBB8_566
; %bb.386:
	v_bfe_u32 v3, v2, 21, 1
	s_mov_b32 s27, exec_lo
	s_delay_alu instid0(VALU_DEP_1) | instskip(NEXT) | instid1(VALU_DEP_1)
	v_add3_u32 v3, v2, v3, 0x88fffff
	v_lshrrev_b32_e32 v3, 21, v3
	s_or_saveexec_b32 s42, s42
                                        ; implicit-def: $sgpr43
	s_delay_alu instid0(SALU_CYCLE_1)
	s_xor_b32 exec_lo, exec_lo, s42
	s_cbranch_execnz .LBB8_567
.LBB8_387:
	s_or_b32 exec_lo, exec_lo, s42
	v_mov_b32_e32 v6, s43
	s_and_saveexec_b32 s42, s27
.LBB8_388:
	v_lshrrev_b32_e32 v2, 24, v2
	s_delay_alu instid0(VALU_DEP_1)
	v_and_or_b32 v6, 0x80, v2, v3
.LBB8_389:
	s_or_b32 exec_lo, exec_lo, s42
.LBB8_390:
	s_delay_alu instid0(SALU_CYCLE_1)
	s_or_b32 exec_lo, exec_lo, s3
	s_mov_b32 s3, 0
	global_store_b8 v[4:5], v6, off
.LBB8_391:
	s_and_b32 vcc_lo, exec_lo, s3
	s_cbranch_vccz .LBB8_401
; %bb.392:
	v_cvt_f32_f64_e32 v2, v[0:1]
	s_mov_b32 s3, exec_lo
                                        ; implicit-def: $vgpr3
	s_delay_alu instid0(VALU_DEP_1) | instskip(NEXT) | instid1(VALU_DEP_1)
	v_and_b32_e32 v6, 0x7fffffff, v2
	v_cmpx_gt_u32_e32 0x43f00000, v6
	s_xor_b32 s3, exec_lo, s3
	s_cbranch_execz .LBB8_398
; %bb.393:
	s_mov_b32 s27, exec_lo
                                        ; implicit-def: $vgpr3
	v_cmpx_lt_u32_e32 0x3c7fffff, v6
	s_xor_b32 s27, exec_lo, s27
; %bb.394:
	v_bfe_u32 v3, v2, 20, 1
	s_delay_alu instid0(VALU_DEP_1) | instskip(NEXT) | instid1(VALU_DEP_1)
	v_add3_u32 v3, v2, v3, 0x407ffff
	v_and_b32_e32 v6, 0xff00000, v3
	v_lshrrev_b32_e32 v3, 20, v3
	s_delay_alu instid0(VALU_DEP_2) | instskip(NEXT) | instid1(VALU_DEP_2)
	v_cmp_ne_u32_e32 vcc_lo, 0x7f00000, v6
	v_cndmask_b32_e32 v3, 0x7e, v3, vcc_lo
; %bb.395:
	s_and_not1_saveexec_b32 s27, s27
; %bb.396:
	v_add_f32_e64 v3, 0x46800000, |v2|
; %bb.397:
	s_or_b32 exec_lo, exec_lo, s27
                                        ; implicit-def: $vgpr6
.LBB8_398:
	s_and_not1_saveexec_b32 s3, s3
; %bb.399:
	v_mov_b32_e32 v3, 0x7f
	v_cmp_lt_u32_e32 vcc_lo, 0x7f800000, v6
	s_delay_alu instid0(VALU_DEP_2)
	v_cndmask_b32_e32 v3, 0x7e, v3, vcc_lo
; %bb.400:
	s_or_b32 exec_lo, exec_lo, s3
	v_lshrrev_b32_e32 v2, 24, v2
	s_delay_alu instid0(VALU_DEP_1)
	v_and_or_b32 v2, 0x80, v2, v3
	global_store_b8 v[4:5], v2, off
.LBB8_401:
	s_mov_b32 s3, 0
.LBB8_402:
	s_delay_alu instid0(SALU_CYCLE_1)
	s_and_not1_b32 vcc_lo, exec_lo, s3
	s_cbranch_vccnz .LBB8_412
; %bb.403:
	v_cvt_f32_f64_e32 v2, v[0:1]
	s_mov_b32 s3, exec_lo
                                        ; implicit-def: $vgpr3
	s_delay_alu instid0(VALU_DEP_1) | instskip(NEXT) | instid1(VALU_DEP_1)
	v_and_b32_e32 v6, 0x7fffffff, v2
	v_cmpx_gt_u32_e32 0x47800000, v6
	s_xor_b32 s3, exec_lo, s3
	s_cbranch_execz .LBB8_409
; %bb.404:
	s_mov_b32 s27, exec_lo
                                        ; implicit-def: $vgpr3
	v_cmpx_lt_u32_e32 0x387fffff, v6
	s_xor_b32 s27, exec_lo, s27
; %bb.405:
	v_bfe_u32 v3, v2, 21, 1
	s_delay_alu instid0(VALU_DEP_1) | instskip(NEXT) | instid1(VALU_DEP_1)
	v_add3_u32 v3, v2, v3, 0x80fffff
	v_lshrrev_b32_e32 v3, 21, v3
; %bb.406:
	s_and_not1_saveexec_b32 s27, s27
; %bb.407:
	v_add_f32_e64 v3, 0x43000000, |v2|
; %bb.408:
	s_or_b32 exec_lo, exec_lo, s27
                                        ; implicit-def: $vgpr6
.LBB8_409:
	s_and_not1_saveexec_b32 s3, s3
; %bb.410:
	v_mov_b32_e32 v3, 0x7f
	v_cmp_lt_u32_e32 vcc_lo, 0x7f800000, v6
	s_delay_alu instid0(VALU_DEP_2)
	v_cndmask_b32_e32 v3, 0x7c, v3, vcc_lo
; %bb.411:
	s_or_b32 exec_lo, exec_lo, s3
	v_lshrrev_b32_e32 v2, 24, v2
	s_delay_alu instid0(VALU_DEP_1)
	v_and_or_b32 v2, 0x80, v2, v3
	global_store_b8 v[4:5], v2, off
.LBB8_412:
	s_mov_b32 s27, 0
	s_mov_b32 s3, -1
.LBB8_413:
	s_and_not1_b32 vcc_lo, exec_lo, s27
	s_cbranch_vccnz .LBB8_421
; %bb.414:
	v_cmp_lt_i16_e32 vcc_lo, 14, v10
	s_mov_b32 s27, -1
	s_cbranch_vccz .LBB8_418
; %bb.415:
	v_cmp_eq_u16_e32 vcc_lo, 15, v10
	s_mov_b32 s2, -1
	s_cbranch_vccz .LBB8_417
; %bb.416:
	v_cvt_f32_f64_e32 v2, v[0:1]
	s_mov_b32 s3, -1
	s_mov_b32 s2, 0
	s_delay_alu instid0(VALU_DEP_1) | instskip(SKIP_1) | instid1(VALU_DEP_2)
	v_bfe_u32 v3, v2, 16, 1
	v_cmp_o_f32_e32 vcc_lo, v2, v2
	v_add3_u32 v3, v2, v3, 0x7fff
	s_delay_alu instid0(VALU_DEP_1) | instskip(NEXT) | instid1(VALU_DEP_1)
	v_lshrrev_b32_e32 v3, 16, v3
	v_cndmask_b32_e32 v2, 0x7fc0, v3, vcc_lo
	global_store_b16 v[4:5], v2, off
.LBB8_417:
	s_mov_b32 s27, 0
.LBB8_418:
	s_delay_alu instid0(SALU_CYCLE_1)
	s_and_b32 vcc_lo, exec_lo, s27
	s_cbranch_vccz .LBB8_421
; %bb.419:
	v_cmp_eq_u16_e32 vcc_lo, 11, v10
	s_mov_b32 s2, -1
	s_cbranch_vccz .LBB8_421
; %bb.420:
	v_cmp_neq_f64_e32 vcc_lo, 0, v[0:1]
	s_mov_b32 s3, -1
	s_mov_b32 s2, 0
	v_cndmask_b32_e64 v2, 0, 1, vcc_lo
	global_store_b8 v[4:5], v2, off
.LBB8_421:
.LBB8_422:
	s_and_not1_b32 vcc_lo, exec_lo, s3
	s_cbranch_vccnz .LBB8_337
.LBB8_423:
	v_add_nc_u32_e32 v9, 0x80, v9
	s_mov_b32 s3, -1
	s_branch .LBB8_536
.LBB8_424:
	s_mov_b32 s26, -1
                                        ; implicit-def: $vgpr6_vgpr7
.LBB8_425:
	s_mov_b32 s3, 0
.LBB8_426:
	s_delay_alu instid0(SALU_CYCLE_1)
	s_and_b32 vcc_lo, exec_lo, s3
	s_cbranch_vccz .LBB8_430
; %bb.427:
	v_cmp_eq_u16_e32 vcc_lo, 29, v8
	s_cbranch_vccz .LBB8_429
; %bb.428:
	global_load_b64 v[3:4], v[1:2], off
	s_mov_b32 s2, -1
	s_mov_b32 s26, 0
	s_mov_b32 s3, 0
	s_waitcnt vmcnt(0)
	v_cvt_f64_u32_e32 v[4:5], v4
	v_cvt_f64_u32_e32 v[6:7], v3
	s_delay_alu instid0(VALU_DEP_2) | instskip(NEXT) | instid1(VALU_DEP_1)
	v_ldexp_f64 v[4:5], v[4:5], 32
	v_add_f64 v[6:7], v[4:5], v[6:7]
	s_branch .LBB8_431
.LBB8_429:
	s_mov_b32 s26, -1
                                        ; implicit-def: $vgpr6_vgpr7
.LBB8_430:
	s_mov_b32 s3, 0
.LBB8_431:
	s_delay_alu instid0(SALU_CYCLE_1)
	s_and_b32 vcc_lo, exec_lo, s3
	s_cbranch_vccz .LBB8_451
; %bb.432:
	v_cmp_gt_i16_e32 vcc_lo, 27, v8
	s_cbranch_vccnz .LBB8_435
; %bb.433:
	v_cmp_lt_i16_e32 vcc_lo, 27, v8
	s_cbranch_vccz .LBB8_436
; %bb.434:
	global_load_b32 v3, v[1:2], off
	s_mov_b32 s2, 0
	s_waitcnt vmcnt(0)
	v_cvt_f64_u32_e32 v[6:7], v3
	s_branch .LBB8_437
.LBB8_435:
	s_mov_b32 s2, -1
                                        ; implicit-def: $vgpr6_vgpr7
	s_branch .LBB8_440
.LBB8_436:
	s_mov_b32 s2, -1
                                        ; implicit-def: $vgpr6_vgpr7
.LBB8_437:
	s_delay_alu instid0(SALU_CYCLE_1)
	s_and_not1_b32 vcc_lo, exec_lo, s2
	s_cbranch_vccnz .LBB8_439
; %bb.438:
	global_load_u16 v3, v[1:2], off
	s_waitcnt vmcnt(0)
	v_cvt_f64_u32_e32 v[6:7], v3
.LBB8_439:
	s_mov_b32 s2, 0
.LBB8_440:
	s_delay_alu instid0(SALU_CYCLE_1)
	s_and_not1_b32 vcc_lo, exec_lo, s2
	s_cbranch_vccnz .LBB8_450
; %bb.441:
	global_load_u8 v3, v[1:2], off
	s_mov_b32 s27, 0
	s_mov_b32 s42, exec_lo
                                        ; implicit-def: $sgpr2_sgpr3
	s_waitcnt vmcnt(0)
	v_cmpx_lt_i16_e32 0x7f, v3
	s_xor_b32 s42, exec_lo, s42
	s_cbranch_execz .LBB8_445
; %bb.442:
	s_mov_b32 s43, -1
	s_mov_b32 s27, exec_lo
                                        ; implicit-def: $sgpr2_sgpr3
	v_cmpx_eq_u16_e32 0x80, v3
; %bb.443:
	s_mov_b32 s3, 0x7ff80000
	s_brev_b32 s2, 4
	s_xor_b32 s43, exec_lo, -1
; %bb.444:
	s_or_b32 exec_lo, exec_lo, s27
	s_delay_alu instid0(SALU_CYCLE_1)
	s_and_b32 s27, s43, exec_lo
.LBB8_445:
	s_or_saveexec_b32 s42, s42
	v_dual_mov_b32 v7, s3 :: v_dual_mov_b32 v6, s2
	s_xor_b32 exec_lo, exec_lo, s42
; %bb.446:
	v_cmp_ne_u16_e32 vcc_lo, 0, v3
	v_mov_b32_e32 v6, 0
	v_mov_b32_e32 v7, 0
	s_and_not1_b32 s2, s27, exec_lo
	s_and_b32 s3, vcc_lo, exec_lo
	s_delay_alu instid0(SALU_CYCLE_1)
	s_or_b32 s27, s2, s3
; %bb.447:
	s_or_b32 exec_lo, exec_lo, s42
	s_and_saveexec_b32 s2, s27
	s_cbranch_execz .LBB8_449
; %bb.448:
	v_and_b32_e32 v4, 0xffff, v3
	v_lshlrev_b32_e32 v3, 24, v3
	s_delay_alu instid0(VALU_DEP_2) | instskip(NEXT) | instid1(VALU_DEP_2)
	v_and_b32_e32 v5, 7, v4
	v_and_b32_e32 v3, 0x80000000, v3
	s_delay_alu instid0(VALU_DEP_2) | instskip(NEXT) | instid1(VALU_DEP_1)
	v_clz_i32_u32_e32 v6, v5
	v_min_u32_e32 v6, 32, v6
	s_delay_alu instid0(VALU_DEP_1) | instskip(SKIP_1) | instid1(VALU_DEP_2)
	v_subrev_nc_u32_e32 v7, 28, v6
	v_sub_nc_u32_e32 v6, 29, v6
	v_lshlrev_b32_e32 v7, v7, v4
	v_bfe_u32 v4, v4, 3, 4
	s_delay_alu instid0(VALU_DEP_2) | instskip(NEXT) | instid1(VALU_DEP_2)
	v_and_b32_e32 v7, 7, v7
	v_cmp_eq_u32_e32 vcc_lo, 0, v4
	s_delay_alu instid0(VALU_DEP_2) | instskip(NEXT) | instid1(VALU_DEP_1)
	v_dual_cndmask_b32 v4, v4, v6 :: v_dual_cndmask_b32 v5, v5, v7
	v_lshl_add_u32 v4, v4, 23, 0x3b800000
	s_delay_alu instid0(VALU_DEP_2) | instskip(NEXT) | instid1(VALU_DEP_1)
	v_lshlrev_b32_e32 v5, 20, v5
	v_or3_b32 v3, v3, v4, v5
	s_delay_alu instid0(VALU_DEP_1)
	v_cvt_f64_f32_e32 v[6:7], v3
.LBB8_449:
	s_or_b32 exec_lo, exec_lo, s2
.LBB8_450:
	s_mov_b32 s2, -1
.LBB8_451:
	s_mov_b32 s3, 0
.LBB8_452:
	s_delay_alu instid0(SALU_CYCLE_1)
	s_and_b32 vcc_lo, exec_lo, s3
	s_cbranch_vccz .LBB8_485
; %bb.453:
	v_cmp_lt_i16_e32 vcc_lo, 22, v8
	s_cbranch_vccz .LBB8_465
; %bb.454:
	v_cmp_gt_i16_e32 vcc_lo, 24, v8
	s_cbranch_vccnz .LBB8_466
; %bb.455:
	v_cmp_lt_i16_e32 vcc_lo, 24, v8
	s_cbranch_vccz .LBB8_467
; %bb.456:
	global_load_u8 v3, v[1:2], off
	s_mov_b32 s27, 0
	s_mov_b32 s42, exec_lo
                                        ; implicit-def: $sgpr2_sgpr3
	s_waitcnt vmcnt(0)
	v_cmpx_lt_i16_e32 0x7f, v3
	s_xor_b32 s42, exec_lo, s42
	s_cbranch_execz .LBB8_460
; %bb.457:
	s_mov_b32 s43, -1
	s_mov_b32 s27, exec_lo
                                        ; implicit-def: $sgpr2_sgpr3
	v_cmpx_eq_u16_e32 0x80, v3
; %bb.458:
	s_mov_b32 s3, 0x7ff80000
	s_brev_b32 s2, 4
	s_xor_b32 s43, exec_lo, -1
; %bb.459:
	s_or_b32 exec_lo, exec_lo, s27
	s_delay_alu instid0(SALU_CYCLE_1)
	s_and_b32 s27, s43, exec_lo
.LBB8_460:
	s_or_saveexec_b32 s42, s42
	v_dual_mov_b32 v7, s3 :: v_dual_mov_b32 v6, s2
	s_xor_b32 exec_lo, exec_lo, s42
; %bb.461:
	v_cmp_ne_u16_e32 vcc_lo, 0, v3
	v_mov_b32_e32 v6, 0
	v_mov_b32_e32 v7, 0
	s_and_not1_b32 s2, s27, exec_lo
	s_and_b32 s3, vcc_lo, exec_lo
	s_delay_alu instid0(SALU_CYCLE_1)
	s_or_b32 s27, s2, s3
; %bb.462:
	s_or_b32 exec_lo, exec_lo, s42
	s_and_saveexec_b32 s2, s27
	s_cbranch_execz .LBB8_464
; %bb.463:
	v_and_b32_e32 v4, 0xffff, v3
	v_lshlrev_b32_e32 v3, 24, v3
	s_delay_alu instid0(VALU_DEP_2) | instskip(NEXT) | instid1(VALU_DEP_2)
	v_and_b32_e32 v5, 3, v4
	v_and_b32_e32 v3, 0x80000000, v3
	s_delay_alu instid0(VALU_DEP_2) | instskip(NEXT) | instid1(VALU_DEP_1)
	v_clz_i32_u32_e32 v6, v5
	v_min_u32_e32 v6, 32, v6
	s_delay_alu instid0(VALU_DEP_1) | instskip(SKIP_1) | instid1(VALU_DEP_2)
	v_subrev_nc_u32_e32 v7, 29, v6
	v_sub_nc_u32_e32 v6, 30, v6
	v_lshlrev_b32_e32 v7, v7, v4
	v_bfe_u32 v4, v4, 2, 5
	s_delay_alu instid0(VALU_DEP_2) | instskip(NEXT) | instid1(VALU_DEP_2)
	v_and_b32_e32 v7, 3, v7
	v_cmp_eq_u32_e32 vcc_lo, 0, v4
	s_delay_alu instid0(VALU_DEP_2) | instskip(NEXT) | instid1(VALU_DEP_1)
	v_dual_cndmask_b32 v4, v4, v6 :: v_dual_cndmask_b32 v5, v5, v7
	v_lshl_add_u32 v4, v4, 23, 0x37800000
	s_delay_alu instid0(VALU_DEP_2) | instskip(NEXT) | instid1(VALU_DEP_1)
	v_lshlrev_b32_e32 v5, 21, v5
	v_or3_b32 v3, v3, v4, v5
	s_delay_alu instid0(VALU_DEP_1)
	v_cvt_f64_f32_e32 v[6:7], v3
.LBB8_464:
	s_or_b32 exec_lo, exec_lo, s2
	s_mov_b32 s2, 0
	s_branch .LBB8_468
.LBB8_465:
	s_mov_b32 s3, -1
                                        ; implicit-def: $vgpr6_vgpr7
	s_branch .LBB8_474
.LBB8_466:
	s_mov_b32 s2, -1
                                        ; implicit-def: $vgpr6_vgpr7
	s_branch .LBB8_471
.LBB8_467:
	s_mov_b32 s2, -1
                                        ; implicit-def: $vgpr6_vgpr7
.LBB8_468:
	s_delay_alu instid0(SALU_CYCLE_1)
	s_and_b32 vcc_lo, exec_lo, s2
	s_cbranch_vccz .LBB8_470
; %bb.469:
	global_load_u8 v3, v[1:2], off
	s_waitcnt vmcnt(0)
	v_lshlrev_b32_e32 v3, 24, v3
	s_delay_alu instid0(VALU_DEP_1) | instskip(NEXT) | instid1(VALU_DEP_1)
	v_and_b32_e32 v4, 0x7f000000, v3
	v_clz_i32_u32_e32 v5, v4
	v_add_nc_u32_e32 v7, 0x1000000, v4
	v_cmp_ne_u32_e32 vcc_lo, 0, v4
	s_delay_alu instid0(VALU_DEP_3) | instskip(NEXT) | instid1(VALU_DEP_1)
	v_min_u32_e32 v5, 32, v5
	v_sub_nc_u32_e64 v5, v5, 4 clamp
	s_delay_alu instid0(VALU_DEP_1) | instskip(SKIP_1) | instid1(VALU_DEP_2)
	v_lshlrev_b32_e32 v6, v5, v4
	v_lshlrev_b32_e32 v5, 23, v5
	v_lshrrev_b32_e32 v6, 4, v6
	s_delay_alu instid0(VALU_DEP_1) | instskip(SKIP_1) | instid1(VALU_DEP_2)
	v_sub_nc_u32_e32 v5, v6, v5
	v_ashrrev_i32_e32 v6, 8, v7
	v_add_nc_u32_e32 v5, 0x3c000000, v5
	s_delay_alu instid0(VALU_DEP_1) | instskip(NEXT) | instid1(VALU_DEP_1)
	v_and_or_b32 v5, 0x7f800000, v6, v5
	v_cndmask_b32_e32 v4, 0, v5, vcc_lo
	s_delay_alu instid0(VALU_DEP_1) | instskip(NEXT) | instid1(VALU_DEP_1)
	v_and_or_b32 v3, 0x80000000, v3, v4
	v_cvt_f64_f32_e32 v[6:7], v3
.LBB8_470:
	s_mov_b32 s2, 0
.LBB8_471:
	s_delay_alu instid0(SALU_CYCLE_1)
	s_and_not1_b32 vcc_lo, exec_lo, s2
	s_cbranch_vccnz .LBB8_473
; %bb.472:
	global_load_u8 v3, v[1:2], off
	s_waitcnt vmcnt(0)
	v_lshlrev_b32_e32 v4, 25, v3
	v_lshlrev_b16 v3, 8, v3
	s_delay_alu instid0(VALU_DEP_2) | instskip(NEXT) | instid1(VALU_DEP_2)
	v_lshrrev_b32_e32 v5, 4, v4
	v_and_or_b32 v6, 0x7f00, v3, 0.5
	v_bfe_i32 v3, v3, 0, 16
	s_delay_alu instid0(VALU_DEP_3) | instskip(NEXT) | instid1(VALU_DEP_1)
	v_or_b32_e32 v5, 0x70000000, v5
	v_dual_add_f32 v6, -0.5, v6 :: v_dual_mul_f32 v5, 0x7800000, v5
	v_cmp_gt_u32_e32 vcc_lo, 0x8000000, v4
	s_delay_alu instid0(VALU_DEP_2) | instskip(NEXT) | instid1(VALU_DEP_1)
	v_cndmask_b32_e32 v4, v5, v6, vcc_lo
	v_and_or_b32 v3, 0x80000000, v3, v4
	s_delay_alu instid0(VALU_DEP_1)
	v_cvt_f64_f32_e32 v[6:7], v3
.LBB8_473:
	s_mov_b32 s3, 0
	s_mov_b32 s2, -1
.LBB8_474:
	s_and_not1_b32 vcc_lo, exec_lo, s3
	s_cbranch_vccnz .LBB8_485
; %bb.475:
	v_cmp_lt_i16_e32 vcc_lo, 14, v8
	s_cbranch_vccz .LBB8_478
; %bb.476:
	v_cmp_eq_u16_e32 vcc_lo, 15, v8
	s_cbranch_vccz .LBB8_479
; %bb.477:
	global_load_u16 v3, v[1:2], off
	s_mov_b32 s2, -1
	s_mov_b32 s26, 0
	s_waitcnt vmcnt(0)
	v_lshlrev_b32_e32 v3, 16, v3
	s_delay_alu instid0(VALU_DEP_1)
	v_cvt_f64_f32_e32 v[6:7], v3
	s_branch .LBB8_480
.LBB8_478:
	s_mov_b32 s3, -1
                                        ; implicit-def: $vgpr6_vgpr7
	s_branch .LBB8_481
.LBB8_479:
	s_mov_b32 s26, -1
                                        ; implicit-def: $vgpr6_vgpr7
.LBB8_480:
	s_mov_b32 s3, 0
.LBB8_481:
	s_delay_alu instid0(SALU_CYCLE_1)
	s_and_b32 vcc_lo, exec_lo, s3
	s_cbranch_vccz .LBB8_485
; %bb.482:
	v_cmp_eq_u16_e32 vcc_lo, 11, v8
	s_cbranch_vccz .LBB8_484
; %bb.483:
	global_load_u8 v3, v[1:2], off
	s_waitcnt vmcnt(1)
	v_mov_b32_e32 v6, 0
	s_mov_b32 s26, 0
	s_mov_b32 s2, -1
	s_waitcnt vmcnt(0)
	v_cmp_ne_u16_e32 vcc_lo, 0, v3
	v_cndmask_b32_e64 v7, 0, 0x3ff00000, vcc_lo
	s_branch .LBB8_485
.LBB8_484:
	s_mov_b32 s26, -1
                                        ; implicit-def: $vgpr6_vgpr7
.LBB8_485:
	s_branch .LBB8_288
.LBB8_486:
	v_cmp_gt_i16_e32 vcc_lo, 5, v8
	s_cbranch_vccnz .LBB8_491
; %bb.487:
	v_cmp_gt_i16_e32 vcc_lo, 8, v8
	s_cbranch_vccnz .LBB8_492
; %bb.488:
	;; [unrolled: 3-line block ×3, first 2 shown]
	v_cmp_lt_i16_e32 vcc_lo, 9, v8
	s_cbranch_vccz .LBB8_494
; %bb.490:
	global_load_b64 v[6:7], v[1:2], off
	s_mov_b32 s2, 0
	s_branch .LBB8_495
.LBB8_491:
	s_mov_b32 s2, -1
                                        ; implicit-def: $vgpr6_vgpr7
	s_branch .LBB8_513
.LBB8_492:
	s_mov_b32 s2, -1
                                        ; implicit-def: $vgpr6_vgpr7
	s_branch .LBB8_501
.LBB8_493:
	s_mov_b32 s2, -1
                                        ; implicit-def: $vgpr6_vgpr7
	s_branch .LBB8_498
.LBB8_494:
	s_mov_b32 s2, -1
                                        ; implicit-def: $vgpr6_vgpr7
.LBB8_495:
	s_delay_alu instid0(SALU_CYCLE_1)
	s_and_not1_b32 vcc_lo, exec_lo, s2
	s_cbranch_vccnz .LBB8_497
; %bb.496:
	global_load_b32 v3, v[1:2], off
	s_waitcnt vmcnt(0)
	v_cvt_f64_f32_e32 v[6:7], v3
.LBB8_497:
	s_mov_b32 s2, 0
.LBB8_498:
	s_delay_alu instid0(SALU_CYCLE_1)
	s_and_not1_b32 vcc_lo, exec_lo, s2
	s_cbranch_vccnz .LBB8_500
; %bb.499:
	global_load_b32 v3, v[1:2], off
	s_waitcnt vmcnt(0)
	v_cvt_f32_f16_e32 v3, v3
	s_delay_alu instid0(VALU_DEP_1)
	v_cvt_f64_f32_e32 v[6:7], v3
.LBB8_500:
	s_mov_b32 s2, 0
.LBB8_501:
	s_delay_alu instid0(SALU_CYCLE_1)
	s_and_not1_b32 vcc_lo, exec_lo, s2
	s_cbranch_vccnz .LBB8_512
; %bb.502:
	v_cmp_gt_i16_e32 vcc_lo, 6, v8
	s_cbranch_vccnz .LBB8_505
; %bb.503:
	v_cmp_lt_i16_e32 vcc_lo, 6, v8
	s_cbranch_vccz .LBB8_506
; %bb.504:
	global_load_b64 v[6:7], v[1:2], off
	s_mov_b32 s2, 0
	s_branch .LBB8_507
.LBB8_505:
	s_mov_b32 s2, -1
                                        ; implicit-def: $vgpr6_vgpr7
	s_branch .LBB8_510
.LBB8_506:
	s_mov_b32 s2, -1
                                        ; implicit-def: $vgpr6_vgpr7
.LBB8_507:
	s_delay_alu instid0(SALU_CYCLE_1)
	s_and_not1_b32 vcc_lo, exec_lo, s2
	s_cbranch_vccnz .LBB8_509
; %bb.508:
	global_load_b32 v3, v[1:2], off
	s_waitcnt vmcnt(0)
	v_cvt_f64_f32_e32 v[6:7], v3
.LBB8_509:
	s_mov_b32 s2, 0
.LBB8_510:
	s_delay_alu instid0(SALU_CYCLE_1)
	s_and_not1_b32 vcc_lo, exec_lo, s2
	s_cbranch_vccnz .LBB8_512
; %bb.511:
	global_load_u16 v3, v[1:2], off
	s_waitcnt vmcnt(0)
	v_cvt_f32_f16_e32 v3, v3
	s_delay_alu instid0(VALU_DEP_1)
	v_cvt_f64_f32_e32 v[6:7], v3
.LBB8_512:
	s_mov_b32 s2, 0
.LBB8_513:
	s_delay_alu instid0(SALU_CYCLE_1)
	s_and_not1_b32 vcc_lo, exec_lo, s2
	s_cbranch_vccnz .LBB8_533
; %bb.514:
	v_cmp_gt_i16_e32 vcc_lo, 2, v8
	s_cbranch_vccnz .LBB8_518
; %bb.515:
	v_cmp_gt_i16_e32 vcc_lo, 3, v8
	s_cbranch_vccnz .LBB8_519
; %bb.516:
	v_cmp_lt_i16_e32 vcc_lo, 3, v8
	s_cbranch_vccz .LBB8_520
; %bb.517:
	global_load_b64 v[3:4], v[1:2], off
	s_mov_b32 s2, 0
	s_waitcnt vmcnt(0)
	v_cvt_f64_i32_e32 v[4:5], v4
	v_cvt_f64_u32_e32 v[6:7], v3
	s_delay_alu instid0(VALU_DEP_2) | instskip(NEXT) | instid1(VALU_DEP_1)
	v_ldexp_f64 v[4:5], v[4:5], 32
	v_add_f64 v[6:7], v[4:5], v[6:7]
	s_branch .LBB8_521
.LBB8_518:
	s_mov_b32 s2, -1
                                        ; implicit-def: $vgpr6_vgpr7
	s_branch .LBB8_527
.LBB8_519:
	s_mov_b32 s2, -1
                                        ; implicit-def: $vgpr6_vgpr7
	s_branch .LBB8_524
.LBB8_520:
	s_mov_b32 s2, -1
                                        ; implicit-def: $vgpr6_vgpr7
.LBB8_521:
	s_delay_alu instid0(SALU_CYCLE_1)
	s_and_not1_b32 vcc_lo, exec_lo, s2
	s_cbranch_vccnz .LBB8_523
; %bb.522:
	global_load_b32 v3, v[1:2], off
	s_waitcnt vmcnt(0)
	v_cvt_f64_i32_e32 v[6:7], v3
.LBB8_523:
	s_mov_b32 s2, 0
.LBB8_524:
	s_delay_alu instid0(SALU_CYCLE_1)
	s_and_not1_b32 vcc_lo, exec_lo, s2
	s_cbranch_vccnz .LBB8_526
; %bb.525:
	global_load_i16 v3, v[1:2], off
	s_waitcnt vmcnt(0)
	v_cvt_f64_i32_e32 v[6:7], v3
.LBB8_526:
	s_mov_b32 s2, 0
.LBB8_527:
	s_delay_alu instid0(SALU_CYCLE_1)
	s_and_not1_b32 vcc_lo, exec_lo, s2
	s_cbranch_vccnz .LBB8_533
; %bb.528:
	v_cmp_lt_i16_e32 vcc_lo, 0, v8
	s_mov_b32 s2, 0
	s_cbranch_vccz .LBB8_530
; %bb.529:
	global_load_i8 v3, v[1:2], off
	s_waitcnt vmcnt(0)
	v_cvt_f64_i32_e32 v[6:7], v3
	s_branch .LBB8_531
.LBB8_530:
	s_mov_b32 s2, -1
                                        ; implicit-def: $vgpr6_vgpr7
.LBB8_531:
	s_delay_alu instid0(SALU_CYCLE_1)
	s_and_not1_b32 vcc_lo, exec_lo, s2
	s_cbranch_vccnz .LBB8_533
; %bb.532:
	global_load_u8 v1, v[1:2], off
	s_waitcnt vmcnt(0)
	v_cvt_f64_u32_e32 v[6:7], v1
.LBB8_533:
	s_branch .LBB8_289
.LBB8_534:
	s_mov_b32 s3, 0
	s_mov_b32 s2, s39
.LBB8_535:
                                        ; implicit-def: $vgpr9
.LBB8_536:
	s_and_not1_b32 s27, s39, exec_lo
	s_and_b32 s2, s2, exec_lo
	s_and_not1_b32 s42, s40, exec_lo
	s_and_b32 s26, s26, exec_lo
	s_or_b32 s43, s27, s2
	s_or_b32 s42, s42, s26
	s_or_not1_b32 s2, s3, exec_lo
.LBB8_537:
	s_or_b32 exec_lo, exec_lo, s44
	s_mov_b32 s3, 0
	s_mov_b32 s27, 0
	;; [unrolled: 1-line block ×3, first 2 shown]
                                        ; implicit-def: $vgpr0_vgpr1
                                        ; implicit-def: $vgpr2
                                        ; implicit-def: $vgpr6_vgpr7
	s_and_saveexec_b32 s44, s2
	s_cbranch_execz .LBB8_911
; %bb.538:
	s_mov_b32 s47, -1
	s_mov_b32 s26, s42
	s_mov_b32 s27, s43
	s_mov_b32 s45, exec_lo
	v_cmpx_gt_i32_e64 s36, v9
	s_cbranch_execz .LBB8_812
; %bb.539:
	s_and_not1_b32 vcc_lo, exec_lo, s31
	s_cbranch_vccnz .LBB8_544
; %bb.540:
	v_dual_mov_b32 v0, 0 :: v_dual_mov_b32 v1, 0
	s_and_not1_b32 vcc_lo, exec_lo, s38
	s_mov_b32 s46, 0
	s_cbranch_vccnz .LBB8_549
; %bb.541:
	v_mov_b32_e32 v0, 0
	s_add_i32 s48, s37, 1
	s_cmp_eq_u32 s29, 2
	s_mov_b32 s47, 0
	s_cbranch_scc1 .LBB8_545
; %bb.542:
	v_dual_mov_b32 v1, 0 :: v_dual_mov_b32 v0, 0
	v_mov_b32_e32 v2, v9
	s_and_b32 s47, s48, 28
	s_mov_b32 s49, 0
	s_mov_b64 s[2:3], s[24:25]
	s_mov_b64 s[26:27], s[20:21]
.LBB8_543:                              ; =>This Inner Loop Header: Depth=1
	s_clause 0x1
	s_load_b256 s[52:59], s[26:27], 0x4
	s_load_b128 s[68:71], s[26:27], 0x24
	s_load_b256 s[60:67], s[2:3], 0x0
	s_add_u32 s26, s26, 48
	s_addc_u32 s27, s27, 0
	s_add_i32 s49, s49, 4
	s_add_u32 s2, s2, 32
	s_addc_u32 s3, s3, 0
	s_cmp_eq_u32 s47, s49
	s_waitcnt lgkmcnt(0)
	v_mul_hi_u32 v3, s53, v2
	s_delay_alu instid0(VALU_DEP_1) | instskip(NEXT) | instid1(VALU_DEP_1)
	v_add_nc_u32_e32 v3, v2, v3
	v_lshrrev_b32_e32 v3, s54, v3
	s_delay_alu instid0(VALU_DEP_1) | instskip(SKIP_2) | instid1(VALU_DEP_2)
	v_mul_hi_u32 v4, s56, v3
	s_waitcnt vmcnt(0)
	v_mul_lo_u32 v6, v3, s52
	v_add_nc_u32_e32 v4, v3, v4
	s_delay_alu instid0(VALU_DEP_2) | instskip(NEXT) | instid1(VALU_DEP_2)
	v_sub_nc_u32_e32 v2, v2, v6
	v_lshrrev_b32_e32 v4, s57, v4
	s_delay_alu instid0(VALU_DEP_2) | instskip(SKIP_1) | instid1(VALU_DEP_3)
	v_mul_lo_u32 v6, v2, s60
	v_mul_lo_u32 v10, v2, s61
	v_mul_hi_u32 v5, s59, v4
	s_delay_alu instid0(VALU_DEP_1) | instskip(NEXT) | instid1(VALU_DEP_1)
	v_add_nc_u32_e32 v5, v4, v5
	v_lshrrev_b32_e32 v5, s68, v5
	s_delay_alu instid0(VALU_DEP_1) | instskip(SKIP_1) | instid1(VALU_DEP_2)
	v_mul_hi_u32 v7, s70, v5
	v_mul_lo_u32 v11, v5, s58
	v_add_nc_u32_e32 v2, v5, v7
	v_mul_lo_u32 v7, v4, s55
	s_delay_alu instid0(VALU_DEP_3) | instskip(NEXT) | instid1(VALU_DEP_3)
	v_sub_nc_u32_e32 v4, v4, v11
	v_lshrrev_b32_e32 v2, s71, v2
	s_delay_alu instid0(VALU_DEP_2) | instskip(SKIP_2) | instid1(VALU_DEP_4)
	v_mul_lo_u32 v11, v4, s64
	v_mul_lo_u32 v4, v4, s65
	v_sub_nc_u32_e32 v3, v3, v7
	v_mul_lo_u32 v12, v2, s69
	s_delay_alu instid0(VALU_DEP_2) | instskip(SKIP_1) | instid1(VALU_DEP_3)
	v_mul_lo_u32 v7, v3, s62
	v_mul_lo_u32 v3, v3, s63
	v_sub_nc_u32_e32 v5, v5, v12
	s_delay_alu instid0(VALU_DEP_3) | instskip(NEXT) | instid1(VALU_DEP_2)
	v_add3_u32 v0, v6, v0, v7
	v_mul_lo_u32 v12, v5, s66
	v_mul_lo_u32 v5, v5, s67
	v_add3_u32 v1, v10, v1, v3
	s_delay_alu instid0(VALU_DEP_3) | instskip(NEXT) | instid1(VALU_DEP_2)
	v_add3_u32 v0, v11, v0, v12
	v_add3_u32 v1, v4, v1, v5
	s_cbranch_scc0 .LBB8_543
	s_branch .LBB8_546
.LBB8_544:
	s_mov_b32 s46, -1
                                        ; implicit-def: $vgpr0
                                        ; implicit-def: $vgpr1
	s_branch .LBB8_549
.LBB8_545:
	v_dual_mov_b32 v2, v9 :: v_dual_mov_b32 v1, 0
.LBB8_546:
	s_and_b32 s48, s48, 3
	s_delay_alu instid0(SALU_CYCLE_1)
	s_cmp_eq_u32 s48, 0
	s_cbranch_scc1 .LBB8_549
; %bb.547:
	s_lshl_b32 s2, s47, 3
	s_mul_i32 s26, s47, 12
	s_add_u32 s2, s2, s20
	s_addc_u32 s3, s21, 0
	s_add_u32 s2, s2, 0xc4
	s_addc_u32 s3, s3, 0
	;; [unrolled: 2-line block ×3, first 2 shown]
	.p2align	6
.LBB8_548:                              ; =>This Inner Loop Header: Depth=1
	s_clause 0x1
	s_load_b64 s[50:51], s[26:27], 0x4
	s_load_b32 s47, s[26:27], 0xc
	s_load_b64 s[52:53], s[2:3], 0x0
	s_add_u32 s26, s26, 12
	s_addc_u32 s27, s27, 0
	s_add_u32 s2, s2, 8
	s_addc_u32 s3, s3, 0
	s_add_i32 s48, s48, -1
	s_delay_alu instid0(SALU_CYCLE_1) | instskip(SKIP_2) | instid1(VALU_DEP_1)
	s_cmp_lg_u32 s48, 0
	s_waitcnt lgkmcnt(0)
	v_mul_hi_u32 v3, s51, v2
	v_add_nc_u32_e32 v3, v2, v3
	s_waitcnt vmcnt(0)
	s_delay_alu instid0(VALU_DEP_1) | instskip(NEXT) | instid1(VALU_DEP_1)
	v_lshrrev_b32_e32 v6, s47, v3
	v_mul_lo_u32 v3, v6, s50
	s_delay_alu instid0(VALU_DEP_1) | instskip(NEXT) | instid1(VALU_DEP_1)
	v_sub_nc_u32_e32 v2, v2, v3
	v_mad_u64_u32 v[3:4], null, v2, s52, v[0:1]
	v_mad_u64_u32 v[4:5], null, v2, s53, v[1:2]
	v_mov_b32_e32 v2, v6
	s_delay_alu instid0(VALU_DEP_2)
	v_dual_mov_b32 v0, v3 :: v_dual_mov_b32 v1, v4
	s_cbranch_scc1 .LBB8_548
.LBB8_549:
	s_and_not1_b32 vcc_lo, exec_lo, s46
	s_cbranch_vccnz .LBB8_552
; %bb.550:
	v_mul_hi_u32 v0, s17, v9
	s_and_not1_b32 vcc_lo, exec_lo, s35
	s_delay_alu instid0(VALU_DEP_1) | instskip(NEXT) | instid1(VALU_DEP_1)
	v_add_nc_u32_e32 v0, v9, v0
	v_lshrrev_b32_e32 v2, s18, v0
	s_delay_alu instid0(VALU_DEP_1) | instskip(NEXT) | instid1(VALU_DEP_1)
	v_mul_lo_u32 v0, v2, s16
	v_sub_nc_u32_e32 v1, v9, v0
	s_delay_alu instid0(VALU_DEP_1)
	v_mul_lo_u32 v0, v1, s12
	v_mul_lo_u32 v1, v1, s13
	s_cbranch_vccnz .LBB8_552
; %bb.551:
	v_mul_hi_u32 v3, s22, v2
	s_delay_alu instid0(VALU_DEP_1) | instskip(NEXT) | instid1(VALU_DEP_1)
	v_add_nc_u32_e32 v3, v2, v3
	v_lshrrev_b32_e32 v3, s23, v3
	s_delay_alu instid0(VALU_DEP_1) | instskip(NEXT) | instid1(VALU_DEP_1)
	v_mul_lo_u32 v3, v3, s19
	v_sub_nc_u32_e32 v5, v2, v3
	s_delay_alu instid0(VALU_DEP_1) | instskip(NEXT) | instid1(VALU_DEP_1)
	v_mad_u64_u32 v[2:3], null, v5, s14, v[0:1]
	v_mad_u64_u32 v[3:4], null, v5, s15, v[1:2]
	s_delay_alu instid0(VALU_DEP_1)
	v_dual_mov_b32 v0, v2 :: v_dual_mov_b32 v1, v3
.LBB8_552:
	v_cmp_gt_i16_e32 vcc_lo, 11, v8
	s_delay_alu instid0(VALU_DEP_2) | instskip(NEXT) | instid1(VALU_DEP_1)
	v_add_co_u32 v1, s2, s6, v1
	v_add_co_ci_u32_e64 v2, null, s7, 0, s2
	s_mov_b32 s2, 0
	s_cbranch_vccnz .LBB8_559
; %bb.553:
	v_cmp_lt_i16_e32 vcc_lo, 25, v8
	s_cbranch_vccz .LBB8_560
; %bb.554:
	v_cmp_lt_i16_e32 vcc_lo, 28, v8
	s_cbranch_vccz .LBB8_561
	;; [unrolled: 3-line block ×4, first 2 shown]
; %bb.557:
	v_cmp_eq_u16_e32 vcc_lo, 46, v8
	s_mov_b32 s3, 0
	s_cbranch_vccz .LBB8_568
; %bb.558:
	global_load_b32 v3, v[1:2], off
	s_mov_b32 s2, -1
	s_mov_b32 s26, 0
	s_waitcnt vmcnt(0)
	v_lshlrev_b32_e32 v3, 16, v3
	s_delay_alu instid0(VALU_DEP_1)
	v_cvt_f64_f32_e32 v[6:7], v3
	s_branch .LBB8_570
.LBB8_559:
	s_mov_b32 s3, -1
	s_mov_b32 s26, s42
                                        ; implicit-def: $vgpr6_vgpr7
	s_branch .LBB8_635
.LBB8_560:
	s_mov_b32 s3, -1
	s_mov_b32 s26, s42
                                        ; implicit-def: $vgpr6_vgpr7
	s_branch .LBB8_601
.LBB8_561:
	s_mov_b32 s3, -1
	s_mov_b32 s26, s42
                                        ; implicit-def: $vgpr6_vgpr7
	s_branch .LBB8_580
.LBB8_562:
	s_mov_b32 s3, -1
	s_mov_b32 s26, s42
                                        ; implicit-def: $vgpr6_vgpr7
	s_branch .LBB8_575
.LBB8_563:
	s_or_saveexec_b32 s42, s42
                                        ; implicit-def: $sgpr43
	s_delay_alu instid0(SALU_CYCLE_1)
	s_xor_b32 exec_lo, exec_lo, s42
	s_cbranch_execz .LBB8_374
.LBB8_564:
	v_add_f32_e64 v3, 0x46000000, |v2|
	s_and_not1_b32 s27, s27, exec_lo
	s_mov_b32 s43, 0
	s_delay_alu instid0(VALU_DEP_1) | instskip(NEXT) | instid1(VALU_DEP_1)
	v_and_b32_e32 v3, 0xff, v3
	v_cmp_ne_u32_e32 vcc_lo, 0, v3
	s_and_b32 s45, vcc_lo, exec_lo
	s_delay_alu instid0(SALU_CYCLE_1)
	s_or_b32 s27, s27, s45
	s_or_b32 exec_lo, exec_lo, s42
	v_mov_b32_e32 v6, s43
	s_and_saveexec_b32 s42, s27
	s_cbranch_execnz .LBB8_375
	s_branch .LBB8_376
.LBB8_565:
	s_mov_b32 s3, -1
	s_mov_b32 s26, s42
	s_branch .LBB8_569
.LBB8_566:
	s_or_saveexec_b32 s42, s42
                                        ; implicit-def: $sgpr43
	s_delay_alu instid0(SALU_CYCLE_1)
	s_xor_b32 exec_lo, exec_lo, s42
	s_cbranch_execz .LBB8_387
.LBB8_567:
	v_add_f32_e64 v3, 0x42800000, |v2|
	s_and_not1_b32 s27, s27, exec_lo
	s_mov_b32 s43, 0
	s_delay_alu instid0(VALU_DEP_1) | instskip(NEXT) | instid1(VALU_DEP_1)
	v_and_b32_e32 v3, 0xff, v3
	v_cmp_ne_u32_e32 vcc_lo, 0, v3
	s_and_b32 s45, vcc_lo, exec_lo
	s_delay_alu instid0(SALU_CYCLE_1)
	s_or_b32 s27, s27, s45
	s_or_b32 exec_lo, exec_lo, s42
	v_mov_b32_e32 v6, s43
	s_and_saveexec_b32 s42, s27
	s_cbranch_execnz .LBB8_388
	s_branch .LBB8_389
.LBB8_568:
	s_mov_b32 s26, -1
.LBB8_569:
                                        ; implicit-def: $vgpr6_vgpr7
.LBB8_570:
	s_and_b32 vcc_lo, exec_lo, s3
	s_cbranch_vccz .LBB8_574
; %bb.571:
	v_cmp_eq_u16_e32 vcc_lo, 44, v8
	s_cbranch_vccz .LBB8_573
; %bb.572:
	global_load_u8 v5, v[1:2], off
	s_mov_b32 s26, 0
	s_mov_b32 s2, -1
	s_waitcnt vmcnt(0)
	v_cmp_ne_u32_e32 vcc_lo, 0xff, v5
	v_lshlrev_b32_e32 v3, 23, v5
	s_delay_alu instid0(VALU_DEP_1) | instskip(NEXT) | instid1(VALU_DEP_1)
	v_cvt_f64_f32_e32 v[3:4], v3
	v_cndmask_b32_e32 v4, 0x7ff80000, v4, vcc_lo
	s_delay_alu instid0(VALU_DEP_2) | instskip(SKIP_1) | instid1(VALU_DEP_3)
	v_cndmask_b32_e32 v3, 0x20000000, v3, vcc_lo
	v_cmp_ne_u32_e32 vcc_lo, 0, v5
	v_cndmask_b32_e32 v7, 0x38000000, v4, vcc_lo
	s_delay_alu instid0(VALU_DEP_3)
	v_cndmask_b32_e32 v6, 0, v3, vcc_lo
	s_branch .LBB8_574
.LBB8_573:
	s_mov_b32 s26, -1
                                        ; implicit-def: $vgpr6_vgpr7
.LBB8_574:
	s_mov_b32 s3, 0
.LBB8_575:
	s_delay_alu instid0(SALU_CYCLE_1)
	s_and_b32 vcc_lo, exec_lo, s3
	s_cbranch_vccz .LBB8_579
; %bb.576:
	v_cmp_eq_u16_e32 vcc_lo, 29, v8
	s_cbranch_vccz .LBB8_578
; %bb.577:
	global_load_b64 v[3:4], v[1:2], off
	s_mov_b32 s2, -1
	s_mov_b32 s26, 0
	s_mov_b32 s3, 0
	s_waitcnt vmcnt(0)
	v_cvt_f64_u32_e32 v[4:5], v4
	v_cvt_f64_u32_e32 v[6:7], v3
	s_delay_alu instid0(VALU_DEP_2) | instskip(NEXT) | instid1(VALU_DEP_1)
	v_ldexp_f64 v[4:5], v[4:5], 32
	v_add_f64 v[6:7], v[4:5], v[6:7]
	s_branch .LBB8_580
.LBB8_578:
	s_mov_b32 s26, -1
                                        ; implicit-def: $vgpr6_vgpr7
.LBB8_579:
	s_mov_b32 s3, 0
.LBB8_580:
	s_delay_alu instid0(SALU_CYCLE_1)
	s_and_b32 vcc_lo, exec_lo, s3
	s_cbranch_vccz .LBB8_600
; %bb.581:
	v_cmp_gt_i16_e32 vcc_lo, 27, v8
	s_cbranch_vccnz .LBB8_584
; %bb.582:
	v_cmp_lt_i16_e32 vcc_lo, 27, v8
	s_cbranch_vccz .LBB8_585
; %bb.583:
	global_load_b32 v3, v[1:2], off
	s_mov_b32 s2, 0
	s_waitcnt vmcnt(0)
	v_cvt_f64_u32_e32 v[6:7], v3
	s_branch .LBB8_586
.LBB8_584:
	s_mov_b32 s2, -1
                                        ; implicit-def: $vgpr6_vgpr7
	s_branch .LBB8_589
.LBB8_585:
	s_mov_b32 s2, -1
                                        ; implicit-def: $vgpr6_vgpr7
.LBB8_586:
	s_delay_alu instid0(SALU_CYCLE_1)
	s_and_not1_b32 vcc_lo, exec_lo, s2
	s_cbranch_vccnz .LBB8_588
; %bb.587:
	global_load_u16 v3, v[1:2], off
	s_waitcnt vmcnt(0)
	v_cvt_f64_u32_e32 v[6:7], v3
.LBB8_588:
	s_mov_b32 s2, 0
.LBB8_589:
	s_delay_alu instid0(SALU_CYCLE_1)
	s_and_not1_b32 vcc_lo, exec_lo, s2
	s_cbranch_vccnz .LBB8_599
; %bb.590:
	global_load_u8 v3, v[1:2], off
	s_mov_b32 s27, 0
	s_mov_b32 s46, exec_lo
                                        ; implicit-def: $sgpr2_sgpr3
	s_waitcnt vmcnt(0)
	v_cmpx_lt_i16_e32 0x7f, v3
	s_xor_b32 s46, exec_lo, s46
	s_cbranch_execz .LBB8_594
; %bb.591:
	s_mov_b32 s47, -1
	s_mov_b32 s27, exec_lo
                                        ; implicit-def: $sgpr2_sgpr3
	v_cmpx_eq_u16_e32 0x80, v3
; %bb.592:
	s_mov_b32 s3, 0x7ff80000
	s_brev_b32 s2, 4
	s_xor_b32 s47, exec_lo, -1
; %bb.593:
	s_or_b32 exec_lo, exec_lo, s27
	s_delay_alu instid0(SALU_CYCLE_1)
	s_and_b32 s27, s47, exec_lo
.LBB8_594:
	s_or_saveexec_b32 s46, s46
	v_dual_mov_b32 v7, s3 :: v_dual_mov_b32 v6, s2
	s_xor_b32 exec_lo, exec_lo, s46
; %bb.595:
	v_cmp_ne_u16_e32 vcc_lo, 0, v3
	v_mov_b32_e32 v6, 0
	v_mov_b32_e32 v7, 0
	s_and_not1_b32 s2, s27, exec_lo
	s_and_b32 s3, vcc_lo, exec_lo
	s_delay_alu instid0(SALU_CYCLE_1)
	s_or_b32 s27, s2, s3
; %bb.596:
	s_or_b32 exec_lo, exec_lo, s46
	s_and_saveexec_b32 s2, s27
	s_cbranch_execz .LBB8_598
; %bb.597:
	v_and_b32_e32 v4, 0xffff, v3
	v_lshlrev_b32_e32 v3, 24, v3
	s_delay_alu instid0(VALU_DEP_2) | instskip(NEXT) | instid1(VALU_DEP_2)
	v_and_b32_e32 v5, 7, v4
	v_and_b32_e32 v3, 0x80000000, v3
	s_delay_alu instid0(VALU_DEP_2) | instskip(NEXT) | instid1(VALU_DEP_1)
	v_clz_i32_u32_e32 v6, v5
	v_min_u32_e32 v6, 32, v6
	s_delay_alu instid0(VALU_DEP_1) | instskip(SKIP_1) | instid1(VALU_DEP_2)
	v_subrev_nc_u32_e32 v7, 28, v6
	v_sub_nc_u32_e32 v6, 29, v6
	v_lshlrev_b32_e32 v7, v7, v4
	v_bfe_u32 v4, v4, 3, 4
	s_delay_alu instid0(VALU_DEP_2) | instskip(NEXT) | instid1(VALU_DEP_2)
	v_and_b32_e32 v7, 7, v7
	v_cmp_eq_u32_e32 vcc_lo, 0, v4
	s_delay_alu instid0(VALU_DEP_2) | instskip(NEXT) | instid1(VALU_DEP_1)
	v_dual_cndmask_b32 v4, v4, v6 :: v_dual_cndmask_b32 v5, v5, v7
	v_lshl_add_u32 v4, v4, 23, 0x3b800000
	s_delay_alu instid0(VALU_DEP_2) | instskip(NEXT) | instid1(VALU_DEP_1)
	v_lshlrev_b32_e32 v5, 20, v5
	v_or3_b32 v3, v3, v4, v5
	s_delay_alu instid0(VALU_DEP_1)
	v_cvt_f64_f32_e32 v[6:7], v3
.LBB8_598:
	s_or_b32 exec_lo, exec_lo, s2
.LBB8_599:
	s_mov_b32 s2, -1
.LBB8_600:
	s_mov_b32 s3, 0
.LBB8_601:
	s_delay_alu instid0(SALU_CYCLE_1)
	s_and_b32 vcc_lo, exec_lo, s3
	s_cbranch_vccz .LBB8_634
; %bb.602:
	v_cmp_lt_i16_e32 vcc_lo, 22, v8
	s_cbranch_vccz .LBB8_614
; %bb.603:
	v_cmp_gt_i16_e32 vcc_lo, 24, v8
	s_cbranch_vccnz .LBB8_615
; %bb.604:
	v_cmp_lt_i16_e32 vcc_lo, 24, v8
	s_cbranch_vccz .LBB8_616
; %bb.605:
	global_load_u8 v3, v[1:2], off
	s_mov_b32 s27, 0
	s_mov_b32 s46, exec_lo
                                        ; implicit-def: $sgpr2_sgpr3
	s_waitcnt vmcnt(0)
	v_cmpx_lt_i16_e32 0x7f, v3
	s_xor_b32 s46, exec_lo, s46
	s_cbranch_execz .LBB8_609
; %bb.606:
	s_mov_b32 s47, -1
	s_mov_b32 s27, exec_lo
                                        ; implicit-def: $sgpr2_sgpr3
	v_cmpx_eq_u16_e32 0x80, v3
; %bb.607:
	s_mov_b32 s3, 0x7ff80000
	s_brev_b32 s2, 4
	s_xor_b32 s47, exec_lo, -1
; %bb.608:
	s_or_b32 exec_lo, exec_lo, s27
	s_delay_alu instid0(SALU_CYCLE_1)
	s_and_b32 s27, s47, exec_lo
.LBB8_609:
	s_or_saveexec_b32 s46, s46
	v_dual_mov_b32 v7, s3 :: v_dual_mov_b32 v6, s2
	s_xor_b32 exec_lo, exec_lo, s46
; %bb.610:
	v_cmp_ne_u16_e32 vcc_lo, 0, v3
	v_mov_b32_e32 v6, 0
	v_mov_b32_e32 v7, 0
	s_and_not1_b32 s2, s27, exec_lo
	s_and_b32 s3, vcc_lo, exec_lo
	s_delay_alu instid0(SALU_CYCLE_1)
	s_or_b32 s27, s2, s3
; %bb.611:
	s_or_b32 exec_lo, exec_lo, s46
	s_and_saveexec_b32 s2, s27
	s_cbranch_execz .LBB8_613
; %bb.612:
	v_and_b32_e32 v4, 0xffff, v3
	v_lshlrev_b32_e32 v3, 24, v3
	s_delay_alu instid0(VALU_DEP_2) | instskip(NEXT) | instid1(VALU_DEP_2)
	v_and_b32_e32 v5, 3, v4
	v_and_b32_e32 v3, 0x80000000, v3
	s_delay_alu instid0(VALU_DEP_2) | instskip(NEXT) | instid1(VALU_DEP_1)
	v_clz_i32_u32_e32 v6, v5
	v_min_u32_e32 v6, 32, v6
	s_delay_alu instid0(VALU_DEP_1) | instskip(SKIP_1) | instid1(VALU_DEP_2)
	v_subrev_nc_u32_e32 v7, 29, v6
	v_sub_nc_u32_e32 v6, 30, v6
	v_lshlrev_b32_e32 v7, v7, v4
	v_bfe_u32 v4, v4, 2, 5
	s_delay_alu instid0(VALU_DEP_2) | instskip(NEXT) | instid1(VALU_DEP_2)
	v_and_b32_e32 v7, 3, v7
	v_cmp_eq_u32_e32 vcc_lo, 0, v4
	s_delay_alu instid0(VALU_DEP_2) | instskip(NEXT) | instid1(VALU_DEP_1)
	v_dual_cndmask_b32 v4, v4, v6 :: v_dual_cndmask_b32 v5, v5, v7
	v_lshl_add_u32 v4, v4, 23, 0x37800000
	s_delay_alu instid0(VALU_DEP_2) | instskip(NEXT) | instid1(VALU_DEP_1)
	v_lshlrev_b32_e32 v5, 21, v5
	v_or3_b32 v3, v3, v4, v5
	s_delay_alu instid0(VALU_DEP_1)
	v_cvt_f64_f32_e32 v[6:7], v3
.LBB8_613:
	s_or_b32 exec_lo, exec_lo, s2
	s_mov_b32 s2, 0
	s_branch .LBB8_617
.LBB8_614:
	s_mov_b32 s3, -1
                                        ; implicit-def: $vgpr6_vgpr7
	s_branch .LBB8_623
.LBB8_615:
	s_mov_b32 s2, -1
                                        ; implicit-def: $vgpr6_vgpr7
	s_branch .LBB8_620
.LBB8_616:
	s_mov_b32 s2, -1
                                        ; implicit-def: $vgpr6_vgpr7
.LBB8_617:
	s_delay_alu instid0(SALU_CYCLE_1)
	s_and_b32 vcc_lo, exec_lo, s2
	s_cbranch_vccz .LBB8_619
; %bb.618:
	global_load_u8 v3, v[1:2], off
	s_waitcnt vmcnt(0)
	v_lshlrev_b32_e32 v3, 24, v3
	s_delay_alu instid0(VALU_DEP_1) | instskip(NEXT) | instid1(VALU_DEP_1)
	v_and_b32_e32 v4, 0x7f000000, v3
	v_clz_i32_u32_e32 v5, v4
	v_add_nc_u32_e32 v7, 0x1000000, v4
	v_cmp_ne_u32_e32 vcc_lo, 0, v4
	s_delay_alu instid0(VALU_DEP_3) | instskip(NEXT) | instid1(VALU_DEP_1)
	v_min_u32_e32 v5, 32, v5
	v_sub_nc_u32_e64 v5, v5, 4 clamp
	s_delay_alu instid0(VALU_DEP_1) | instskip(SKIP_1) | instid1(VALU_DEP_2)
	v_lshlrev_b32_e32 v6, v5, v4
	v_lshlrev_b32_e32 v5, 23, v5
	v_lshrrev_b32_e32 v6, 4, v6
	s_delay_alu instid0(VALU_DEP_1) | instskip(SKIP_1) | instid1(VALU_DEP_2)
	v_sub_nc_u32_e32 v5, v6, v5
	v_ashrrev_i32_e32 v6, 8, v7
	v_add_nc_u32_e32 v5, 0x3c000000, v5
	s_delay_alu instid0(VALU_DEP_1) | instskip(NEXT) | instid1(VALU_DEP_1)
	v_and_or_b32 v5, 0x7f800000, v6, v5
	v_cndmask_b32_e32 v4, 0, v5, vcc_lo
	s_delay_alu instid0(VALU_DEP_1) | instskip(NEXT) | instid1(VALU_DEP_1)
	v_and_or_b32 v3, 0x80000000, v3, v4
	v_cvt_f64_f32_e32 v[6:7], v3
.LBB8_619:
	s_mov_b32 s2, 0
.LBB8_620:
	s_delay_alu instid0(SALU_CYCLE_1)
	s_and_not1_b32 vcc_lo, exec_lo, s2
	s_cbranch_vccnz .LBB8_622
; %bb.621:
	global_load_u8 v3, v[1:2], off
	s_waitcnt vmcnt(0)
	v_lshlrev_b32_e32 v4, 25, v3
	v_lshlrev_b16 v3, 8, v3
	s_delay_alu instid0(VALU_DEP_2) | instskip(NEXT) | instid1(VALU_DEP_2)
	v_lshrrev_b32_e32 v5, 4, v4
	v_and_or_b32 v6, 0x7f00, v3, 0.5
	v_bfe_i32 v3, v3, 0, 16
	s_delay_alu instid0(VALU_DEP_3) | instskip(NEXT) | instid1(VALU_DEP_1)
	v_or_b32_e32 v5, 0x70000000, v5
	v_dual_add_f32 v6, -0.5, v6 :: v_dual_mul_f32 v5, 0x7800000, v5
	v_cmp_gt_u32_e32 vcc_lo, 0x8000000, v4
	s_delay_alu instid0(VALU_DEP_2) | instskip(NEXT) | instid1(VALU_DEP_1)
	v_cndmask_b32_e32 v4, v5, v6, vcc_lo
	v_and_or_b32 v3, 0x80000000, v3, v4
	s_delay_alu instid0(VALU_DEP_1)
	v_cvt_f64_f32_e32 v[6:7], v3
.LBB8_622:
	s_mov_b32 s3, 0
	s_mov_b32 s2, -1
.LBB8_623:
	s_and_not1_b32 vcc_lo, exec_lo, s3
	s_cbranch_vccnz .LBB8_634
; %bb.624:
	v_cmp_lt_i16_e32 vcc_lo, 14, v8
	s_cbranch_vccz .LBB8_627
; %bb.625:
	v_cmp_eq_u16_e32 vcc_lo, 15, v8
	s_cbranch_vccz .LBB8_628
; %bb.626:
	global_load_u16 v3, v[1:2], off
	s_mov_b32 s2, -1
	s_mov_b32 s26, 0
	s_waitcnt vmcnt(0)
	v_lshlrev_b32_e32 v3, 16, v3
	s_delay_alu instid0(VALU_DEP_1)
	v_cvt_f64_f32_e32 v[6:7], v3
	s_branch .LBB8_629
.LBB8_627:
	s_mov_b32 s3, -1
                                        ; implicit-def: $vgpr6_vgpr7
	s_branch .LBB8_630
.LBB8_628:
	s_mov_b32 s26, -1
                                        ; implicit-def: $vgpr6_vgpr7
.LBB8_629:
	s_mov_b32 s3, 0
.LBB8_630:
	s_delay_alu instid0(SALU_CYCLE_1)
	s_and_b32 vcc_lo, exec_lo, s3
	s_cbranch_vccz .LBB8_634
; %bb.631:
	v_cmp_eq_u16_e32 vcc_lo, 11, v8
	s_cbranch_vccz .LBB8_633
; %bb.632:
	global_load_u8 v3, v[1:2], off
	s_waitcnt vmcnt(1)
	v_mov_b32_e32 v6, 0
	s_mov_b32 s26, 0
	s_mov_b32 s2, -1
	s_waitcnt vmcnt(0)
	v_cmp_ne_u16_e32 vcc_lo, 0, v3
	v_cndmask_b32_e64 v7, 0, 0x3ff00000, vcc_lo
	s_branch .LBB8_634
.LBB8_633:
	s_mov_b32 s26, -1
                                        ; implicit-def: $vgpr6_vgpr7
.LBB8_634:
	s_mov_b32 s3, 0
.LBB8_635:
	s_delay_alu instid0(SALU_CYCLE_1)
	s_and_b32 vcc_lo, exec_lo, s3
	s_cbranch_vccz .LBB8_684
; %bb.636:
	v_cmp_gt_i16_e32 vcc_lo, 5, v8
	s_cbranch_vccnz .LBB8_641
; %bb.637:
	v_cmp_gt_i16_e32 vcc_lo, 8, v8
	s_cbranch_vccnz .LBB8_642
	;; [unrolled: 3-line block ×3, first 2 shown]
; %bb.639:
	v_cmp_lt_i16_e32 vcc_lo, 9, v8
	s_cbranch_vccz .LBB8_644
; %bb.640:
	global_load_b64 v[6:7], v[1:2], off
	s_mov_b32 s2, 0
	s_branch .LBB8_645
.LBB8_641:
	s_mov_b32 s2, -1
                                        ; implicit-def: $vgpr6_vgpr7
	s_branch .LBB8_663
.LBB8_642:
	s_mov_b32 s2, -1
                                        ; implicit-def: $vgpr6_vgpr7
	s_branch .LBB8_651
.LBB8_643:
	s_mov_b32 s2, -1
                                        ; implicit-def: $vgpr6_vgpr7
	s_branch .LBB8_648
.LBB8_644:
	s_mov_b32 s2, -1
                                        ; implicit-def: $vgpr6_vgpr7
.LBB8_645:
	s_delay_alu instid0(SALU_CYCLE_1)
	s_and_not1_b32 vcc_lo, exec_lo, s2
	s_cbranch_vccnz .LBB8_647
; %bb.646:
	global_load_b32 v3, v[1:2], off
	s_waitcnt vmcnt(0)
	v_cvt_f64_f32_e32 v[6:7], v3
.LBB8_647:
	s_mov_b32 s2, 0
.LBB8_648:
	s_delay_alu instid0(SALU_CYCLE_1)
	s_and_not1_b32 vcc_lo, exec_lo, s2
	s_cbranch_vccnz .LBB8_650
; %bb.649:
	global_load_b32 v3, v[1:2], off
	s_waitcnt vmcnt(0)
	v_cvt_f32_f16_e32 v3, v3
	s_delay_alu instid0(VALU_DEP_1)
	v_cvt_f64_f32_e32 v[6:7], v3
.LBB8_650:
	s_mov_b32 s2, 0
.LBB8_651:
	s_delay_alu instid0(SALU_CYCLE_1)
	s_and_not1_b32 vcc_lo, exec_lo, s2
	s_cbranch_vccnz .LBB8_662
; %bb.652:
	v_cmp_gt_i16_e32 vcc_lo, 6, v8
	s_cbranch_vccnz .LBB8_655
; %bb.653:
	v_cmp_lt_i16_e32 vcc_lo, 6, v8
	s_cbranch_vccz .LBB8_656
; %bb.654:
	global_load_b64 v[6:7], v[1:2], off
	s_mov_b32 s2, 0
	s_branch .LBB8_657
.LBB8_655:
	s_mov_b32 s2, -1
                                        ; implicit-def: $vgpr6_vgpr7
	s_branch .LBB8_660
.LBB8_656:
	s_mov_b32 s2, -1
                                        ; implicit-def: $vgpr6_vgpr7
.LBB8_657:
	s_delay_alu instid0(SALU_CYCLE_1)
	s_and_not1_b32 vcc_lo, exec_lo, s2
	s_cbranch_vccnz .LBB8_659
; %bb.658:
	global_load_b32 v3, v[1:2], off
	s_waitcnt vmcnt(0)
	v_cvt_f64_f32_e32 v[6:7], v3
.LBB8_659:
	s_mov_b32 s2, 0
.LBB8_660:
	s_delay_alu instid0(SALU_CYCLE_1)
	s_and_not1_b32 vcc_lo, exec_lo, s2
	s_cbranch_vccnz .LBB8_662
; %bb.661:
	global_load_u16 v3, v[1:2], off
	s_waitcnt vmcnt(0)
	v_cvt_f32_f16_e32 v3, v3
	s_delay_alu instid0(VALU_DEP_1)
	v_cvt_f64_f32_e32 v[6:7], v3
.LBB8_662:
	s_mov_b32 s2, 0
.LBB8_663:
	s_delay_alu instid0(SALU_CYCLE_1)
	s_and_not1_b32 vcc_lo, exec_lo, s2
	s_cbranch_vccnz .LBB8_683
; %bb.664:
	v_cmp_gt_i16_e32 vcc_lo, 2, v8
	s_cbranch_vccnz .LBB8_668
; %bb.665:
	v_cmp_gt_i16_e32 vcc_lo, 3, v8
	s_cbranch_vccnz .LBB8_669
; %bb.666:
	v_cmp_lt_i16_e32 vcc_lo, 3, v8
	s_cbranch_vccz .LBB8_670
; %bb.667:
	global_load_b64 v[3:4], v[1:2], off
	s_mov_b32 s2, 0
	s_waitcnt vmcnt(0)
	v_cvt_f64_i32_e32 v[4:5], v4
	v_cvt_f64_u32_e32 v[6:7], v3
	s_delay_alu instid0(VALU_DEP_2) | instskip(NEXT) | instid1(VALU_DEP_1)
	v_ldexp_f64 v[4:5], v[4:5], 32
	v_add_f64 v[6:7], v[4:5], v[6:7]
	s_branch .LBB8_671
.LBB8_668:
	s_mov_b32 s2, -1
                                        ; implicit-def: $vgpr6_vgpr7
	s_branch .LBB8_677
.LBB8_669:
	s_mov_b32 s2, -1
                                        ; implicit-def: $vgpr6_vgpr7
	s_branch .LBB8_674
.LBB8_670:
	s_mov_b32 s2, -1
                                        ; implicit-def: $vgpr6_vgpr7
.LBB8_671:
	s_delay_alu instid0(SALU_CYCLE_1)
	s_and_not1_b32 vcc_lo, exec_lo, s2
	s_cbranch_vccnz .LBB8_673
; %bb.672:
	global_load_b32 v3, v[1:2], off
	s_waitcnt vmcnt(0)
	v_cvt_f64_i32_e32 v[6:7], v3
.LBB8_673:
	s_mov_b32 s2, 0
.LBB8_674:
	s_delay_alu instid0(SALU_CYCLE_1)
	s_and_not1_b32 vcc_lo, exec_lo, s2
	s_cbranch_vccnz .LBB8_676
; %bb.675:
	global_load_i16 v3, v[1:2], off
	s_waitcnt vmcnt(0)
	v_cvt_f64_i32_e32 v[6:7], v3
.LBB8_676:
	s_mov_b32 s2, 0
.LBB8_677:
	s_delay_alu instid0(SALU_CYCLE_1)
	s_and_not1_b32 vcc_lo, exec_lo, s2
	s_cbranch_vccnz .LBB8_683
; %bb.678:
	v_cmp_lt_i16_e32 vcc_lo, 0, v8
	s_mov_b32 s2, 0
	s_cbranch_vccz .LBB8_680
; %bb.679:
	global_load_i8 v3, v[1:2], off
	s_waitcnt vmcnt(0)
	v_cvt_f64_i32_e32 v[6:7], v3
	s_branch .LBB8_681
.LBB8_680:
	s_mov_b32 s2, -1
                                        ; implicit-def: $vgpr6_vgpr7
.LBB8_681:
	s_delay_alu instid0(SALU_CYCLE_1)
	s_and_not1_b32 vcc_lo, exec_lo, s2
	s_cbranch_vccnz .LBB8_683
; %bb.682:
	global_load_u8 v1, v[1:2], off
	s_waitcnt vmcnt(0)
	v_cvt_f64_u32_e32 v[6:7], v1
.LBB8_683:
	s_mov_b32 s2, -1
.LBB8_684:
	s_delay_alu instid0(SALU_CYCLE_1)
	s_and_not1_b32 vcc_lo, exec_lo, s2
	s_cbranch_vccnz .LBB8_694
; %bb.685:
	s_waitcnt vmcnt(0)
	s_delay_alu instid0(VALU_DEP_1) | instskip(SKIP_1) | instid1(VALU_DEP_1)
	v_cvt_f32_f64_e32 v1, v[6:7]
	s_mov_b32 s2, exec_lo
	v_cmpx_nlg_f32_e64 0x7f800000, |v1|
	s_cbranch_execz .LBB8_687
; %bb.686:
	v_dual_mov_b32 v1, 0 :: v_dual_mov_b32 v2, 1.0
	global_store_b32 v1, v2, s[8:9]
.LBB8_687:
	s_or_b32 exec_lo, exec_lo, s2
	v_mov_b32_e32 v1, 0
	v_and_b32_e64 v10, 0xff, s34
	s_mov_b32 s3, 0
	global_load_b32 v4, v1, s[10:11]
	v_cmp_gt_i16_e32 vcc_lo, 11, v10
	s_and_b32 vcc_lo, exec_lo, vcc_lo
	s_waitcnt vmcnt(0)
	v_cvt_f64_f32_e32 v[1:2], v4
	v_cmp_eq_f32_e64 s2, 1.0, v4
	v_add_co_u32 v4, s27, s4, v0
	s_delay_alu instid0(VALU_DEP_1) | instskip(SKIP_1) | instid1(VALU_DEP_4)
	v_add_co_ci_u32_e64 v5, null, s5, 0, s27
	s_mov_b32 s27, -1
	v_mul_f64 v[2:3], v[6:7], v[1:2]
	s_delay_alu instid0(VALU_DEP_1) | instskip(NEXT) | instid1(VALU_DEP_2)
	v_cndmask_b32_e64 v1, v3, v7, s2
	v_cndmask_b32_e64 v0, v2, v6, s2
	s_mov_b32 s2, s43
	s_cbranch_vccnz .LBB8_695
; %bb.688:
	v_cmp_lt_i16_e32 vcc_lo, 25, v10
	s_cbranch_vccz .LBB8_736
; %bb.689:
	v_cmp_lt_i16_e32 vcc_lo, 28, v10
	s_cbranch_vccz .LBB8_737
	;; [unrolled: 3-line block ×4, first 2 shown]
; %bb.692:
	v_cmp_eq_u16_e32 vcc_lo, 46, v10
	s_mov_b32 s27, 0
	s_mov_b32 s2, -1
	s_cbranch_vccz .LBB8_740
; %bb.693:
	v_cvt_f32_f64_e32 v2, v[0:1]
	s_mov_b32 s3, -1
	s_mov_b32 s2, 0
	s_delay_alu instid0(VALU_DEP_1) | instskip(SKIP_1) | instid1(VALU_DEP_2)
	v_bfe_u32 v3, v2, 16, 1
	v_cmp_o_f32_e32 vcc_lo, v2, v2
	v_add3_u32 v3, v2, v3, 0x7fff
	s_delay_alu instid0(VALU_DEP_1) | instskip(NEXT) | instid1(VALU_DEP_1)
	v_lshrrev_b32_e32 v3, 16, v3
	v_cndmask_b32_e32 v2, 0x7fc0, v3, vcc_lo
	global_store_b32 v[4:5], v2, off
	s_branch .LBB8_740
.LBB8_694:
	s_mov_b32 s3, 0
	s_mov_b32 s2, s43
	s_branch .LBB8_735
.LBB8_695:
	s_and_b32 vcc_lo, exec_lo, s27
	s_cbranch_vccz .LBB8_809
; %bb.696:
	v_cmp_gt_i16_e32 vcc_lo, 5, v10
	s_mov_b32 s3, -1
	s_cbranch_vccnz .LBB8_717
; %bb.697:
	v_cmp_gt_i16_e32 vcc_lo, 8, v10
	s_cbranch_vccnz .LBB8_707
; %bb.698:
	v_cmp_gt_i16_e32 vcc_lo, 9, v10
	s_cbranch_vccnz .LBB8_704
; %bb.699:
	v_cmp_lt_i16_e32 vcc_lo, 9, v10
	s_cbranch_vccz .LBB8_701
; %bb.700:
	v_mov_b32_e32 v2, 0
	s_mov_b32 s3, 0
	s_delay_alu instid0(VALU_DEP_1)
	v_mov_b32_e32 v3, v2
	global_store_b128 v[4:5], v[0:3], off
.LBB8_701:
	s_and_not1_b32 vcc_lo, exec_lo, s3
	s_cbranch_vccnz .LBB8_703
; %bb.702:
	v_cvt_f32_f64_e32 v2, v[0:1]
	v_mov_b32_e32 v3, 0
	global_store_b64 v[4:5], v[2:3], off
.LBB8_703:
	s_mov_b32 s3, 0
.LBB8_704:
	s_delay_alu instid0(SALU_CYCLE_1)
	s_and_not1_b32 vcc_lo, exec_lo, s3
	s_cbranch_vccnz .LBB8_706
; %bb.705:
	v_cvt_f32_f64_e32 v2, v[0:1]
	s_delay_alu instid0(VALU_DEP_1) | instskip(NEXT) | instid1(VALU_DEP_1)
	v_cvt_f16_f32_e32 v2, v2
	v_and_b32_e32 v2, 0xffff, v2
	global_store_b32 v[4:5], v2, off
.LBB8_706:
	s_mov_b32 s3, 0
.LBB8_707:
	s_delay_alu instid0(SALU_CYCLE_1)
	s_and_not1_b32 vcc_lo, exec_lo, s3
	s_cbranch_vccnz .LBB8_716
; %bb.708:
	v_cmp_gt_i16_e32 vcc_lo, 6, v10
	s_mov_b32 s3, -1
	s_cbranch_vccnz .LBB8_714
; %bb.709:
	v_cmp_lt_i16_e32 vcc_lo, 6, v10
	s_cbranch_vccz .LBB8_711
; %bb.710:
	s_mov_b32 s3, 0
	global_store_b64 v[4:5], v[0:1], off
.LBB8_711:
	s_and_not1_b32 vcc_lo, exec_lo, s3
	s_cbranch_vccnz .LBB8_713
; %bb.712:
	v_cvt_f32_f64_e32 v2, v[0:1]
	global_store_b32 v[4:5], v2, off
.LBB8_713:
	s_mov_b32 s3, 0
.LBB8_714:
	s_delay_alu instid0(SALU_CYCLE_1)
	s_and_not1_b32 vcc_lo, exec_lo, s3
	s_cbranch_vccnz .LBB8_716
; %bb.715:
	v_cvt_f32_f64_e32 v2, v[0:1]
	s_delay_alu instid0(VALU_DEP_1)
	v_cvt_f16_f32_e32 v2, v2
	global_store_b16 v[4:5], v2, off
.LBB8_716:
	s_mov_b32 s3, 0
.LBB8_717:
	s_delay_alu instid0(SALU_CYCLE_1)
	s_and_not1_b32 vcc_lo, exec_lo, s3
	s_cbranch_vccnz .LBB8_733
; %bb.718:
	v_cmp_gt_i16_e32 vcc_lo, 2, v10
	s_mov_b32 s3, -1
	s_cbranch_vccnz .LBB8_728
; %bb.719:
	v_cmp_gt_i16_e32 vcc_lo, 3, v10
	s_cbranch_vccnz .LBB8_725
; %bb.720:
	v_cmp_lt_i16_e32 vcc_lo, 3, v10
	s_cbranch_vccz .LBB8_722
; %bb.721:
	v_trunc_f64_e32 v[2:3], v[0:1]
	s_mov_b32 s3, 0
	s_delay_alu instid0(VALU_DEP_1) | instskip(NEXT) | instid1(VALU_DEP_1)
	v_ldexp_f64 v[6:7], v[2:3], 0xffffffe0
	v_floor_f64_e32 v[6:7], v[6:7]
	s_delay_alu instid0(VALU_DEP_1) | instskip(SKIP_1) | instid1(VALU_DEP_2)
	v_fma_f64 v[2:3], 0xc1f00000, v[6:7], v[2:3]
	v_cvt_i32_f64_e32 v7, v[6:7]
	v_cvt_u32_f64_e32 v6, v[2:3]
	global_store_b64 v[4:5], v[6:7], off
.LBB8_722:
	s_and_not1_b32 vcc_lo, exec_lo, s3
	s_cbranch_vccnz .LBB8_724
; %bb.723:
	v_cvt_i32_f64_e32 v2, v[0:1]
	global_store_b32 v[4:5], v2, off
.LBB8_724:
	s_mov_b32 s3, 0
.LBB8_725:
	s_delay_alu instid0(SALU_CYCLE_1)
	s_and_not1_b32 vcc_lo, exec_lo, s3
	s_cbranch_vccnz .LBB8_727
; %bb.726:
	v_cvt_i32_f64_e32 v2, v[0:1]
	global_store_b16 v[4:5], v2, off
.LBB8_727:
	s_mov_b32 s3, 0
.LBB8_728:
	s_delay_alu instid0(SALU_CYCLE_1)
	s_and_not1_b32 vcc_lo, exec_lo, s3
	s_cbranch_vccnz .LBB8_733
; %bb.729:
	v_cmp_lt_i16_e32 vcc_lo, 0, v10
	s_mov_b32 s3, -1
	s_cbranch_vccz .LBB8_731
; %bb.730:
	v_cvt_i32_f64_e32 v2, v[0:1]
	s_mov_b32 s3, 0
	global_store_b8 v[4:5], v2, off
.LBB8_731:
	s_and_not1_b32 vcc_lo, exec_lo, s3
	s_cbranch_vccnz .LBB8_733
; %bb.732:
	v_trunc_f64_e32 v[0:1], v[0:1]
	s_delay_alu instid0(VALU_DEP_1) | instskip(NEXT) | instid1(VALU_DEP_1)
	v_ldexp_f64 v[2:3], v[0:1], 0xffffffe0
	v_floor_f64_e32 v[2:3], v[2:3]
	s_delay_alu instid0(VALU_DEP_1) | instskip(NEXT) | instid1(VALU_DEP_1)
	v_fma_f64 v[0:1], 0xc1f00000, v[2:3], v[0:1]
	v_cvt_u32_f64_e32 v0, v[0:1]
	global_store_b8 v[4:5], v0, off
.LBB8_733:
	s_branch .LBB8_810
.LBB8_734:
	s_mov_b32 s3, 0
.LBB8_735:
                                        ; implicit-def: $vgpr9
	s_branch .LBB8_811
.LBB8_736:
	s_mov_b32 s2, s43
	s_branch .LBB8_767
.LBB8_737:
	s_mov_b32 s2, s43
	s_branch .LBB8_750
.LBB8_738:
	s_mov_b32 s2, s43
	s_branch .LBB8_746
.LBB8_739:
	s_mov_b32 s2, s43
.LBB8_740:
	s_and_b32 vcc_lo, exec_lo, s27
	s_cbranch_vccz .LBB8_745
; %bb.741:
	v_cmp_eq_u16_e32 vcc_lo, 44, v10
	s_mov_b32 s2, -1
	s_cbranch_vccz .LBB8_745
; %bb.742:
	v_cvt_f32_f64_e32 v2, v[0:1]
	v_mov_b32_e32 v3, 0xff
	s_mov_b32 s3, exec_lo
	s_delay_alu instid0(VALU_DEP_2) | instskip(NEXT) | instid1(VALU_DEP_1)
	v_bfe_u32 v6, v2, 23, 8
	v_cmpx_ne_u32_e32 0xff, v6
; %bb.743:
	v_and_b32_e32 v3, 0x400000, v2
	v_and_or_b32 v6, 0x3fffff, v2, v6
	v_lshrrev_b32_e32 v2, 23, v2
	s_delay_alu instid0(VALU_DEP_3) | instskip(NEXT) | instid1(VALU_DEP_3)
	v_cmp_ne_u32_e32 vcc_lo, 0, v3
	v_cmp_ne_u32_e64 s2, 0, v6
	s_delay_alu instid0(VALU_DEP_1) | instskip(NEXT) | instid1(SALU_CYCLE_1)
	s_and_b32 s2, vcc_lo, s2
	v_cndmask_b32_e64 v3, 0, 1, s2
	s_delay_alu instid0(VALU_DEP_1)
	v_add_nc_u32_e32 v3, v2, v3
; %bb.744:
	s_or_b32 exec_lo, exec_lo, s3
	s_mov_b32 s3, -1
	s_mov_b32 s2, 0
	global_store_b8 v[4:5], v3, off
.LBB8_745:
	s_mov_b32 s27, 0
.LBB8_746:
	s_delay_alu instid0(SALU_CYCLE_1)
	s_and_b32 vcc_lo, exec_lo, s27
	s_cbranch_vccz .LBB8_749
; %bb.747:
	v_cmp_eq_u16_e32 vcc_lo, 29, v10
	s_mov_b32 s2, -1
	s_cbranch_vccz .LBB8_749
; %bb.748:
	v_trunc_f64_e32 v[2:3], v[0:1]
	s_mov_b32 s3, -1
	s_mov_b32 s2, 0
	s_mov_b32 s27, 0
	s_delay_alu instid0(VALU_DEP_1) | instskip(NEXT) | instid1(VALU_DEP_1)
	v_ldexp_f64 v[6:7], v[2:3], 0xffffffe0
	v_floor_f64_e32 v[6:7], v[6:7]
	s_delay_alu instid0(VALU_DEP_1) | instskip(SKIP_1) | instid1(VALU_DEP_2)
	v_fma_f64 v[2:3], 0xc1f00000, v[6:7], v[2:3]
	v_cvt_u32_f64_e32 v7, v[6:7]
	v_cvt_u32_f64_e32 v6, v[2:3]
	global_store_b64 v[4:5], v[6:7], off
	s_branch .LBB8_750
.LBB8_749:
	s_mov_b32 s27, 0
.LBB8_750:
	s_delay_alu instid0(SALU_CYCLE_1)
	s_and_b32 vcc_lo, exec_lo, s27
	s_cbranch_vccz .LBB8_766
; %bb.751:
	v_cmp_gt_i16_e32 vcc_lo, 27, v10
	s_mov_b32 s3, -1
	s_cbranch_vccnz .LBB8_757
; %bb.752:
	v_cmp_lt_i16_e32 vcc_lo, 27, v10
	s_cbranch_vccz .LBB8_754
; %bb.753:
	v_cvt_u32_f64_e32 v2, v[0:1]
	s_mov_b32 s3, 0
	global_store_b32 v[4:5], v2, off
.LBB8_754:
	s_and_not1_b32 vcc_lo, exec_lo, s3
	s_cbranch_vccnz .LBB8_756
; %bb.755:
	v_cvt_u32_f64_e32 v2, v[0:1]
	global_store_b16 v[4:5], v2, off
.LBB8_756:
	s_mov_b32 s3, 0
.LBB8_757:
	s_delay_alu instid0(SALU_CYCLE_1)
	s_and_not1_b32 vcc_lo, exec_lo, s3
	s_cbranch_vccnz .LBB8_765
; %bb.758:
	v_cvt_f32_f64_e32 v2, v[0:1]
	v_mov_b32_e32 v6, 0x80
	s_mov_b32 s3, exec_lo
	s_delay_alu instid0(VALU_DEP_2) | instskip(NEXT) | instid1(VALU_DEP_1)
	v_and_b32_e32 v3, 0x7fffffff, v2
	v_cmpx_gt_u32_e32 0x43800000, v3
	s_cbranch_execz .LBB8_764
; %bb.759:
	v_cmp_lt_u32_e32 vcc_lo, 0x3bffffff, v3
	s_mov_b32 s27, 0
                                        ; implicit-def: $vgpr3
	s_and_saveexec_b32 s46, vcc_lo
	s_delay_alu instid0(SALU_CYCLE_1)
	s_xor_b32 s46, exec_lo, s46
	s_cbranch_execz .LBB8_838
; %bb.760:
	v_bfe_u32 v3, v2, 20, 1
	s_mov_b32 s27, exec_lo
	s_delay_alu instid0(VALU_DEP_1) | instskip(NEXT) | instid1(VALU_DEP_1)
	v_add3_u32 v3, v2, v3, 0x487ffff
	v_lshrrev_b32_e32 v3, 20, v3
	s_or_saveexec_b32 s46, s46
                                        ; implicit-def: $sgpr47
	s_delay_alu instid0(SALU_CYCLE_1)
	s_xor_b32 exec_lo, exec_lo, s46
	s_cbranch_execnz .LBB8_839
.LBB8_761:
	s_or_b32 exec_lo, exec_lo, s46
	v_mov_b32_e32 v6, s47
	s_and_saveexec_b32 s46, s27
.LBB8_762:
	v_lshrrev_b32_e32 v2, 24, v2
	s_delay_alu instid0(VALU_DEP_1)
	v_and_or_b32 v6, 0x80, v2, v3
.LBB8_763:
	s_or_b32 exec_lo, exec_lo, s46
.LBB8_764:
	s_delay_alu instid0(SALU_CYCLE_1)
	s_or_b32 exec_lo, exec_lo, s3
	global_store_b8 v[4:5], v6, off
.LBB8_765:
	s_mov_b32 s3, -1
.LBB8_766:
	s_mov_b32 s27, 0
.LBB8_767:
	s_delay_alu instid0(SALU_CYCLE_1)
	s_and_b32 vcc_lo, exec_lo, s27
	s_cbranch_vccz .LBB8_808
; %bb.768:
	v_cmp_lt_i16_e32 vcc_lo, 22, v10
	s_mov_b32 s27, -1
	s_cbranch_vccz .LBB8_800
; %bb.769:
	v_cmp_gt_i16_e32 vcc_lo, 24, v10
	s_mov_b32 s3, -1
	s_cbranch_vccnz .LBB8_789
; %bb.770:
	v_cmp_lt_i16_e32 vcc_lo, 24, v10
	s_cbranch_vccz .LBB8_778
; %bb.771:
	v_cvt_f32_f64_e32 v2, v[0:1]
	v_mov_b32_e32 v6, 0x80
	s_mov_b32 s3, exec_lo
	s_delay_alu instid0(VALU_DEP_2) | instskip(NEXT) | instid1(VALU_DEP_1)
	v_and_b32_e32 v3, 0x7fffffff, v2
	v_cmpx_gt_u32_e32 0x47800000, v3
	s_cbranch_execz .LBB8_777
; %bb.772:
	v_cmp_lt_u32_e32 vcc_lo, 0x37ffffff, v3
	s_mov_b32 s27, 0
                                        ; implicit-def: $vgpr3
	s_and_saveexec_b32 s46, vcc_lo
	s_delay_alu instid0(SALU_CYCLE_1)
	s_xor_b32 s46, exec_lo, s46
	s_cbranch_execz .LBB8_841
; %bb.773:
	v_bfe_u32 v3, v2, 21, 1
	s_mov_b32 s27, exec_lo
	s_delay_alu instid0(VALU_DEP_1) | instskip(NEXT) | instid1(VALU_DEP_1)
	v_add3_u32 v3, v2, v3, 0x88fffff
	v_lshrrev_b32_e32 v3, 21, v3
	s_or_saveexec_b32 s46, s46
                                        ; implicit-def: $sgpr47
	s_delay_alu instid0(SALU_CYCLE_1)
	s_xor_b32 exec_lo, exec_lo, s46
	s_cbranch_execnz .LBB8_842
.LBB8_774:
	s_or_b32 exec_lo, exec_lo, s46
	v_mov_b32_e32 v6, s47
	s_and_saveexec_b32 s46, s27
.LBB8_775:
	v_lshrrev_b32_e32 v2, 24, v2
	s_delay_alu instid0(VALU_DEP_1)
	v_and_or_b32 v6, 0x80, v2, v3
.LBB8_776:
	s_or_b32 exec_lo, exec_lo, s46
.LBB8_777:
	s_delay_alu instid0(SALU_CYCLE_1)
	s_or_b32 exec_lo, exec_lo, s3
	s_mov_b32 s3, 0
	global_store_b8 v[4:5], v6, off
.LBB8_778:
	s_and_b32 vcc_lo, exec_lo, s3
	s_cbranch_vccz .LBB8_788
; %bb.779:
	v_cvt_f32_f64_e32 v2, v[0:1]
	s_mov_b32 s3, exec_lo
                                        ; implicit-def: $vgpr3
	s_delay_alu instid0(VALU_DEP_1) | instskip(NEXT) | instid1(VALU_DEP_1)
	v_and_b32_e32 v6, 0x7fffffff, v2
	v_cmpx_gt_u32_e32 0x43f00000, v6
	s_xor_b32 s3, exec_lo, s3
	s_cbranch_execz .LBB8_785
; %bb.780:
	s_mov_b32 s27, exec_lo
                                        ; implicit-def: $vgpr3
	v_cmpx_lt_u32_e32 0x3c7fffff, v6
	s_xor_b32 s27, exec_lo, s27
; %bb.781:
	v_bfe_u32 v3, v2, 20, 1
	s_delay_alu instid0(VALU_DEP_1) | instskip(NEXT) | instid1(VALU_DEP_1)
	v_add3_u32 v3, v2, v3, 0x407ffff
	v_and_b32_e32 v6, 0xff00000, v3
	v_lshrrev_b32_e32 v3, 20, v3
	s_delay_alu instid0(VALU_DEP_2) | instskip(NEXT) | instid1(VALU_DEP_2)
	v_cmp_ne_u32_e32 vcc_lo, 0x7f00000, v6
	v_cndmask_b32_e32 v3, 0x7e, v3, vcc_lo
; %bb.782:
	s_and_not1_saveexec_b32 s27, s27
; %bb.783:
	v_add_f32_e64 v3, 0x46800000, |v2|
; %bb.784:
	s_or_b32 exec_lo, exec_lo, s27
                                        ; implicit-def: $vgpr6
.LBB8_785:
	s_and_not1_saveexec_b32 s3, s3
; %bb.786:
	v_mov_b32_e32 v3, 0x7f
	v_cmp_lt_u32_e32 vcc_lo, 0x7f800000, v6
	s_delay_alu instid0(VALU_DEP_2)
	v_cndmask_b32_e32 v3, 0x7e, v3, vcc_lo
; %bb.787:
	s_or_b32 exec_lo, exec_lo, s3
	v_lshrrev_b32_e32 v2, 24, v2
	s_delay_alu instid0(VALU_DEP_1)
	v_and_or_b32 v2, 0x80, v2, v3
	global_store_b8 v[4:5], v2, off
.LBB8_788:
	s_mov_b32 s3, 0
.LBB8_789:
	s_delay_alu instid0(SALU_CYCLE_1)
	s_and_not1_b32 vcc_lo, exec_lo, s3
	s_cbranch_vccnz .LBB8_799
; %bb.790:
	v_cvt_f32_f64_e32 v2, v[0:1]
	s_mov_b32 s3, exec_lo
                                        ; implicit-def: $vgpr3
	s_delay_alu instid0(VALU_DEP_1) | instskip(NEXT) | instid1(VALU_DEP_1)
	v_and_b32_e32 v6, 0x7fffffff, v2
	v_cmpx_gt_u32_e32 0x47800000, v6
	s_xor_b32 s3, exec_lo, s3
	s_cbranch_execz .LBB8_796
; %bb.791:
	s_mov_b32 s27, exec_lo
                                        ; implicit-def: $vgpr3
	v_cmpx_lt_u32_e32 0x387fffff, v6
	s_xor_b32 s27, exec_lo, s27
; %bb.792:
	v_bfe_u32 v3, v2, 21, 1
	s_delay_alu instid0(VALU_DEP_1) | instskip(NEXT) | instid1(VALU_DEP_1)
	v_add3_u32 v3, v2, v3, 0x80fffff
	v_lshrrev_b32_e32 v3, 21, v3
; %bb.793:
	s_and_not1_saveexec_b32 s27, s27
; %bb.794:
	v_add_f32_e64 v3, 0x43000000, |v2|
; %bb.795:
	s_or_b32 exec_lo, exec_lo, s27
                                        ; implicit-def: $vgpr6
.LBB8_796:
	s_and_not1_saveexec_b32 s3, s3
; %bb.797:
	v_mov_b32_e32 v3, 0x7f
	v_cmp_lt_u32_e32 vcc_lo, 0x7f800000, v6
	s_delay_alu instid0(VALU_DEP_2)
	v_cndmask_b32_e32 v3, 0x7c, v3, vcc_lo
; %bb.798:
	s_or_b32 exec_lo, exec_lo, s3
	v_lshrrev_b32_e32 v2, 24, v2
	s_delay_alu instid0(VALU_DEP_1)
	v_and_or_b32 v2, 0x80, v2, v3
	global_store_b8 v[4:5], v2, off
.LBB8_799:
	s_mov_b32 s27, 0
	s_mov_b32 s3, -1
.LBB8_800:
	s_and_not1_b32 vcc_lo, exec_lo, s27
	s_cbranch_vccnz .LBB8_808
; %bb.801:
	v_cmp_lt_i16_e32 vcc_lo, 14, v10
	s_mov_b32 s27, -1
	s_cbranch_vccz .LBB8_805
; %bb.802:
	v_cmp_eq_u16_e32 vcc_lo, 15, v10
	s_mov_b32 s2, -1
	s_cbranch_vccz .LBB8_804
; %bb.803:
	v_cvt_f32_f64_e32 v2, v[0:1]
	s_mov_b32 s3, -1
	s_mov_b32 s2, 0
	s_delay_alu instid0(VALU_DEP_1) | instskip(SKIP_1) | instid1(VALU_DEP_2)
	v_bfe_u32 v3, v2, 16, 1
	v_cmp_o_f32_e32 vcc_lo, v2, v2
	v_add3_u32 v3, v2, v3, 0x7fff
	s_delay_alu instid0(VALU_DEP_1) | instskip(NEXT) | instid1(VALU_DEP_1)
	v_lshrrev_b32_e32 v3, 16, v3
	v_cndmask_b32_e32 v2, 0x7fc0, v3, vcc_lo
	global_store_b16 v[4:5], v2, off
.LBB8_804:
	s_mov_b32 s27, 0
.LBB8_805:
	s_delay_alu instid0(SALU_CYCLE_1)
	s_and_b32 vcc_lo, exec_lo, s27
	s_cbranch_vccz .LBB8_808
; %bb.806:
	v_cmp_eq_u16_e32 vcc_lo, 11, v10
	s_mov_b32 s2, -1
	s_cbranch_vccz .LBB8_808
; %bb.807:
	v_cmp_neq_f64_e32 vcc_lo, 0, v[0:1]
	s_mov_b32 s3, -1
	s_mov_b32 s2, 0
	v_cndmask_b32_e64 v2, 0, 1, vcc_lo
	global_store_b8 v[4:5], v2, off
.LBB8_808:
.LBB8_809:
	s_and_not1_b32 vcc_lo, exec_lo, s3
	s_cbranch_vccnz .LBB8_734
.LBB8_810:
	v_add_nc_u32_e32 v9, 0x80, v9
	s_mov_b32 s3, -1
.LBB8_811:
	s_and_not1_b32 s27, s43, exec_lo
	s_and_b32 s2, s2, exec_lo
	s_and_not1_b32 s46, s42, exec_lo
	s_and_b32 s26, s26, exec_lo
	s_or_b32 s27, s27, s2
	s_or_b32 s26, s46, s26
	s_or_not1_b32 s47, s3, exec_lo
.LBB8_812:
	s_or_b32 exec_lo, exec_lo, s45
	s_mov_b32 s2, 0
	s_mov_b32 s3, 0
	;; [unrolled: 1-line block ×3, first 2 shown]
                                        ; implicit-def: $vgpr0_vgpr1
                                        ; implicit-def: $vgpr2
                                        ; implicit-def: $vgpr6_vgpr7
	s_and_saveexec_b32 s45, s47
	s_cbranch_execz .LBB8_910
; %bb.813:
	v_cmp_gt_i32_e32 vcc_lo, s36, v9
	s_mov_b32 s47, s26
                                        ; implicit-def: $vgpr0_vgpr1
                                        ; implicit-def: $vgpr2
                                        ; implicit-def: $vgpr6_vgpr7
	s_and_saveexec_b32 s36, vcc_lo
	s_cbranch_execz .LBB8_909
; %bb.814:
	s_and_not1_b32 vcc_lo, exec_lo, s31
	s_cbranch_vccnz .LBB8_819
; %bb.815:
	v_mov_b32_e32 v2, 0
	v_mov_b32_e32 v0, 0
	s_and_not1_b32 vcc_lo, exec_lo, s38
	s_mov_b32 s38, 0
	s_cbranch_vccnz .LBB8_824
; %bb.816:
	v_mov_b32_e32 v2, 0
	s_add_i32 s46, s37, 1
	s_cmp_eq_u32 s29, 2
	s_mov_b32 s37, 0
	s_cbranch_scc1 .LBB8_820
; %bb.817:
	v_dual_mov_b32 v0, 0 :: v_dual_mov_b32 v1, v9
	v_mov_b32_e32 v2, 0
	s_and_b32 s37, s46, 28
	s_mov_b32 s47, 0
	s_mov_b64 s[2:3], s[20:21]
.LBB8_818:                              ; =>This Inner Loop Header: Depth=1
	s_clause 0x1
	s_load_b256 s[48:55], s[2:3], 0x4
	s_load_b128 s[64:67], s[2:3], 0x24
	s_load_b256 s[56:63], s[24:25], 0x0
	s_add_u32 s2, s2, 48
	s_addc_u32 s3, s3, 0
	s_add_i32 s47, s47, 4
	s_add_u32 s24, s24, 32
	s_addc_u32 s25, s25, 0
	s_cmp_eq_u32 s37, s47
	s_waitcnt lgkmcnt(0)
	v_mul_hi_u32 v3, s49, v1
	s_delay_alu instid0(VALU_DEP_1) | instskip(NEXT) | instid1(VALU_DEP_1)
	v_add_nc_u32_e32 v3, v1, v3
	v_lshrrev_b32_e32 v3, s50, v3
	s_delay_alu instid0(VALU_DEP_1) | instskip(SKIP_2) | instid1(VALU_DEP_2)
	v_mul_hi_u32 v4, s52, v3
	s_waitcnt vmcnt(0)
	v_mul_lo_u32 v6, v3, s48
	v_add_nc_u32_e32 v4, v3, v4
	s_delay_alu instid0(VALU_DEP_2) | instskip(NEXT) | instid1(VALU_DEP_2)
	v_sub_nc_u32_e32 v1, v1, v6
	v_lshrrev_b32_e32 v4, s53, v4
	s_delay_alu instid0(VALU_DEP_2) | instskip(SKIP_1) | instid1(VALU_DEP_3)
	v_mul_lo_u32 v6, v1, s56
	v_mul_lo_u32 v10, v1, s57
	v_mul_hi_u32 v5, s55, v4
	s_delay_alu instid0(VALU_DEP_1) | instskip(NEXT) | instid1(VALU_DEP_1)
	v_add_nc_u32_e32 v5, v4, v5
	v_lshrrev_b32_e32 v5, s64, v5
	s_delay_alu instid0(VALU_DEP_1) | instskip(SKIP_1) | instid1(VALU_DEP_2)
	v_mul_hi_u32 v7, s66, v5
	v_mul_lo_u32 v11, v5, s54
	v_add_nc_u32_e32 v1, v5, v7
	v_mul_lo_u32 v7, v4, s51
	s_delay_alu instid0(VALU_DEP_3) | instskip(NEXT) | instid1(VALU_DEP_3)
	v_sub_nc_u32_e32 v4, v4, v11
	v_lshrrev_b32_e32 v1, s67, v1
	s_delay_alu instid0(VALU_DEP_2) | instskip(SKIP_2) | instid1(VALU_DEP_4)
	v_mul_lo_u32 v11, v4, s60
	v_mul_lo_u32 v4, v4, s61
	v_sub_nc_u32_e32 v3, v3, v7
	v_mul_lo_u32 v12, v1, s65
	s_delay_alu instid0(VALU_DEP_2) | instskip(SKIP_1) | instid1(VALU_DEP_3)
	v_mul_lo_u32 v7, v3, s58
	v_mul_lo_u32 v3, v3, s59
	v_sub_nc_u32_e32 v5, v5, v12
	s_delay_alu instid0(VALU_DEP_3) | instskip(NEXT) | instid1(VALU_DEP_2)
	v_add3_u32 v2, v6, v2, v7
	v_mul_lo_u32 v12, v5, s62
	v_mul_lo_u32 v5, v5, s63
	v_add3_u32 v0, v10, v0, v3
	s_delay_alu instid0(VALU_DEP_3) | instskip(NEXT) | instid1(VALU_DEP_2)
	v_add3_u32 v2, v11, v2, v12
	v_add3_u32 v0, v4, v0, v5
	s_cbranch_scc0 .LBB8_818
	s_branch .LBB8_821
.LBB8_819:
	s_mov_b32 s38, -1
                                        ; implicit-def: $vgpr2
                                        ; implicit-def: $vgpr0
	s_branch .LBB8_824
.LBB8_820:
	v_dual_mov_b32 v1, v9 :: v_dual_mov_b32 v0, 0
.LBB8_821:
	s_and_b32 s46, s46, 3
	s_delay_alu instid0(SALU_CYCLE_1)
	s_cmp_eq_u32 s46, 0
	s_cbranch_scc1 .LBB8_824
; %bb.822:
	s_lshl_b32 s2, s37, 3
	s_mul_i32 s24, s37, 12
	s_add_u32 s2, s2, s20
	s_addc_u32 s3, s21, 0
	s_add_u32 s2, s2, 0xc4
	s_addc_u32 s3, s3, 0
	;; [unrolled: 2-line block ×3, first 2 shown]
.LBB8_823:                              ; =>This Inner Loop Header: Depth=1
	s_clause 0x1
	s_load_b64 s[48:49], s[24:25], 0x4
	s_load_b32 s37, s[24:25], 0xc
	s_load_b64 s[50:51], s[2:3], 0x0
	s_add_u32 s24, s24, 12
	s_addc_u32 s25, s25, 0
	s_add_u32 s2, s2, 8
	s_addc_u32 s3, s3, 0
	s_add_i32 s46, s46, -1
	s_delay_alu instid0(SALU_CYCLE_1) | instskip(SKIP_2) | instid1(VALU_DEP_1)
	s_cmp_lg_u32 s46, 0
	s_waitcnt lgkmcnt(0)
	v_mul_hi_u32 v3, s49, v1
	v_add_nc_u32_e32 v3, v1, v3
	s_waitcnt vmcnt(0)
	s_delay_alu instid0(VALU_DEP_1) | instskip(NEXT) | instid1(VALU_DEP_1)
	v_lshrrev_b32_e32 v6, s37, v3
	v_mul_lo_u32 v3, v6, s48
	s_delay_alu instid0(VALU_DEP_1) | instskip(NEXT) | instid1(VALU_DEP_1)
	v_sub_nc_u32_e32 v1, v1, v3
	v_mad_u64_u32 v[3:4], null, v1, s50, v[2:3]
	v_mad_u64_u32 v[4:5], null, v1, s51, v[0:1]
	s_delay_alu instid0(VALU_DEP_2) | instskip(NEXT) | instid1(VALU_DEP_2)
	v_dual_mov_b32 v1, v6 :: v_dual_mov_b32 v2, v3
	v_mov_b32_e32 v0, v4
	s_cbranch_scc1 .LBB8_823
.LBB8_824:
	s_and_not1_b32 vcc_lo, exec_lo, s38
	s_cbranch_vccnz .LBB8_827
; %bb.825:
	v_mul_hi_u32 v0, s17, v9
	s_and_not1_b32 vcc_lo, exec_lo, s35
	s_delay_alu instid0(VALU_DEP_1) | instskip(NEXT) | instid1(VALU_DEP_1)
	v_add_nc_u32_e32 v0, v9, v0
	v_lshrrev_b32_e32 v1, s18, v0
	s_delay_alu instid0(VALU_DEP_1) | instskip(NEXT) | instid1(VALU_DEP_1)
	v_mul_lo_u32 v0, v1, s16
	v_sub_nc_u32_e32 v0, v9, v0
	s_delay_alu instid0(VALU_DEP_1)
	v_mul_lo_u32 v2, v0, s12
	v_mul_lo_u32 v0, v0, s13
	s_cbranch_vccnz .LBB8_827
; %bb.826:
	v_mul_hi_u32 v3, s22, v1
	s_delay_alu instid0(VALU_DEP_1) | instskip(NEXT) | instid1(VALU_DEP_1)
	v_add_nc_u32_e32 v3, v1, v3
	v_lshrrev_b32_e32 v3, s23, v3
	s_delay_alu instid0(VALU_DEP_1) | instskip(NEXT) | instid1(VALU_DEP_1)
	v_mul_lo_u32 v3, v3, s19
	v_sub_nc_u32_e32 v5, v1, v3
	s_delay_alu instid0(VALU_DEP_1) | instskip(SKIP_1) | instid1(VALU_DEP_2)
	v_mad_u64_u32 v[3:4], null, v5, s14, v[2:3]
	v_mad_u64_u32 v[1:2], null, v5, s15, v[0:1]
	v_mov_b32_e32 v2, v3
	s_delay_alu instid0(VALU_DEP_2)
	v_mov_b32_e32 v0, v1
.LBB8_827:
	v_cmp_gt_i16_e32 vcc_lo, 11, v8
	s_delay_alu instid0(VALU_DEP_2) | instskip(NEXT) | instid1(VALU_DEP_1)
	v_add_co_u32 v0, s2, s6, v0
	v_add_co_ci_u32_e64 v1, null, s7, 0, s2
	s_mov_b32 s2, 0
	s_cbranch_vccnz .LBB8_834
; %bb.828:
	v_cmp_lt_i16_e32 vcc_lo, 25, v8
	s_mov_b32 s7, 0
	s_cbranch_vccz .LBB8_835
; %bb.829:
	v_cmp_lt_i16_e32 vcc_lo, 28, v8
	s_cbranch_vccz .LBB8_836
; %bb.830:
	v_cmp_lt_i16_e32 vcc_lo, 43, v8
	;; [unrolled: 3-line block ×3, first 2 shown]
	s_cbranch_vccz .LBB8_840
; %bb.832:
	v_cmp_eq_u16_e32 vcc_lo, 46, v8
	s_mov_b32 s3, 0
	s_cbranch_vccz .LBB8_843
; %bb.833:
	global_load_b32 v3, v[0:1], off
	s_mov_b32 s6, 0
	s_mov_b32 s2, -1
	s_waitcnt vmcnt(0)
	v_lshlrev_b32_e32 v3, 16, v3
	s_delay_alu instid0(VALU_DEP_1)
	v_cvt_f64_f32_e32 v[6:7], v3
	s_branch .LBB8_845
.LBB8_834:
	s_mov_b32 s3, -1
	s_mov_b32 s7, 0
	s_mov_b32 s6, s26
                                        ; implicit-def: $vgpr6_vgpr7
	s_branch .LBB8_908
.LBB8_835:
	s_mov_b32 s3, -1
	s_mov_b32 s6, s26
                                        ; implicit-def: $vgpr6_vgpr7
	s_branch .LBB8_876
.LBB8_836:
	s_mov_b32 s3, -1
	s_mov_b32 s6, s26
                                        ; implicit-def: $vgpr6_vgpr7
	s_branch .LBB8_855
.LBB8_837:
	s_mov_b32 s3, -1
	s_mov_b32 s6, s26
                                        ; implicit-def: $vgpr6_vgpr7
	s_branch .LBB8_850
.LBB8_838:
	s_or_saveexec_b32 s46, s46
                                        ; implicit-def: $sgpr47
	s_delay_alu instid0(SALU_CYCLE_1)
	s_xor_b32 exec_lo, exec_lo, s46
	s_cbranch_execz .LBB8_761
.LBB8_839:
	v_add_f32_e64 v3, 0x46000000, |v2|
	s_and_not1_b32 s27, s27, exec_lo
	s_mov_b32 s47, 0
	s_delay_alu instid0(VALU_DEP_1) | instskip(NEXT) | instid1(VALU_DEP_1)
	v_and_b32_e32 v3, 0xff, v3
	v_cmp_ne_u32_e32 vcc_lo, 0, v3
	s_and_b32 s48, vcc_lo, exec_lo
	s_delay_alu instid0(SALU_CYCLE_1)
	s_or_b32 s27, s27, s48
	s_or_b32 exec_lo, exec_lo, s46
	v_mov_b32_e32 v6, s47
	s_and_saveexec_b32 s46, s27
	s_cbranch_execnz .LBB8_762
	s_branch .LBB8_763
.LBB8_840:
	s_mov_b32 s3, -1
	s_mov_b32 s6, s26
	s_branch .LBB8_844
.LBB8_841:
	s_or_saveexec_b32 s46, s46
                                        ; implicit-def: $sgpr47
	s_delay_alu instid0(SALU_CYCLE_1)
	s_xor_b32 exec_lo, exec_lo, s46
	s_cbranch_execz .LBB8_774
.LBB8_842:
	v_add_f32_e64 v3, 0x42800000, |v2|
	s_and_not1_b32 s27, s27, exec_lo
	s_mov_b32 s47, 0
	s_delay_alu instid0(VALU_DEP_1) | instskip(NEXT) | instid1(VALU_DEP_1)
	v_and_b32_e32 v3, 0xff, v3
	v_cmp_ne_u32_e32 vcc_lo, 0, v3
	s_and_b32 s48, vcc_lo, exec_lo
	s_delay_alu instid0(SALU_CYCLE_1)
	s_or_b32 s27, s27, s48
	s_or_b32 exec_lo, exec_lo, s46
	v_mov_b32_e32 v6, s47
	s_and_saveexec_b32 s46, s27
	s_cbranch_execnz .LBB8_775
	s_branch .LBB8_776
.LBB8_843:
	s_mov_b32 s6, -1
.LBB8_844:
                                        ; implicit-def: $vgpr6_vgpr7
.LBB8_845:
	s_and_b32 vcc_lo, exec_lo, s3
	s_cbranch_vccz .LBB8_849
; %bb.846:
	v_cmp_eq_u16_e32 vcc_lo, 44, v8
	s_cbranch_vccz .LBB8_848
; %bb.847:
	global_load_u8 v5, v[0:1], off
	s_mov_b32 s6, 0
	s_mov_b32 s2, -1
	s_waitcnt vmcnt(0)
	v_cmp_ne_u32_e32 vcc_lo, 0xff, v5
	v_lshlrev_b32_e32 v3, 23, v5
	s_delay_alu instid0(VALU_DEP_1) | instskip(NEXT) | instid1(VALU_DEP_1)
	v_cvt_f64_f32_e32 v[3:4], v3
	v_cndmask_b32_e32 v4, 0x7ff80000, v4, vcc_lo
	s_delay_alu instid0(VALU_DEP_2) | instskip(SKIP_1) | instid1(VALU_DEP_3)
	v_cndmask_b32_e32 v3, 0x20000000, v3, vcc_lo
	v_cmp_ne_u32_e32 vcc_lo, 0, v5
	v_cndmask_b32_e32 v7, 0x38000000, v4, vcc_lo
	s_delay_alu instid0(VALU_DEP_3)
	v_cndmask_b32_e32 v6, 0, v3, vcc_lo
	s_branch .LBB8_849
.LBB8_848:
	s_mov_b32 s6, -1
                                        ; implicit-def: $vgpr6_vgpr7
.LBB8_849:
	s_mov_b32 s3, 0
.LBB8_850:
	s_delay_alu instid0(SALU_CYCLE_1)
	s_and_b32 vcc_lo, exec_lo, s3
	s_cbranch_vccz .LBB8_854
; %bb.851:
	v_cmp_eq_u16_e32 vcc_lo, 29, v8
	s_cbranch_vccz .LBB8_853
; %bb.852:
	global_load_b64 v[3:4], v[0:1], off
	s_mov_b32 s6, 0
	s_mov_b32 s2, -1
	s_mov_b32 s3, 0
	s_waitcnt vmcnt(0)
	v_cvt_f64_u32_e32 v[4:5], v4
	v_cvt_f64_u32_e32 v[6:7], v3
	s_delay_alu instid0(VALU_DEP_2) | instskip(NEXT) | instid1(VALU_DEP_1)
	v_ldexp_f64 v[4:5], v[4:5], 32
	v_add_f64 v[6:7], v[4:5], v[6:7]
	s_branch .LBB8_855
.LBB8_853:
	s_mov_b32 s6, -1
                                        ; implicit-def: $vgpr6_vgpr7
.LBB8_854:
	s_mov_b32 s3, 0
.LBB8_855:
	s_delay_alu instid0(SALU_CYCLE_1)
	s_and_b32 vcc_lo, exec_lo, s3
	s_cbranch_vccz .LBB8_875
; %bb.856:
	v_cmp_gt_i16_e32 vcc_lo, 27, v8
	s_cbranch_vccnz .LBB8_859
; %bb.857:
	v_cmp_lt_i16_e32 vcc_lo, 27, v8
	s_cbranch_vccz .LBB8_860
; %bb.858:
	global_load_b32 v3, v[0:1], off
	s_mov_b32 s2, 0
	s_waitcnt vmcnt(0)
	v_cvt_f64_u32_e32 v[6:7], v3
	s_branch .LBB8_861
.LBB8_859:
	s_mov_b32 s2, -1
                                        ; implicit-def: $vgpr6_vgpr7
	s_branch .LBB8_864
.LBB8_860:
	s_mov_b32 s2, -1
                                        ; implicit-def: $vgpr6_vgpr7
.LBB8_861:
	s_delay_alu instid0(SALU_CYCLE_1)
	s_and_not1_b32 vcc_lo, exec_lo, s2
	s_cbranch_vccnz .LBB8_863
; %bb.862:
	global_load_u16 v3, v[0:1], off
	s_waitcnt vmcnt(0)
	v_cvt_f64_u32_e32 v[6:7], v3
.LBB8_863:
	s_mov_b32 s2, 0
.LBB8_864:
	s_delay_alu instid0(SALU_CYCLE_1)
	s_and_not1_b32 vcc_lo, exec_lo, s2
	s_cbranch_vccnz .LBB8_874
; %bb.865:
	global_load_u8 v3, v[0:1], off
	s_mov_b32 s12, 0
	s_mov_b32 s13, exec_lo
                                        ; implicit-def: $sgpr2_sgpr3
	s_waitcnt vmcnt(0)
	v_cmpx_lt_i16_e32 0x7f, v3
	s_xor_b32 s13, exec_lo, s13
	s_cbranch_execz .LBB8_869
; %bb.866:
	s_mov_b32 s14, -1
	s_mov_b32 s12, exec_lo
                                        ; implicit-def: $sgpr2_sgpr3
	v_cmpx_eq_u16_e32 0x80, v3
; %bb.867:
	s_mov_b32 s3, 0x7ff80000
	s_brev_b32 s2, 4
	s_xor_b32 s14, exec_lo, -1
; %bb.868:
	s_or_b32 exec_lo, exec_lo, s12
	s_delay_alu instid0(SALU_CYCLE_1)
	s_and_b32 s12, s14, exec_lo
.LBB8_869:
	s_or_saveexec_b32 s13, s13
	v_dual_mov_b32 v7, s3 :: v_dual_mov_b32 v6, s2
	s_xor_b32 exec_lo, exec_lo, s13
; %bb.870:
	v_cmp_ne_u16_e32 vcc_lo, 0, v3
	v_mov_b32_e32 v6, 0
	v_mov_b32_e32 v7, 0
	s_and_not1_b32 s2, s12, exec_lo
	s_and_b32 s3, vcc_lo, exec_lo
	s_delay_alu instid0(SALU_CYCLE_1)
	s_or_b32 s12, s2, s3
; %bb.871:
	s_or_b32 exec_lo, exec_lo, s13
	s_and_saveexec_b32 s2, s12
	s_cbranch_execz .LBB8_873
; %bb.872:
	v_and_b32_e32 v4, 0xffff, v3
	v_lshlrev_b32_e32 v3, 24, v3
	s_delay_alu instid0(VALU_DEP_2) | instskip(NEXT) | instid1(VALU_DEP_2)
	v_and_b32_e32 v5, 7, v4
	v_and_b32_e32 v3, 0x80000000, v3
	s_delay_alu instid0(VALU_DEP_2) | instskip(NEXT) | instid1(VALU_DEP_1)
	v_clz_i32_u32_e32 v6, v5
	v_min_u32_e32 v6, 32, v6
	s_delay_alu instid0(VALU_DEP_1) | instskip(SKIP_1) | instid1(VALU_DEP_2)
	v_subrev_nc_u32_e32 v7, 28, v6
	v_sub_nc_u32_e32 v6, 29, v6
	v_lshlrev_b32_e32 v7, v7, v4
	v_bfe_u32 v4, v4, 3, 4
	s_delay_alu instid0(VALU_DEP_2) | instskip(NEXT) | instid1(VALU_DEP_2)
	v_and_b32_e32 v7, 7, v7
	v_cmp_eq_u32_e32 vcc_lo, 0, v4
	s_delay_alu instid0(VALU_DEP_2) | instskip(NEXT) | instid1(VALU_DEP_1)
	v_dual_cndmask_b32 v4, v4, v6 :: v_dual_cndmask_b32 v5, v5, v7
	v_lshl_add_u32 v4, v4, 23, 0x3b800000
	s_delay_alu instid0(VALU_DEP_2) | instskip(NEXT) | instid1(VALU_DEP_1)
	v_lshlrev_b32_e32 v5, 20, v5
	v_or3_b32 v3, v3, v4, v5
	s_delay_alu instid0(VALU_DEP_1)
	v_cvt_f64_f32_e32 v[6:7], v3
.LBB8_873:
	s_or_b32 exec_lo, exec_lo, s2
.LBB8_874:
	s_mov_b32 s2, -1
.LBB8_875:
	s_mov_b32 s3, 0
.LBB8_876:
	s_delay_alu instid0(SALU_CYCLE_1)
	s_and_b32 vcc_lo, exec_lo, s3
	s_cbranch_vccz .LBB8_907
; %bb.877:
	v_cmp_lt_i16_e32 vcc_lo, 22, v8
	s_cbranch_vccz .LBB8_889
; %bb.878:
	v_cmp_gt_i16_e32 vcc_lo, 24, v8
	s_cbranch_vccnz .LBB8_890
; %bb.879:
	v_cmp_lt_i16_e32 vcc_lo, 24, v8
	s_cbranch_vccz .LBB8_891
; %bb.880:
	global_load_u8 v3, v[0:1], off
	s_mov_b32 s12, exec_lo
                                        ; implicit-def: $sgpr2_sgpr3
	s_waitcnt vmcnt(0)
	v_cmpx_lt_i16_e32 0x7f, v3
	s_xor_b32 s12, exec_lo, s12
	s_cbranch_execz .LBB8_884
; %bb.881:
	s_mov_b32 s13, -1
	s_mov_b32 s7, exec_lo
                                        ; implicit-def: $sgpr2_sgpr3
	v_cmpx_eq_u16_e32 0x80, v3
; %bb.882:
	s_mov_b32 s3, 0x7ff80000
	s_brev_b32 s2, 4
	s_xor_b32 s13, exec_lo, -1
; %bb.883:
	s_or_b32 exec_lo, exec_lo, s7
	s_delay_alu instid0(SALU_CYCLE_1)
	s_and_b32 s7, s13, exec_lo
.LBB8_884:
	s_or_saveexec_b32 s12, s12
	v_dual_mov_b32 v7, s3 :: v_dual_mov_b32 v6, s2
	s_xor_b32 exec_lo, exec_lo, s12
; %bb.885:
	v_cmp_ne_u16_e32 vcc_lo, 0, v3
	v_mov_b32_e32 v6, 0
	v_mov_b32_e32 v7, 0
	s_and_not1_b32 s2, s7, exec_lo
	s_and_b32 s3, vcc_lo, exec_lo
	s_delay_alu instid0(SALU_CYCLE_1)
	s_or_b32 s7, s2, s3
; %bb.886:
	s_or_b32 exec_lo, exec_lo, s12
	s_and_saveexec_b32 s2, s7
	s_cbranch_execz .LBB8_888
; %bb.887:
	v_and_b32_e32 v4, 0xffff, v3
	v_lshlrev_b32_e32 v3, 24, v3
	s_delay_alu instid0(VALU_DEP_2) | instskip(NEXT) | instid1(VALU_DEP_2)
	v_and_b32_e32 v5, 3, v4
	v_and_b32_e32 v3, 0x80000000, v3
	s_delay_alu instid0(VALU_DEP_2) | instskip(NEXT) | instid1(VALU_DEP_1)
	v_clz_i32_u32_e32 v6, v5
	v_min_u32_e32 v6, 32, v6
	s_delay_alu instid0(VALU_DEP_1) | instskip(SKIP_1) | instid1(VALU_DEP_2)
	v_subrev_nc_u32_e32 v7, 29, v6
	v_sub_nc_u32_e32 v6, 30, v6
	v_lshlrev_b32_e32 v7, v7, v4
	v_bfe_u32 v4, v4, 2, 5
	s_delay_alu instid0(VALU_DEP_2) | instskip(NEXT) | instid1(VALU_DEP_2)
	v_and_b32_e32 v7, 3, v7
	v_cmp_eq_u32_e32 vcc_lo, 0, v4
	s_delay_alu instid0(VALU_DEP_2) | instskip(NEXT) | instid1(VALU_DEP_1)
	v_dual_cndmask_b32 v4, v4, v6 :: v_dual_cndmask_b32 v5, v5, v7
	v_lshl_add_u32 v4, v4, 23, 0x37800000
	s_delay_alu instid0(VALU_DEP_2) | instskip(NEXT) | instid1(VALU_DEP_1)
	v_lshlrev_b32_e32 v5, 21, v5
	v_or3_b32 v3, v3, v4, v5
	s_delay_alu instid0(VALU_DEP_1)
	v_cvt_f64_f32_e32 v[6:7], v3
.LBB8_888:
	s_or_b32 exec_lo, exec_lo, s2
	s_mov_b32 s2, 0
	s_branch .LBB8_892
.LBB8_889:
	s_mov_b32 s3, -1
                                        ; implicit-def: $vgpr6_vgpr7
	s_branch .LBB8_898
.LBB8_890:
	s_mov_b32 s2, -1
                                        ; implicit-def: $vgpr6_vgpr7
	s_branch .LBB8_895
.LBB8_891:
	s_mov_b32 s2, -1
                                        ; implicit-def: $vgpr6_vgpr7
.LBB8_892:
	s_delay_alu instid0(SALU_CYCLE_1)
	s_and_b32 vcc_lo, exec_lo, s2
	s_cbranch_vccz .LBB8_894
; %bb.893:
	global_load_u8 v3, v[0:1], off
	s_waitcnt vmcnt(0)
	v_lshlrev_b32_e32 v3, 24, v3
	s_delay_alu instid0(VALU_DEP_1) | instskip(NEXT) | instid1(VALU_DEP_1)
	v_and_b32_e32 v4, 0x7f000000, v3
	v_clz_i32_u32_e32 v5, v4
	v_add_nc_u32_e32 v7, 0x1000000, v4
	v_cmp_ne_u32_e32 vcc_lo, 0, v4
	s_delay_alu instid0(VALU_DEP_3) | instskip(NEXT) | instid1(VALU_DEP_1)
	v_min_u32_e32 v5, 32, v5
	v_sub_nc_u32_e64 v5, v5, 4 clamp
	s_delay_alu instid0(VALU_DEP_1) | instskip(SKIP_1) | instid1(VALU_DEP_2)
	v_lshlrev_b32_e32 v6, v5, v4
	v_lshlrev_b32_e32 v5, 23, v5
	v_lshrrev_b32_e32 v6, 4, v6
	s_delay_alu instid0(VALU_DEP_1) | instskip(SKIP_1) | instid1(VALU_DEP_2)
	v_sub_nc_u32_e32 v5, v6, v5
	v_ashrrev_i32_e32 v6, 8, v7
	v_add_nc_u32_e32 v5, 0x3c000000, v5
	s_delay_alu instid0(VALU_DEP_1) | instskip(NEXT) | instid1(VALU_DEP_1)
	v_and_or_b32 v5, 0x7f800000, v6, v5
	v_cndmask_b32_e32 v4, 0, v5, vcc_lo
	s_delay_alu instid0(VALU_DEP_1) | instskip(NEXT) | instid1(VALU_DEP_1)
	v_and_or_b32 v3, 0x80000000, v3, v4
	v_cvt_f64_f32_e32 v[6:7], v3
.LBB8_894:
	s_mov_b32 s2, 0
.LBB8_895:
	s_delay_alu instid0(SALU_CYCLE_1)
	s_and_not1_b32 vcc_lo, exec_lo, s2
	s_cbranch_vccnz .LBB8_897
; %bb.896:
	global_load_u8 v3, v[0:1], off
	s_waitcnt vmcnt(0)
	v_lshlrev_b32_e32 v4, 25, v3
	v_lshlrev_b16 v3, 8, v3
	s_delay_alu instid0(VALU_DEP_2) | instskip(NEXT) | instid1(VALU_DEP_2)
	v_lshrrev_b32_e32 v5, 4, v4
	v_and_or_b32 v6, 0x7f00, v3, 0.5
	v_bfe_i32 v3, v3, 0, 16
	s_delay_alu instid0(VALU_DEP_3) | instskip(NEXT) | instid1(VALU_DEP_1)
	v_or_b32_e32 v5, 0x70000000, v5
	v_dual_add_f32 v6, -0.5, v6 :: v_dual_mul_f32 v5, 0x7800000, v5
	v_cmp_gt_u32_e32 vcc_lo, 0x8000000, v4
	s_delay_alu instid0(VALU_DEP_2) | instskip(NEXT) | instid1(VALU_DEP_1)
	v_cndmask_b32_e32 v4, v5, v6, vcc_lo
	v_and_or_b32 v3, 0x80000000, v3, v4
	s_delay_alu instid0(VALU_DEP_1)
	v_cvt_f64_f32_e32 v[6:7], v3
.LBB8_897:
	s_mov_b32 s3, 0
	s_mov_b32 s2, -1
.LBB8_898:
	s_and_not1_b32 vcc_lo, exec_lo, s3
	s_mov_b32 s7, 0
	s_cbranch_vccnz .LBB8_907
; %bb.899:
	v_cmp_lt_i16_e32 vcc_lo, 14, v8
	s_cbranch_vccz .LBB8_902
; %bb.900:
	v_cmp_eq_u16_e32 vcc_lo, 15, v8
	s_cbranch_vccz .LBB8_903
; %bb.901:
	global_load_u16 v3, v[0:1], off
	s_mov_b32 s6, 0
	s_mov_b32 s2, -1
	s_waitcnt vmcnt(0)
	v_lshlrev_b32_e32 v3, 16, v3
	s_delay_alu instid0(VALU_DEP_1)
	v_cvt_f64_f32_e32 v[6:7], v3
	s_branch .LBB8_904
.LBB8_902:
	s_mov_b32 s3, -1
                                        ; implicit-def: $vgpr6_vgpr7
	s_branch .LBB8_905
.LBB8_903:
	s_mov_b32 s6, -1
                                        ; implicit-def: $vgpr6_vgpr7
.LBB8_904:
	s_mov_b32 s3, 0
.LBB8_905:
	s_delay_alu instid0(SALU_CYCLE_1)
	s_and_b32 vcc_lo, exec_lo, s3
	s_cbranch_vccz .LBB8_907
; %bb.906:
	v_cmp_ne_u16_e32 vcc_lo, 11, v8
	s_and_not1_b32 s3, s6, exec_lo
	s_mov_b32 s7, -1
                                        ; implicit-def: $vgpr6_vgpr7
	s_and_b32 s6, vcc_lo, exec_lo
	s_delay_alu instid0(SALU_CYCLE_1)
	s_or_b32 s6, s3, s6
.LBB8_907:
	s_mov_b32 s3, 0
.LBB8_908:
	s_and_not1_b32 s12, s26, exec_lo
	s_and_b32 s6, s6, exec_lo
	s_and_b32 s46, s2, exec_lo
	;; [unrolled: 1-line block ×4, first 2 shown]
	s_or_b32 s47, s12, s6
.LBB8_909:
	s_or_b32 exec_lo, exec_lo, s36
	s_delay_alu instid0(SALU_CYCLE_1)
	s_and_not1_b32 s6, s26, exec_lo
	s_and_b32 s7, s47, exec_lo
	s_and_b32 s46, s46, exec_lo
	s_and_b32 s3, s3, exec_lo
	s_and_b32 s2, s2, exec_lo
	s_or_b32 s26, s6, s7
.LBB8_910:
	s_or_b32 exec_lo, exec_lo, s45
	s_delay_alu instid0(SALU_CYCLE_1)
	s_and_not1_b32 s6, s43, exec_lo
	s_and_b32 s7, s27, exec_lo
	s_and_b32 s45, s46, exec_lo
	s_or_b32 s43, s6, s7
	s_and_not1_b32 s6, s42, exec_lo
	s_and_b32 s7, s26, exec_lo
	s_and_b32 s27, s3, exec_lo
	;; [unrolled: 1-line block ×3, first 2 shown]
	s_or_b32 s42, s6, s7
.LBB8_911:
	s_or_b32 exec_lo, exec_lo, s44
	s_delay_alu instid0(SALU_CYCLE_1)
	s_and_not1_b32 s2, s39, exec_lo
	s_and_b32 s6, s43, exec_lo
	s_and_b32 s7, s42, exec_lo
	s_or_b32 s39, s2, s6
	s_and_not1_b32 s6, s40, exec_lo
	s_and_b32 s2, s45, exec_lo
	s_and_b32 s26, s27, exec_lo
	;; [unrolled: 1-line block ×3, first 2 shown]
	s_or_b32 s40, s6, s7
.LBB8_912:
	s_or_b32 exec_lo, exec_lo, s41
	s_mov_b32 s3, 0
	s_and_saveexec_b32 s6, s40
	s_cbranch_execnz .LBB8_924
; %bb.913:
	s_or_b32 exec_lo, exec_lo, s6
	s_and_saveexec_b32 s6, s42
	s_delay_alu instid0(SALU_CYCLE_1)
	s_xor_b32 s6, exec_lo, s6
	s_cbranch_execz .LBB8_915
.LBB8_914:
	global_load_u8 v3, v[0:1], off
	s_waitcnt vmcnt(1)
	v_mov_b32_e32 v6, 0
	s_or_b32 s2, s2, exec_lo
	s_waitcnt vmcnt(0)
	v_cmp_ne_u16_e32 vcc_lo, 0, v3
	v_cndmask_b32_e64 v7, 0, 0x3ff00000, vcc_lo
.LBB8_915:
	s_or_b32 exec_lo, exec_lo, s6
	s_and_saveexec_b32 s6, s26
	s_cbranch_execz .LBB8_963
; %bb.916:
	v_cmp_gt_i16_e32 vcc_lo, 5, v8
	s_cbranch_vccnz .LBB8_921
; %bb.917:
	v_cmp_gt_i16_e32 vcc_lo, 8, v8
	s_cbranch_vccnz .LBB8_922
	;; [unrolled: 3-line block ×3, first 2 shown]
; %bb.919:
	v_cmp_lt_i16_e32 vcc_lo, 9, v8
	s_cbranch_vccz .LBB8_926
; %bb.920:
	global_load_b64 v[6:7], v[0:1], off
	s_mov_b32 s7, 0
	s_branch .LBB8_927
.LBB8_921:
                                        ; implicit-def: $vgpr6_vgpr7
	s_branch .LBB8_944
.LBB8_922:
                                        ; implicit-def: $vgpr6_vgpr7
	s_branch .LBB8_933
.LBB8_923:
	s_mov_b32 s7, -1
                                        ; implicit-def: $vgpr6_vgpr7
	s_branch .LBB8_930
.LBB8_924:
	s_cbranch_execnz .LBB8_1196
; %bb.925:
	s_mov_b32 s3, exec_lo
	s_and_not1_b32 s42, s42, exec_lo
                                        ; implicit-def: $vgpr6_vgpr7
	s_or_b32 exec_lo, exec_lo, s6
	s_and_saveexec_b32 s6, s42
	s_delay_alu instid0(SALU_CYCLE_1)
	s_xor_b32 s6, exec_lo, s6
	s_cbranch_execnz .LBB8_914
	s_branch .LBB8_915
.LBB8_926:
	s_mov_b32 s7, -1
                                        ; implicit-def: $vgpr6_vgpr7
.LBB8_927:
	s_delay_alu instid0(SALU_CYCLE_1)
	s_and_not1_b32 vcc_lo, exec_lo, s7
	s_cbranch_vccnz .LBB8_929
; %bb.928:
	global_load_b32 v3, v[0:1], off
	s_waitcnt vmcnt(0)
	v_cvt_f64_f32_e32 v[6:7], v3
.LBB8_929:
	s_mov_b32 s7, 0
.LBB8_930:
	s_delay_alu instid0(SALU_CYCLE_1)
	s_and_not1_b32 vcc_lo, exec_lo, s7
	s_cbranch_vccnz .LBB8_932
; %bb.931:
	global_load_b32 v3, v[0:1], off
	s_waitcnt vmcnt(0)
	v_cvt_f32_f16_e32 v3, v3
	s_delay_alu instid0(VALU_DEP_1)
	v_cvt_f64_f32_e32 v[6:7], v3
.LBB8_932:
	s_cbranch_execnz .LBB8_943
.LBB8_933:
	v_cmp_gt_i16_e32 vcc_lo, 6, v8
	s_cbranch_vccnz .LBB8_936
; %bb.934:
	v_cmp_lt_i16_e32 vcc_lo, 6, v8
	s_cbranch_vccz .LBB8_937
; %bb.935:
	global_load_b64 v[6:7], v[0:1], off
	s_mov_b32 s7, 0
	s_branch .LBB8_938
.LBB8_936:
	s_mov_b32 s7, -1
                                        ; implicit-def: $vgpr6_vgpr7
	s_branch .LBB8_941
.LBB8_937:
	s_mov_b32 s7, -1
                                        ; implicit-def: $vgpr6_vgpr7
.LBB8_938:
	s_delay_alu instid0(SALU_CYCLE_1)
	s_and_not1_b32 vcc_lo, exec_lo, s7
	s_cbranch_vccnz .LBB8_940
; %bb.939:
	global_load_b32 v3, v[0:1], off
	s_waitcnt vmcnt(0)
	v_cvt_f64_f32_e32 v[6:7], v3
.LBB8_940:
	s_mov_b32 s7, 0
.LBB8_941:
	s_delay_alu instid0(SALU_CYCLE_1)
	s_and_not1_b32 vcc_lo, exec_lo, s7
	s_cbranch_vccnz .LBB8_943
; %bb.942:
	global_load_u16 v3, v[0:1], off
	s_waitcnt vmcnt(0)
	v_cvt_f32_f16_e32 v3, v3
	s_delay_alu instid0(VALU_DEP_1)
	v_cvt_f64_f32_e32 v[6:7], v3
.LBB8_943:
	s_cbranch_execnz .LBB8_962
.LBB8_944:
	v_cmp_gt_i16_e32 vcc_lo, 2, v8
	s_cbranch_vccnz .LBB8_948
; %bb.945:
	v_cmp_gt_i16_e32 vcc_lo, 3, v8
	s_cbranch_vccnz .LBB8_949
; %bb.946:
	v_cmp_lt_i16_e32 vcc_lo, 3, v8
	s_cbranch_vccz .LBB8_950
; %bb.947:
	global_load_b64 v[3:4], v[0:1], off
	s_mov_b32 s7, 0
	s_waitcnt vmcnt(0)
	v_cvt_f64_i32_e32 v[4:5], v4
	v_cvt_f64_u32_e32 v[6:7], v3
	s_delay_alu instid0(VALU_DEP_2) | instskip(NEXT) | instid1(VALU_DEP_1)
	v_ldexp_f64 v[4:5], v[4:5], 32
	v_add_f64 v[6:7], v[4:5], v[6:7]
	s_branch .LBB8_951
.LBB8_948:
                                        ; implicit-def: $vgpr6_vgpr7
	s_branch .LBB8_957
.LBB8_949:
	s_mov_b32 s7, -1
                                        ; implicit-def: $vgpr6_vgpr7
	s_branch .LBB8_954
.LBB8_950:
	s_mov_b32 s7, -1
                                        ; implicit-def: $vgpr6_vgpr7
.LBB8_951:
	s_delay_alu instid0(SALU_CYCLE_1)
	s_and_not1_b32 vcc_lo, exec_lo, s7
	s_cbranch_vccnz .LBB8_953
; %bb.952:
	global_load_b32 v3, v[0:1], off
	s_waitcnt vmcnt(0)
	v_cvt_f64_i32_e32 v[6:7], v3
.LBB8_953:
	s_mov_b32 s7, 0
.LBB8_954:
	s_delay_alu instid0(SALU_CYCLE_1)
	s_and_not1_b32 vcc_lo, exec_lo, s7
	s_cbranch_vccnz .LBB8_956
; %bb.955:
	global_load_i16 v3, v[0:1], off
	s_waitcnt vmcnt(0)
	v_cvt_f64_i32_e32 v[6:7], v3
.LBB8_956:
	s_cbranch_execnz .LBB8_962
.LBB8_957:
	v_cmp_lt_i16_e32 vcc_lo, 0, v8
	s_mov_b32 s7, 0
	s_cbranch_vccz .LBB8_959
; %bb.958:
	global_load_i8 v3, v[0:1], off
	s_waitcnt vmcnt(0)
	v_cvt_f64_i32_e32 v[6:7], v3
	s_branch .LBB8_960
.LBB8_959:
	s_mov_b32 s7, -1
                                        ; implicit-def: $vgpr6_vgpr7
.LBB8_960:
	s_delay_alu instid0(SALU_CYCLE_1)
	s_and_not1_b32 vcc_lo, exec_lo, s7
	s_cbranch_vccnz .LBB8_962
; %bb.961:
	global_load_u8 v0, v[0:1], off
	s_waitcnt vmcnt(0)
	v_cvt_f64_u32_e32 v[6:7], v0
.LBB8_962:
	s_or_b32 s2, s2, exec_lo
.LBB8_963:
	s_or_b32 exec_lo, exec_lo, s6
	s_mov_b32 s12, 0
	s_mov_b32 s7, 0
                                        ; implicit-def: $vgpr8
                                        ; implicit-def: $vgpr4_vgpr5
                                        ; implicit-def: $vgpr0_vgpr1
	s_and_saveexec_b32 s6, s2
	s_cbranch_execz .LBB8_1042
; %bb.964:
	s_waitcnt vmcnt(0)
	s_delay_alu instid0(VALU_DEP_1) | instskip(SKIP_1) | instid1(VALU_DEP_1)
	v_cvt_f32_f64_e32 v0, v[6:7]
	s_mov_b32 s2, exec_lo
	v_cmpx_nlg_f32_e64 0x7f800000, |v0|
	s_cbranch_execz .LBB8_966
; %bb.965:
	v_dual_mov_b32 v0, 0 :: v_dual_mov_b32 v1, 1.0
	global_store_b32 v0, v1, s[8:9]
.LBB8_966:
	s_or_b32 exec_lo, exec_lo, s2
	v_mov_b32_e32 v0, 0
	v_and_b32_e64 v8, 0xff, s34
	v_add_co_u32 v4, s4, s4, v2
	s_delay_alu instid0(VALU_DEP_1)
	v_add_co_ci_u32_e64 v5, null, s5, 0, s4
	global_load_b32 v3, v0, s[10:11]
	v_cmp_gt_i16_e32 vcc_lo, 11, v8
	s_mov_b32 s8, 0
	s_mov_b32 s4, -1
	s_and_b32 vcc_lo, exec_lo, vcc_lo
	s_waitcnt vmcnt(0)
	v_cvt_f64_f32_e32 v[0:1], v3
	v_cmp_eq_f32_e64 s2, 1.0, v3
	s_delay_alu instid0(VALU_DEP_2) | instskip(NEXT) | instid1(VALU_DEP_1)
	v_mul_f64 v[0:1], v[6:7], v[0:1]
	v_cndmask_b32_e64 v1, v1, v7, s2
	s_delay_alu instid0(VALU_DEP_2)
	v_cndmask_b32_e64 v0, v0, v6, s2
	s_mov_b32 s2, s39
	s_cbranch_vccnz .LBB8_1041
; %bb.967:
	v_cmp_lt_i16_e32 vcc_lo, 25, v8
	s_mov_b32 s2, s39
	s_cbranch_vccz .LBB8_1000
; %bb.968:
	v_cmp_lt_i16_e32 vcc_lo, 28, v8
	s_mov_b32 s2, s39
	s_cbranch_vccz .LBB8_984
	;; [unrolled: 4-line block ×4, first 2 shown]
; %bb.971:
	v_cmp_eq_u16_e32 vcc_lo, 46, v8
	s_mov_b32 s2, -1
	s_cbranch_vccz .LBB8_973
; %bb.972:
	v_cvt_f32_f64_e32 v2, v[0:1]
	s_mov_b32 s2, 0
	s_delay_alu instid0(VALU_DEP_1) | instskip(SKIP_1) | instid1(VALU_DEP_2)
	v_bfe_u32 v3, v2, 16, 1
	v_cmp_o_f32_e32 vcc_lo, v2, v2
	v_add3_u32 v3, v2, v3, 0x7fff
	s_delay_alu instid0(VALU_DEP_1) | instskip(NEXT) | instid1(VALU_DEP_1)
	v_lshrrev_b32_e32 v3, 16, v3
	v_cndmask_b32_e32 v2, 0x7fc0, v3, vcc_lo
	global_store_b32 v[4:5], v2, off
.LBB8_973:
	s_mov_b32 s4, 0
.LBB8_974:
	s_delay_alu instid0(SALU_CYCLE_1)
	s_and_b32 vcc_lo, exec_lo, s4
	s_cbranch_vccz .LBB8_979
; %bb.975:
	v_cmp_eq_u16_e32 vcc_lo, 44, v8
	s_mov_b32 s2, -1
	s_cbranch_vccz .LBB8_979
; %bb.976:
	v_cvt_f32_f64_e32 v2, v[0:1]
	v_mov_b32_e32 v3, 0xff
	s_mov_b32 s4, exec_lo
	s_delay_alu instid0(VALU_DEP_2) | instskip(NEXT) | instid1(VALU_DEP_1)
	v_bfe_u32 v6, v2, 23, 8
	v_cmpx_ne_u32_e32 0xff, v6
; %bb.977:
	v_and_b32_e32 v3, 0x400000, v2
	v_and_or_b32 v6, 0x3fffff, v2, v6
	v_lshrrev_b32_e32 v2, 23, v2
	s_delay_alu instid0(VALU_DEP_3) | instskip(NEXT) | instid1(VALU_DEP_3)
	v_cmp_ne_u32_e32 vcc_lo, 0, v3
	v_cmp_ne_u32_e64 s2, 0, v6
	s_delay_alu instid0(VALU_DEP_1) | instskip(NEXT) | instid1(SALU_CYCLE_1)
	s_and_b32 s2, vcc_lo, s2
	v_cndmask_b32_e64 v3, 0, 1, s2
	s_delay_alu instid0(VALU_DEP_1)
	v_add_nc_u32_e32 v3, v2, v3
; %bb.978:
	s_or_b32 exec_lo, exec_lo, s4
	s_mov_b32 s2, 0
	global_store_b8 v[4:5], v3, off
.LBB8_979:
	s_mov_b32 s4, 0
.LBB8_980:
	s_delay_alu instid0(SALU_CYCLE_1)
	s_and_b32 vcc_lo, exec_lo, s4
	s_cbranch_vccz .LBB8_983
; %bb.981:
	v_cmp_eq_u16_e32 vcc_lo, 29, v8
	s_mov_b32 s2, -1
	s_cbranch_vccz .LBB8_983
; %bb.982:
	v_trunc_f64_e32 v[2:3], v[0:1]
	s_mov_b32 s2, 0
	s_delay_alu instid0(VALU_DEP_1) | instskip(NEXT) | instid1(VALU_DEP_1)
	v_ldexp_f64 v[6:7], v[2:3], 0xffffffe0
	v_floor_f64_e32 v[6:7], v[6:7]
	s_delay_alu instid0(VALU_DEP_1) | instskip(SKIP_1) | instid1(VALU_DEP_2)
	v_fma_f64 v[2:3], 0xc1f00000, v[6:7], v[2:3]
	v_cvt_u32_f64_e32 v7, v[6:7]
	v_cvt_u32_f64_e32 v6, v[2:3]
	global_store_b64 v[4:5], v[6:7], off
.LBB8_983:
	s_mov_b32 s4, 0
.LBB8_984:
	s_delay_alu instid0(SALU_CYCLE_1)
	s_and_b32 vcc_lo, exec_lo, s4
	s_cbranch_vccz .LBB8_999
; %bb.985:
	v_cmp_gt_i16_e32 vcc_lo, 27, v8
	s_mov_b32 s4, -1
	s_cbranch_vccnz .LBB8_991
; %bb.986:
	v_cvt_u32_f64_e32 v2, v[0:1]
	v_cmp_lt_i16_e32 vcc_lo, 27, v8
	s_cbranch_vccz .LBB8_988
; %bb.987:
	s_mov_b32 s4, 0
	global_store_b32 v[4:5], v2, off
.LBB8_988:
	s_and_not1_b32 vcc_lo, exec_lo, s4
	s_cbranch_vccnz .LBB8_990
; %bb.989:
	global_store_b16 v[4:5], v2, off
.LBB8_990:
	s_mov_b32 s4, 0
.LBB8_991:
	s_delay_alu instid0(SALU_CYCLE_1)
	s_and_not1_b32 vcc_lo, exec_lo, s4
	s_cbranch_vccnz .LBB8_999
; %bb.992:
	v_cvt_f32_f64_e32 v2, v[0:1]
	v_mov_b32_e32 v6, 0x80
	s_mov_b32 s4, exec_lo
	s_delay_alu instid0(VALU_DEP_2) | instskip(NEXT) | instid1(VALU_DEP_1)
	v_and_b32_e32 v3, 0x7fffffff, v2
	v_cmpx_gt_u32_e32 0x43800000, v3
	s_cbranch_execz .LBB8_998
; %bb.993:
	v_cmp_lt_u32_e32 vcc_lo, 0x3bffffff, v3
	s_mov_b32 s5, 0
                                        ; implicit-def: $vgpr3
	s_and_saveexec_b32 s7, vcc_lo
	s_delay_alu instid0(SALU_CYCLE_1)
	s_xor_b32 s7, exec_lo, s7
	s_cbranch_execz .LBB8_1289
; %bb.994:
	v_bfe_u32 v3, v2, 20, 1
	s_mov_b32 s5, exec_lo
	s_delay_alu instid0(VALU_DEP_1) | instskip(NEXT) | instid1(VALU_DEP_1)
	v_add3_u32 v3, v2, v3, 0x487ffff
	v_lshrrev_b32_e32 v3, 20, v3
	s_or_saveexec_b32 s7, s7
                                        ; implicit-def: $sgpr8
	s_delay_alu instid0(SALU_CYCLE_1)
	s_xor_b32 exec_lo, exec_lo, s7
	s_cbranch_execnz .LBB8_1290
.LBB8_995:
	s_or_b32 exec_lo, exec_lo, s7
	v_mov_b32_e32 v6, s8
	s_and_saveexec_b32 s7, s5
.LBB8_996:
	v_lshrrev_b32_e32 v2, 24, v2
	s_delay_alu instid0(VALU_DEP_1)
	v_and_or_b32 v6, 0x80, v2, v3
.LBB8_997:
	s_or_b32 exec_lo, exec_lo, s7
.LBB8_998:
	s_delay_alu instid0(SALU_CYCLE_1)
	s_or_b32 exec_lo, exec_lo, s4
	global_store_b8 v[4:5], v6, off
.LBB8_999:
	s_mov_b32 s4, 0
.LBB8_1000:
	s_delay_alu instid0(SALU_CYCLE_1)
	s_and_b32 vcc_lo, exec_lo, s4
	s_mov_b32 s4, 0
	s_cbranch_vccz .LBB8_1040
; %bb.1001:
	v_cmp_lt_i16_e32 vcc_lo, 22, v8
	s_mov_b32 s5, -1
	s_cbranch_vccz .LBB8_1033
; %bb.1002:
	v_cmp_gt_i16_e32 vcc_lo, 24, v8
	s_cbranch_vccnz .LBB8_1022
; %bb.1003:
	v_cmp_lt_i16_e32 vcc_lo, 24, v8
	s_cbranch_vccz .LBB8_1011
; %bb.1004:
	v_cvt_f32_f64_e32 v2, v[0:1]
	v_mov_b32_e32 v6, 0x80
	s_mov_b32 s5, exec_lo
	s_delay_alu instid0(VALU_DEP_2) | instskip(NEXT) | instid1(VALU_DEP_1)
	v_and_b32_e32 v3, 0x7fffffff, v2
	v_cmpx_gt_u32_e32 0x47800000, v3
	s_cbranch_execz .LBB8_1010
; %bb.1005:
	v_cmp_lt_u32_e32 vcc_lo, 0x37ffffff, v3
	s_mov_b32 s7, 0
                                        ; implicit-def: $vgpr3
	s_and_saveexec_b32 s8, vcc_lo
	s_delay_alu instid0(SALU_CYCLE_1)
	s_xor_b32 s8, exec_lo, s8
	s_cbranch_execz .LBB8_1333
; %bb.1006:
	v_bfe_u32 v3, v2, 21, 1
	s_mov_b32 s7, exec_lo
	s_delay_alu instid0(VALU_DEP_1) | instskip(NEXT) | instid1(VALU_DEP_1)
	v_add3_u32 v3, v2, v3, 0x88fffff
	v_lshrrev_b32_e32 v3, 21, v3
	s_or_saveexec_b32 s8, s8
                                        ; implicit-def: $sgpr9
	s_delay_alu instid0(SALU_CYCLE_1)
	s_xor_b32 exec_lo, exec_lo, s8
	s_cbranch_execnz .LBB8_1334
.LBB8_1007:
	s_or_b32 exec_lo, exec_lo, s8
	v_mov_b32_e32 v6, s9
	s_and_saveexec_b32 s8, s7
.LBB8_1008:
	v_lshrrev_b32_e32 v2, 24, v2
	s_delay_alu instid0(VALU_DEP_1)
	v_and_or_b32 v6, 0x80, v2, v3
.LBB8_1009:
	s_or_b32 exec_lo, exec_lo, s8
.LBB8_1010:
	s_delay_alu instid0(SALU_CYCLE_1)
	s_or_b32 exec_lo, exec_lo, s5
	s_mov_b32 s5, 0
	global_store_b8 v[4:5], v6, off
.LBB8_1011:
	s_and_b32 vcc_lo, exec_lo, s5
	s_cbranch_vccz .LBB8_1021
; %bb.1012:
	v_cvt_f32_f64_e32 v2, v[0:1]
	s_mov_b32 s5, exec_lo
                                        ; implicit-def: $vgpr3
	s_delay_alu instid0(VALU_DEP_1) | instskip(NEXT) | instid1(VALU_DEP_1)
	v_and_b32_e32 v6, 0x7fffffff, v2
	v_cmpx_gt_u32_e32 0x43f00000, v6
	s_xor_b32 s5, exec_lo, s5
	s_cbranch_execz .LBB8_1018
; %bb.1013:
	s_mov_b32 s7, exec_lo
                                        ; implicit-def: $vgpr3
	v_cmpx_lt_u32_e32 0x3c7fffff, v6
	s_xor_b32 s7, exec_lo, s7
; %bb.1014:
	v_bfe_u32 v3, v2, 20, 1
	s_delay_alu instid0(VALU_DEP_1) | instskip(NEXT) | instid1(VALU_DEP_1)
	v_add3_u32 v3, v2, v3, 0x407ffff
	v_and_b32_e32 v6, 0xff00000, v3
	v_lshrrev_b32_e32 v3, 20, v3
	s_delay_alu instid0(VALU_DEP_2) | instskip(NEXT) | instid1(VALU_DEP_2)
	v_cmp_ne_u32_e32 vcc_lo, 0x7f00000, v6
	v_cndmask_b32_e32 v3, 0x7e, v3, vcc_lo
; %bb.1015:
	s_and_not1_saveexec_b32 s7, s7
; %bb.1016:
	v_add_f32_e64 v3, 0x46800000, |v2|
; %bb.1017:
	s_or_b32 exec_lo, exec_lo, s7
                                        ; implicit-def: $vgpr6
.LBB8_1018:
	s_and_not1_saveexec_b32 s5, s5
; %bb.1019:
	v_mov_b32_e32 v3, 0x7f
	v_cmp_lt_u32_e32 vcc_lo, 0x7f800000, v6
	s_delay_alu instid0(VALU_DEP_2)
	v_cndmask_b32_e32 v3, 0x7e, v3, vcc_lo
; %bb.1020:
	s_or_b32 exec_lo, exec_lo, s5
	v_lshrrev_b32_e32 v2, 24, v2
	s_delay_alu instid0(VALU_DEP_1)
	v_and_or_b32 v2, 0x80, v2, v3
	global_store_b8 v[4:5], v2, off
.LBB8_1021:
	s_mov_b32 s5, 0
.LBB8_1022:
	s_delay_alu instid0(SALU_CYCLE_1)
	s_and_not1_b32 vcc_lo, exec_lo, s5
	s_cbranch_vccnz .LBB8_1032
; %bb.1023:
	v_cvt_f32_f64_e32 v2, v[0:1]
	s_mov_b32 s5, exec_lo
                                        ; implicit-def: $vgpr3
	s_delay_alu instid0(VALU_DEP_1) | instskip(NEXT) | instid1(VALU_DEP_1)
	v_and_b32_e32 v6, 0x7fffffff, v2
	v_cmpx_gt_u32_e32 0x47800000, v6
	s_xor_b32 s5, exec_lo, s5
	s_cbranch_execz .LBB8_1029
; %bb.1024:
	s_mov_b32 s7, exec_lo
                                        ; implicit-def: $vgpr3
	v_cmpx_lt_u32_e32 0x387fffff, v6
	s_xor_b32 s7, exec_lo, s7
; %bb.1025:
	v_bfe_u32 v3, v2, 21, 1
	s_delay_alu instid0(VALU_DEP_1) | instskip(NEXT) | instid1(VALU_DEP_1)
	v_add3_u32 v3, v2, v3, 0x80fffff
	v_lshrrev_b32_e32 v3, 21, v3
; %bb.1026:
	s_and_not1_saveexec_b32 s7, s7
; %bb.1027:
	v_add_f32_e64 v3, 0x43000000, |v2|
; %bb.1028:
	s_or_b32 exec_lo, exec_lo, s7
                                        ; implicit-def: $vgpr6
.LBB8_1029:
	s_and_not1_saveexec_b32 s5, s5
; %bb.1030:
	v_mov_b32_e32 v3, 0x7f
	v_cmp_lt_u32_e32 vcc_lo, 0x7f800000, v6
	s_delay_alu instid0(VALU_DEP_2)
	v_cndmask_b32_e32 v3, 0x7c, v3, vcc_lo
; %bb.1031:
	s_or_b32 exec_lo, exec_lo, s5
	v_lshrrev_b32_e32 v2, 24, v2
	s_delay_alu instid0(VALU_DEP_1)
	v_and_or_b32 v2, 0x80, v2, v3
	global_store_b8 v[4:5], v2, off
.LBB8_1032:
	s_mov_b32 s5, 0
.LBB8_1033:
	s_delay_alu instid0(SALU_CYCLE_1)
	s_and_not1_b32 vcc_lo, exec_lo, s5
	s_mov_b32 s8, 0
	s_cbranch_vccnz .LBB8_1041
; %bb.1034:
	v_cmp_lt_i16_e32 vcc_lo, 14, v8
	s_mov_b32 s5, -1
	s_cbranch_vccz .LBB8_1038
; %bb.1035:
	v_cmp_eq_u16_e32 vcc_lo, 15, v8
	s_mov_b32 s2, -1
	s_cbranch_vccz .LBB8_1037
; %bb.1036:
	v_cvt_f32_f64_e32 v2, v[0:1]
	s_mov_b32 s2, 0
	s_delay_alu instid0(VALU_DEP_1) | instskip(SKIP_1) | instid1(VALU_DEP_2)
	v_bfe_u32 v3, v2, 16, 1
	v_cmp_o_f32_e32 vcc_lo, v2, v2
	v_add3_u32 v3, v2, v3, 0x7fff
	s_delay_alu instid0(VALU_DEP_1) | instskip(NEXT) | instid1(VALU_DEP_1)
	v_lshrrev_b32_e32 v3, 16, v3
	v_cndmask_b32_e32 v2, 0x7fc0, v3, vcc_lo
	global_store_b16 v[4:5], v2, off
.LBB8_1037:
	s_mov_b32 s5, 0
.LBB8_1038:
	s_delay_alu instid0(SALU_CYCLE_1)
	s_and_b32 vcc_lo, exec_lo, s5
	s_cbranch_vccz .LBB8_1041
; %bb.1039:
	v_cmp_ne_u16_e32 vcc_lo, 11, v8
	s_and_not1_b32 s2, s2, exec_lo
	s_mov_b32 s8, -1
	s_and_b32 s5, vcc_lo, exec_lo
	s_delay_alu instid0(SALU_CYCLE_1)
	s_or_b32 s2, s2, s5
	s_branch .LBB8_1041
.LBB8_1040:
	s_mov_b32 s8, 0
.LBB8_1041:
	s_and_b32 s7, s4, exec_lo
	s_and_not1_b32 s4, s39, exec_lo
	s_and_b32 s2, s2, exec_lo
	s_and_b32 s12, s8, exec_lo
	s_or_b32 s39, s4, s2
.LBB8_1042:
	s_or_b32 exec_lo, exec_lo, s6
	s_and_saveexec_b32 s2, s39
	s_cbranch_execnz .LBB8_1156
; %bb.1043:
	s_or_b32 exec_lo, exec_lo, s2
	s_and_saveexec_b32 s2, s12
	s_delay_alu instid0(SALU_CYCLE_1)
	s_xor_b32 s2, exec_lo, s2
	s_cbranch_execz .LBB8_1045
.LBB8_1044:
	v_cmp_neq_f64_e32 vcc_lo, 0, v[0:1]
	v_cndmask_b32_e64 v2, 0, 1, vcc_lo
	global_store_b8 v[4:5], v2, off
.LBB8_1045:
	s_or_b32 exec_lo, exec_lo, s2
	s_and_saveexec_b32 s2, s7
	s_delay_alu instid0(SALU_CYCLE_1)
	s_xor_b32 s2, exec_lo, s2
	s_cbranch_execz .LBB8_1083
; %bb.1046:
	v_cmp_gt_i16_e32 vcc_lo, 5, v8
	s_mov_b32 s4, -1
	s_cbranch_vccnz .LBB8_1067
; %bb.1047:
	v_cmp_gt_i16_e32 vcc_lo, 8, v8
	s_cbranch_vccnz .LBB8_1057
; %bb.1048:
	v_cmp_gt_i16_e32 vcc_lo, 9, v8
	s_cbranch_vccnz .LBB8_1054
; %bb.1049:
	v_cmp_lt_i16_e32 vcc_lo, 9, v8
	s_cbranch_vccz .LBB8_1051
; %bb.1050:
	v_mov_b32_e32 v2, 0
	s_mov_b32 s4, 0
	s_delay_alu instid0(VALU_DEP_1)
	v_mov_b32_e32 v3, v2
	global_store_b128 v[4:5], v[0:3], off
.LBB8_1051:
	s_and_not1_b32 vcc_lo, exec_lo, s4
	s_cbranch_vccnz .LBB8_1053
; %bb.1052:
	v_cvt_f32_f64_e32 v2, v[0:1]
	v_mov_b32_e32 v3, 0
	global_store_b64 v[4:5], v[2:3], off
.LBB8_1053:
	s_mov_b32 s4, 0
.LBB8_1054:
	s_delay_alu instid0(SALU_CYCLE_1)
	s_and_not1_b32 vcc_lo, exec_lo, s4
	s_cbranch_vccnz .LBB8_1056
; %bb.1055:
	v_cvt_f32_f64_e32 v2, v[0:1]
	s_delay_alu instid0(VALU_DEP_1) | instskip(NEXT) | instid1(VALU_DEP_1)
	v_cvt_f16_f32_e32 v2, v2
	v_and_b32_e32 v2, 0xffff, v2
	global_store_b32 v[4:5], v2, off
.LBB8_1056:
	s_mov_b32 s4, 0
.LBB8_1057:
	s_delay_alu instid0(SALU_CYCLE_1)
	s_and_not1_b32 vcc_lo, exec_lo, s4
	s_cbranch_vccnz .LBB8_1066
; %bb.1058:
	v_cmp_gt_i16_e32 vcc_lo, 6, v8
	s_mov_b32 s4, -1
	s_cbranch_vccnz .LBB8_1064
; %bb.1059:
	v_cmp_lt_i16_e32 vcc_lo, 6, v8
	s_cbranch_vccz .LBB8_1061
; %bb.1060:
	s_mov_b32 s4, 0
	global_store_b64 v[4:5], v[0:1], off
.LBB8_1061:
	s_and_not1_b32 vcc_lo, exec_lo, s4
	s_cbranch_vccnz .LBB8_1063
; %bb.1062:
	v_cvt_f32_f64_e32 v2, v[0:1]
	global_store_b32 v[4:5], v2, off
.LBB8_1063:
	s_mov_b32 s4, 0
.LBB8_1064:
	s_delay_alu instid0(SALU_CYCLE_1)
	s_and_not1_b32 vcc_lo, exec_lo, s4
	s_cbranch_vccnz .LBB8_1066
; %bb.1065:
	v_cvt_f32_f64_e32 v2, v[0:1]
	s_delay_alu instid0(VALU_DEP_1)
	v_cvt_f16_f32_e32 v2, v2
	global_store_b16 v[4:5], v2, off
.LBB8_1066:
	s_mov_b32 s4, 0
.LBB8_1067:
	s_delay_alu instid0(SALU_CYCLE_1)
	s_and_not1_b32 vcc_lo, exec_lo, s4
	s_cbranch_vccnz .LBB8_1083
; %bb.1068:
	v_cmp_gt_i16_e32 vcc_lo, 2, v8
	s_mov_b32 s4, -1
	s_cbranch_vccnz .LBB8_1078
; %bb.1069:
	v_cmp_gt_i16_e32 vcc_lo, 3, v8
	s_cbranch_vccnz .LBB8_1075
; %bb.1070:
	v_cmp_lt_i16_e32 vcc_lo, 3, v8
	s_cbranch_vccz .LBB8_1072
; %bb.1071:
	v_trunc_f64_e32 v[2:3], v[0:1]
	s_mov_b32 s4, 0
	s_waitcnt vmcnt(0)
	s_delay_alu instid0(VALU_DEP_1) | instskip(NEXT) | instid1(VALU_DEP_1)
	v_ldexp_f64 v[6:7], v[2:3], 0xffffffe0
	v_floor_f64_e32 v[6:7], v[6:7]
	s_delay_alu instid0(VALU_DEP_1) | instskip(SKIP_1) | instid1(VALU_DEP_2)
	v_fma_f64 v[2:3], 0xc1f00000, v[6:7], v[2:3]
	v_cvt_i32_f64_e32 v7, v[6:7]
	v_cvt_u32_f64_e32 v6, v[2:3]
	global_store_b64 v[4:5], v[6:7], off
.LBB8_1072:
	s_and_not1_b32 vcc_lo, exec_lo, s4
	s_cbranch_vccnz .LBB8_1074
; %bb.1073:
	v_cvt_i32_f64_e32 v2, v[0:1]
	global_store_b32 v[4:5], v2, off
.LBB8_1074:
	s_mov_b32 s4, 0
.LBB8_1075:
	s_delay_alu instid0(SALU_CYCLE_1)
	s_and_not1_b32 vcc_lo, exec_lo, s4
	s_cbranch_vccnz .LBB8_1077
; %bb.1076:
	v_cvt_i32_f64_e32 v2, v[0:1]
	global_store_b16 v[4:5], v2, off
.LBB8_1077:
	s_mov_b32 s4, 0
.LBB8_1078:
	s_delay_alu instid0(SALU_CYCLE_1)
	s_and_not1_b32 vcc_lo, exec_lo, s4
	s_cbranch_vccnz .LBB8_1083
; %bb.1079:
	v_cmp_lt_i16_e32 vcc_lo, 0, v8
	s_mov_b32 s4, -1
	s_cbranch_vccz .LBB8_1081
; %bb.1080:
	v_cvt_i32_f64_e32 v2, v[0:1]
	s_mov_b32 s4, 0
	global_store_b8 v[4:5], v2, off
.LBB8_1081:
	s_and_not1_b32 vcc_lo, exec_lo, s4
	s_cbranch_vccnz .LBB8_1083
; %bb.1082:
	v_trunc_f64_e32 v[0:1], v[0:1]
	s_delay_alu instid0(VALU_DEP_1) | instskip(NEXT) | instid1(VALU_DEP_1)
	v_ldexp_f64 v[2:3], v[0:1], 0xffffffe0
	v_floor_f64_e32 v[2:3], v[2:3]
	s_delay_alu instid0(VALU_DEP_1) | instskip(NEXT) | instid1(VALU_DEP_1)
	v_fma_f64 v[0:1], 0xc1f00000, v[2:3], v[0:1]
	v_cvt_u32_f64_e32 v0, v[0:1]
	global_store_b8 v[4:5], v0, off
.LBB8_1083:
	s_or_b32 exec_lo, exec_lo, s2
	s_delay_alu instid0(SALU_CYCLE_1)
	s_and_b32 s12, s3, exec_lo
                                        ; implicit-def: $vgpr3
                                        ; implicit-def: $vgpr9
.LBB8_1084:
	s_or_saveexec_b32 s13, s33
	s_mov_b32 s4, 0
                                        ; implicit-def: $vgpr4_vgpr5
                                        ; implicit-def: $sgpr3
                                        ; implicit-def: $vgpr0_vgpr1
	s_xor_b32 exec_lo, exec_lo, s13
	s_cbranch_execz .LBB8_2067
; %bb.1085:
	v_cndmask_b32_e64 v1, 0, 1, s31
	s_and_not1_b32 vcc_lo, exec_lo, s31
	s_cbranch_vccnz .LBB8_1091
; %bb.1086:
	v_mov_b32_e32 v0, 0
	v_mov_b32_e32 v2, 0
	s_cmp_lg_u32 s28, 0
	s_mov_b32 s6, 0
	s_cbranch_scc0 .LBB8_1095
; %bb.1087:
	s_min_u32 s7, s29, 15
	v_mov_b32_e32 v0, 0
	s_add_i32 s7, s7, 1
	s_cmp_eq_u32 s29, 2
	s_mov_b32 s8, 0
	s_cbranch_scc1 .LBB8_1092
; %bb.1088:
	v_mov_b32_e32 v2, 0
	v_mov_b32_e32 v0, 0
	;; [unrolled: 1-line block ×3, first 2 shown]
	s_add_u32 s2, s20, 0xc4
	s_addc_u32 s3, s21, 0
	s_and_b32 s8, s7, 28
	s_mov_b32 s9, 0
	s_mov_b64 s[4:5], s[20:21]
.LBB8_1089:                             ; =>This Inner Loop Header: Depth=1
	s_clause 0x1
	s_load_b256 s[36:43], s[4:5], 0x4
	s_load_b128 s[16:19], s[4:5], 0x24
	s_load_b256 s[44:51], s[2:3], 0x0
	s_add_u32 s4, s4, 48
	s_addc_u32 s5, s5, 0
	s_add_i32 s9, s9, 4
	s_add_u32 s2, s2, 32
	s_addc_u32 s3, s3, 0
	s_cmp_lg_u32 s8, s9
	s_waitcnt lgkmcnt(0)
	v_mul_hi_u32 v5, s37, v4
	s_delay_alu instid0(VALU_DEP_1) | instskip(NEXT) | instid1(VALU_DEP_1)
	v_add_nc_u32_e32 v5, v4, v5
	v_lshrrev_b32_e32 v5, s38, v5
	s_waitcnt vmcnt(0)
	s_delay_alu instid0(VALU_DEP_1) | instskip(SKIP_1) | instid1(VALU_DEP_2)
	v_mul_hi_u32 v6, s40, v5
	v_mul_lo_u32 v8, v5, s36
	v_add_nc_u32_e32 v6, v5, v6
	s_delay_alu instid0(VALU_DEP_2) | instskip(NEXT) | instid1(VALU_DEP_2)
	v_sub_nc_u32_e32 v4, v4, v8
	v_lshrrev_b32_e32 v6, s41, v6
	s_delay_alu instid0(VALU_DEP_2) | instskip(SKIP_1) | instid1(VALU_DEP_3)
	v_mul_lo_u32 v8, v4, s44
	v_mul_lo_u32 v11, v4, s45
	v_mul_hi_u32 v7, s43, v6
	s_delay_alu instid0(VALU_DEP_1) | instskip(NEXT) | instid1(VALU_DEP_1)
	v_add_nc_u32_e32 v7, v6, v7
	v_lshrrev_b32_e32 v7, s16, v7
	s_delay_alu instid0(VALU_DEP_1) | instskip(SKIP_1) | instid1(VALU_DEP_2)
	v_mul_hi_u32 v10, s18, v7
	v_mul_lo_u32 v12, v7, s42
	v_add_nc_u32_e32 v4, v7, v10
	v_mul_lo_u32 v10, v6, s39
	s_delay_alu instid0(VALU_DEP_3) | instskip(NEXT) | instid1(VALU_DEP_3)
	v_sub_nc_u32_e32 v6, v6, v12
	v_lshrrev_b32_e32 v4, s19, v4
	s_delay_alu instid0(VALU_DEP_2) | instskip(SKIP_2) | instid1(VALU_DEP_4)
	v_mul_lo_u32 v12, v6, s48
	v_mul_lo_u32 v6, v6, s49
	v_sub_nc_u32_e32 v5, v5, v10
	v_mul_lo_u32 v13, v4, s17
	s_delay_alu instid0(VALU_DEP_2) | instskip(SKIP_1) | instid1(VALU_DEP_3)
	v_mul_lo_u32 v10, v5, s46
	v_mul_lo_u32 v5, v5, s47
	v_sub_nc_u32_e32 v7, v7, v13
	s_delay_alu instid0(VALU_DEP_3) | instskip(NEXT) | instid1(VALU_DEP_2)
	v_add3_u32 v0, v8, v0, v10
	v_mul_lo_u32 v13, v7, s50
	v_mul_lo_u32 v7, v7, s51
	v_add3_u32 v2, v11, v2, v5
	s_delay_alu instid0(VALU_DEP_3) | instskip(NEXT) | instid1(VALU_DEP_2)
	v_add3_u32 v0, v12, v0, v13
	v_add3_u32 v2, v6, v2, v7
	s_cbranch_scc1 .LBB8_1089
; %bb.1090:
	s_and_b32 s7, s7, 3
	s_delay_alu instid0(SALU_CYCLE_1)
	s_cmp_eq_u32 s7, 0
	s_cbranch_scc0 .LBB8_1093
	s_branch .LBB8_1095
.LBB8_1091:
	s_mov_b32 s6, -1
                                        ; implicit-def: $vgpr0
                                        ; implicit-def: $vgpr2
	s_branch .LBB8_1095
.LBB8_1092:
	v_mov_b32_e32 v4, v9
	v_mov_b32_e32 v2, 0
	s_and_b32 s7, s7, 3
	s_delay_alu instid0(SALU_CYCLE_1)
	s_cmp_eq_u32 s7, 0
	s_cbranch_scc1 .LBB8_1095
.LBB8_1093:
	s_lshl_b32 s2, s8, 3
	s_mul_i32 s4, s8, 12
	s_add_u32 s2, s2, s20
	s_addc_u32 s3, 0, s21
	s_add_u32 s2, s2, 0xc4
	s_addc_u32 s3, s3, 0
	;; [unrolled: 2-line block ×3, first 2 shown]
	.p2align	6
.LBB8_1094:                             ; =>This Inner Loop Header: Depth=1
	s_clause 0x1
	s_load_b64 s[8:9], s[4:5], 0x4
	s_load_b32 s14, s[4:5], 0xc
	s_load_b64 s[10:11], s[2:3], 0x0
	s_add_u32 s4, s4, 12
	s_addc_u32 s5, s5, 0
	s_add_u32 s2, s2, 8
	s_addc_u32 s3, s3, 0
	s_add_i32 s7, s7, -1
	s_delay_alu instid0(SALU_CYCLE_1) | instskip(SKIP_2) | instid1(VALU_DEP_1)
	s_cmp_lg_u32 s7, 0
	s_waitcnt lgkmcnt(0)
	v_mul_hi_u32 v5, s9, v4
	v_add_nc_u32_e32 v5, v4, v5
	s_delay_alu instid0(VALU_DEP_1) | instskip(NEXT) | instid1(VALU_DEP_1)
	v_lshrrev_b32_e32 v8, s14, v5
	v_mul_lo_u32 v5, v8, s8
	s_delay_alu instid0(VALU_DEP_1) | instskip(SKIP_1) | instid1(VALU_DEP_1)
	v_sub_nc_u32_e32 v4, v4, v5
	s_waitcnt vmcnt(0)
	v_mad_u64_u32 v[5:6], null, v4, s10, v[0:1]
	v_mad_u64_u32 v[6:7], null, v4, s11, v[2:3]
	v_mov_b32_e32 v4, v8
	s_delay_alu instid0(VALU_DEP_3) | instskip(NEXT) | instid1(VALU_DEP_3)
	v_mov_b32_e32 v0, v5
	v_mov_b32_e32 v2, v6
	s_cbranch_scc1 .LBB8_1094
.LBB8_1095:
	s_and_not1_b32 vcc_lo, exec_lo, s6
	s_cbranch_vccnz .LBB8_1098
; %bb.1096:
	s_clause 0x1
	s_load_b128 s[4:7], s[20:21], 0x4
	s_load_b64 s[2:3], s[20:21], 0xc4
	s_cmp_lt_u32 s28, 2
	s_waitcnt lgkmcnt(0)
	v_mul_hi_u32 v0, s5, v9
	s_delay_alu instid0(VALU_DEP_1) | instskip(NEXT) | instid1(VALU_DEP_1)
	v_add_nc_u32_e32 v0, v9, v0
	v_lshrrev_b32_e32 v4, s6, v0
	s_delay_alu instid0(VALU_DEP_1) | instskip(NEXT) | instid1(VALU_DEP_1)
	v_mul_lo_u32 v0, v4, s4
	v_sub_nc_u32_e32 v2, v9, v0
	s_delay_alu instid0(VALU_DEP_1)
	v_mul_lo_u32 v0, v2, s2
	v_mul_lo_u32 v2, v2, s3
	s_cbranch_scc1 .LBB8_1098
; %bb.1097:
	s_clause 0x1
	s_load_b128 s[4:7], s[20:21], 0x10
	s_load_b64 s[2:3], s[20:21], 0xcc
	s_waitcnt lgkmcnt(0)
	v_mul_hi_u32 v5, s5, v4
	s_delay_alu instid0(VALU_DEP_1) | instskip(NEXT) | instid1(VALU_DEP_1)
	v_add_nc_u32_e32 v5, v4, v5
	v_lshrrev_b32_e32 v5, s6, v5
	s_delay_alu instid0(VALU_DEP_1) | instskip(SKIP_1) | instid1(VALU_DEP_1)
	v_mul_lo_u32 v5, v5, s4
	s_waitcnt vmcnt(0)
	v_sub_nc_u32_e32 v7, v4, v5
	s_delay_alu instid0(VALU_DEP_1) | instskip(SKIP_1) | instid1(VALU_DEP_2)
	v_mad_u64_u32 v[4:5], null, v7, s2, v[0:1]
	v_mad_u64_u32 v[5:6], null, v7, s3, v[2:3]
	v_mov_b32_e32 v0, v4
	s_delay_alu instid0(VALU_DEP_2)
	v_mov_b32_e32 v2, v5
.LBB8_1098:
	v_cmp_ne_u32_e32 vcc_lo, 1, v1
	v_add_nc_u32_e32 v4, 0x80, v9
	s_cbranch_vccnz .LBB8_1104
; %bb.1099:
	s_waitcnt vmcnt(0)
	v_dual_mov_b32 v6, 0 :: v_dual_mov_b32 v7, 0
	s_cmp_lg_u32 s28, 0
	s_mov_b32 s6, 0
	s_cbranch_scc0 .LBB8_1108
; %bb.1100:
	s_min_u32 s7, s29, 15
	v_mov_b32_e32 v6, 0
	s_add_i32 s7, s7, 1
	s_cmp_eq_u32 s29, 2
	s_mov_b32 s8, 0
	s_cbranch_scc1 .LBB8_1105
; %bb.1101:
	v_dual_mov_b32 v7, 0 :: v_dual_mov_b32 v6, 0
	v_mov_b32_e32 v5, v4
	s_add_u32 s2, s20, 0xc4
	s_addc_u32 s3, s21, 0
	s_and_b32 s8, s7, 28
	s_mov_b32 s9, 0
	s_mov_b64 s[4:5], s[20:21]
.LBB8_1102:                             ; =>This Inner Loop Header: Depth=1
	s_clause 0x1
	s_load_b256 s[36:43], s[4:5], 0x4
	s_load_b128 s[16:19], s[4:5], 0x24
	s_load_b256 s[44:51], s[2:3], 0x0
	s_add_u32 s4, s4, 48
	s_addc_u32 s5, s5, 0
	s_add_i32 s9, s9, 4
	s_add_u32 s2, s2, 32
	s_addc_u32 s3, s3, 0
	s_cmp_lg_u32 s8, s9
	s_waitcnt lgkmcnt(0)
	v_mul_hi_u32 v8, s37, v5
	s_delay_alu instid0(VALU_DEP_1) | instskip(NEXT) | instid1(VALU_DEP_1)
	v_add_nc_u32_e32 v8, v5, v8
	v_lshrrev_b32_e32 v8, s38, v8
	s_delay_alu instid0(VALU_DEP_1) | instskip(SKIP_1) | instid1(VALU_DEP_2)
	v_mul_hi_u32 v10, s40, v8
	v_mul_lo_u32 v12, v8, s36
	v_add_nc_u32_e32 v10, v8, v10
	s_delay_alu instid0(VALU_DEP_2) | instskip(NEXT) | instid1(VALU_DEP_2)
	v_sub_nc_u32_e32 v5, v5, v12
	v_lshrrev_b32_e32 v10, s41, v10
	s_delay_alu instid0(VALU_DEP_2) | instskip(SKIP_1) | instid1(VALU_DEP_3)
	v_mul_lo_u32 v12, v5, s44
	v_mul_lo_u32 v14, v5, s45
	v_mul_hi_u32 v11, s43, v10
	s_delay_alu instid0(VALU_DEP_1) | instskip(NEXT) | instid1(VALU_DEP_1)
	v_add_nc_u32_e32 v11, v10, v11
	v_lshrrev_b32_e32 v11, s16, v11
	s_delay_alu instid0(VALU_DEP_1) | instskip(SKIP_1) | instid1(VALU_DEP_2)
	v_mul_hi_u32 v13, s18, v11
	v_mul_lo_u32 v15, v11, s42
	v_add_nc_u32_e32 v5, v11, v13
	v_mul_lo_u32 v13, v10, s39
	s_delay_alu instid0(VALU_DEP_3) | instskip(NEXT) | instid1(VALU_DEP_3)
	v_sub_nc_u32_e32 v10, v10, v15
	v_lshrrev_b32_e32 v5, s19, v5
	s_delay_alu instid0(VALU_DEP_2) | instskip(SKIP_2) | instid1(VALU_DEP_4)
	v_mul_lo_u32 v15, v10, s48
	v_mul_lo_u32 v10, v10, s49
	v_sub_nc_u32_e32 v8, v8, v13
	v_mul_lo_u32 v16, v5, s17
	s_delay_alu instid0(VALU_DEP_2) | instskip(SKIP_1) | instid1(VALU_DEP_3)
	v_mul_lo_u32 v13, v8, s46
	v_mul_lo_u32 v8, v8, s47
	v_sub_nc_u32_e32 v11, v11, v16
	s_delay_alu instid0(VALU_DEP_3) | instskip(NEXT) | instid1(VALU_DEP_2)
	v_add3_u32 v6, v12, v6, v13
	v_mul_lo_u32 v16, v11, s50
	v_mul_lo_u32 v11, v11, s51
	v_add3_u32 v7, v14, v7, v8
	s_delay_alu instid0(VALU_DEP_3) | instskip(NEXT) | instid1(VALU_DEP_2)
	v_add3_u32 v6, v15, v6, v16
	v_add3_u32 v7, v10, v7, v11
	s_cbranch_scc1 .LBB8_1102
; %bb.1103:
	s_and_b32 s7, s7, 3
	s_delay_alu instid0(SALU_CYCLE_1)
	s_cmp_eq_u32 s7, 0
	s_cbranch_scc0 .LBB8_1106
	s_branch .LBB8_1108
.LBB8_1104:
	s_mov_b32 s6, -1
                                        ; implicit-def: $vgpr6
                                        ; implicit-def: $vgpr7
	s_branch .LBB8_1108
.LBB8_1105:
	v_mov_b32_e32 v5, v4
	v_mov_b32_e32 v7, 0
	s_and_b32 s7, s7, 3
	s_delay_alu instid0(SALU_CYCLE_1)
	s_cmp_eq_u32 s7, 0
	s_cbranch_scc1 .LBB8_1108
.LBB8_1106:
	s_lshl_b32 s2, s8, 3
	s_mul_i32 s4, s8, 12
	s_add_u32 s2, s2, s20
	s_addc_u32 s3, 0, s21
	s_add_u32 s2, s2, 0xc4
	s_addc_u32 s3, s3, 0
	;; [unrolled: 2-line block ×3, first 2 shown]
	.p2align	6
.LBB8_1107:                             ; =>This Inner Loop Header: Depth=1
	s_clause 0x1
	s_load_b64 s[8:9], s[4:5], 0x4
	s_load_b32 s14, s[4:5], 0xc
	s_load_b64 s[10:11], s[2:3], 0x0
	s_add_u32 s4, s4, 12
	s_addc_u32 s5, s5, 0
	s_add_u32 s2, s2, 8
	s_addc_u32 s3, s3, 0
	s_add_i32 s7, s7, -1
	s_delay_alu instid0(SALU_CYCLE_1) | instskip(SKIP_2) | instid1(VALU_DEP_1)
	s_cmp_lg_u32 s7, 0
	s_waitcnt lgkmcnt(0)
	v_mul_hi_u32 v8, s9, v5
	v_add_nc_u32_e32 v8, v5, v8
	s_delay_alu instid0(VALU_DEP_1) | instskip(NEXT) | instid1(VALU_DEP_1)
	v_lshrrev_b32_e32 v8, s14, v8
	v_mul_lo_u32 v10, v8, s8
	s_delay_alu instid0(VALU_DEP_1) | instskip(NEXT) | instid1(VALU_DEP_1)
	v_sub_nc_u32_e32 v5, v5, v10
	v_mad_u64_u32 v[10:11], null, v5, s10, v[6:7]
	v_mad_u64_u32 v[11:12], null, v5, s11, v[7:8]
	s_delay_alu instid0(VALU_DEP_2) | instskip(NEXT) | instid1(VALU_DEP_2)
	v_dual_mov_b32 v5, v8 :: v_dual_mov_b32 v6, v10
	v_mov_b32_e32 v7, v11
	s_cbranch_scc1 .LBB8_1107
.LBB8_1108:
	s_and_not1_b32 vcc_lo, exec_lo, s6
	s_cbranch_vccnz .LBB8_1111
; %bb.1109:
	s_clause 0x1
	s_load_b128 s[4:7], s[20:21], 0x4
	s_load_b64 s[2:3], s[20:21], 0xc4
	s_cmp_lt_u32 s28, 2
	s_waitcnt lgkmcnt(0)
	v_mul_hi_u32 v5, s5, v4
	s_delay_alu instid0(VALU_DEP_1) | instskip(NEXT) | instid1(VALU_DEP_1)
	v_add_nc_u32_e32 v5, v4, v5
	v_lshrrev_b32_e32 v5, s6, v5
	s_waitcnt vmcnt(0)
	s_delay_alu instid0(VALU_DEP_1) | instskip(NEXT) | instid1(VALU_DEP_1)
	v_mul_lo_u32 v6, v5, s4
	v_sub_nc_u32_e32 v4, v4, v6
	s_delay_alu instid0(VALU_DEP_1)
	v_mul_lo_u32 v6, v4, s2
	v_mul_lo_u32 v7, v4, s3
	s_cbranch_scc1 .LBB8_1111
; %bb.1110:
	s_clause 0x1
	s_load_b128 s[4:7], s[20:21], 0x10
	s_load_b64 s[2:3], s[20:21], 0xcc
	s_waitcnt lgkmcnt(0)
	v_mul_hi_u32 v4, s5, v5
	s_delay_alu instid0(VALU_DEP_1) | instskip(NEXT) | instid1(VALU_DEP_1)
	v_add_nc_u32_e32 v4, v5, v4
	v_lshrrev_b32_e32 v4, s6, v4
	s_delay_alu instid0(VALU_DEP_1) | instskip(NEXT) | instid1(VALU_DEP_1)
	v_mul_lo_u32 v4, v4, s4
	v_sub_nc_u32_e32 v8, v5, v4
	s_delay_alu instid0(VALU_DEP_1) | instskip(SKIP_1) | instid1(VALU_DEP_1)
	v_mad_u64_u32 v[4:5], null, v8, s2, v[6:7]
	v_mad_u64_u32 v[5:6], null, v8, s3, v[7:8]
	v_dual_mov_b32 v6, v4 :: v_dual_mov_b32 v7, v5
.LBB8_1111:
	v_cmp_ne_u32_e32 vcc_lo, 1, v1
	v_add_nc_u32_e32 v4, 0x100, v9
	s_cbranch_vccnz .LBB8_1117
; %bb.1112:
	v_mov_b32_e32 v5, 0
	v_mov_b32_e32 v9, 0
	s_cmp_lg_u32 s28, 0
	s_mov_b32 s6, 0
	s_cbranch_scc0 .LBB8_1121
; %bb.1113:
	s_min_u32 s7, s29, 15
	v_mov_b32_e32 v5, 0
	s_add_i32 s7, s7, 1
	s_cmp_eq_u32 s29, 2
	s_mov_b32 s8, 0
	s_cbranch_scc1 .LBB8_1118
; %bb.1114:
	v_dual_mov_b32 v9, 0 :: v_dual_mov_b32 v8, v4
	v_mov_b32_e32 v5, 0
	s_add_u32 s2, s20, 0xc4
	s_addc_u32 s3, s21, 0
	s_and_b32 s8, s7, 28
	s_mov_b32 s9, 0
	s_mov_b64 s[4:5], s[20:21]
.LBB8_1115:                             ; =>This Inner Loop Header: Depth=1
	s_clause 0x1
	s_load_b256 s[36:43], s[4:5], 0x4
	s_load_b128 s[16:19], s[4:5], 0x24
	s_load_b256 s[44:51], s[2:3], 0x0
	s_add_u32 s4, s4, 48
	s_addc_u32 s5, s5, 0
	s_add_i32 s9, s9, 4
	s_add_u32 s2, s2, 32
	s_addc_u32 s3, s3, 0
	s_cmp_lg_u32 s8, s9
	s_waitcnt lgkmcnt(0)
	v_mul_hi_u32 v10, s37, v8
	s_delay_alu instid0(VALU_DEP_1) | instskip(NEXT) | instid1(VALU_DEP_1)
	v_add_nc_u32_e32 v10, v8, v10
	v_lshrrev_b32_e32 v10, s38, v10
	s_delay_alu instid0(VALU_DEP_1) | instskip(SKIP_1) | instid1(VALU_DEP_2)
	v_mul_hi_u32 v11, s40, v10
	v_mul_lo_u32 v13, v10, s36
	v_add_nc_u32_e32 v11, v10, v11
	s_delay_alu instid0(VALU_DEP_2) | instskip(NEXT) | instid1(VALU_DEP_2)
	v_sub_nc_u32_e32 v8, v8, v13
	v_lshrrev_b32_e32 v11, s41, v11
	s_delay_alu instid0(VALU_DEP_2) | instskip(SKIP_1) | instid1(VALU_DEP_3)
	v_mul_lo_u32 v13, v8, s44
	v_mul_lo_u32 v15, v8, s45
	v_mul_hi_u32 v12, s43, v11
	s_delay_alu instid0(VALU_DEP_1) | instskip(NEXT) | instid1(VALU_DEP_1)
	v_add_nc_u32_e32 v12, v11, v12
	v_lshrrev_b32_e32 v12, s16, v12
	s_delay_alu instid0(VALU_DEP_1) | instskip(SKIP_1) | instid1(VALU_DEP_2)
	v_mul_hi_u32 v14, s18, v12
	v_mul_lo_u32 v16, v12, s42
	v_add_nc_u32_e32 v8, v12, v14
	v_mul_lo_u32 v14, v11, s39
	s_delay_alu instid0(VALU_DEP_3) | instskip(NEXT) | instid1(VALU_DEP_3)
	v_sub_nc_u32_e32 v11, v11, v16
	v_lshrrev_b32_e32 v8, s19, v8
	s_delay_alu instid0(VALU_DEP_2) | instskip(SKIP_2) | instid1(VALU_DEP_4)
	v_mul_lo_u32 v16, v11, s48
	v_mul_lo_u32 v11, v11, s49
	v_sub_nc_u32_e32 v10, v10, v14
	v_mul_lo_u32 v17, v8, s17
	s_delay_alu instid0(VALU_DEP_2) | instskip(SKIP_1) | instid1(VALU_DEP_3)
	v_mul_lo_u32 v14, v10, s46
	v_mul_lo_u32 v10, v10, s47
	v_sub_nc_u32_e32 v12, v12, v17
	s_delay_alu instid0(VALU_DEP_3) | instskip(NEXT) | instid1(VALU_DEP_2)
	v_add3_u32 v5, v13, v5, v14
	v_mul_lo_u32 v17, v12, s50
	v_mul_lo_u32 v12, v12, s51
	v_add3_u32 v9, v15, v9, v10
	s_delay_alu instid0(VALU_DEP_3) | instskip(NEXT) | instid1(VALU_DEP_2)
	v_add3_u32 v5, v16, v5, v17
	v_add3_u32 v9, v11, v9, v12
	s_cbranch_scc1 .LBB8_1115
; %bb.1116:
	s_and_b32 s7, s7, 3
	s_delay_alu instid0(SALU_CYCLE_1)
	s_cmp_eq_u32 s7, 0
	s_cbranch_scc0 .LBB8_1119
	s_branch .LBB8_1121
.LBB8_1117:
	s_mov_b32 s6, -1
                                        ; implicit-def: $vgpr5
                                        ; implicit-def: $vgpr9
	s_branch .LBB8_1121
.LBB8_1118:
	v_dual_mov_b32 v8, v4 :: v_dual_mov_b32 v9, 0
	s_and_b32 s7, s7, 3
	s_delay_alu instid0(SALU_CYCLE_1)
	s_cmp_eq_u32 s7, 0
	s_cbranch_scc1 .LBB8_1121
.LBB8_1119:
	s_lshl_b32 s2, s8, 3
	s_mul_i32 s4, s8, 12
	s_add_u32 s2, s2, s20
	s_addc_u32 s3, 0, s21
	s_add_u32 s2, s2, 0xc4
	s_addc_u32 s3, s3, 0
	;; [unrolled: 2-line block ×3, first 2 shown]
	.p2align	6
.LBB8_1120:                             ; =>This Inner Loop Header: Depth=1
	s_clause 0x1
	s_load_b64 s[8:9], s[4:5], 0x4
	s_load_b32 s14, s[4:5], 0xc
	s_load_b64 s[10:11], s[2:3], 0x0
	s_add_u32 s4, s4, 12
	s_addc_u32 s5, s5, 0
	s_add_u32 s2, s2, 8
	s_addc_u32 s3, s3, 0
	s_add_i32 s7, s7, -1
	s_delay_alu instid0(SALU_CYCLE_1) | instskip(SKIP_2) | instid1(VALU_DEP_1)
	s_cmp_lg_u32 s7, 0
	s_waitcnt lgkmcnt(0)
	v_mul_hi_u32 v10, s9, v8
	v_add_nc_u32_e32 v10, v8, v10
	s_delay_alu instid0(VALU_DEP_1) | instskip(NEXT) | instid1(VALU_DEP_1)
	v_lshrrev_b32_e32 v13, s14, v10
	v_mul_lo_u32 v10, v13, s8
	s_delay_alu instid0(VALU_DEP_1) | instskip(SKIP_1) | instid1(VALU_DEP_1)
	v_sub_nc_u32_e32 v8, v8, v10
	s_waitcnt vmcnt(0)
	v_mad_u64_u32 v[10:11], null, v8, s10, v[5:6]
	s_delay_alu instid0(VALU_DEP_1) | instskip(SKIP_1) | instid1(VALU_DEP_2)
	v_mad_u64_u32 v[11:12], null, v8, s11, v[9:10]
	v_dual_mov_b32 v8, v13 :: v_dual_mov_b32 v5, v10
	v_mov_b32_e32 v9, v11
	s_cbranch_scc1 .LBB8_1120
.LBB8_1121:
	s_and_not1_b32 vcc_lo, exec_lo, s6
	s_cbranch_vccnz .LBB8_1124
; %bb.1122:
	s_clause 0x1
	s_load_b128 s[4:7], s[20:21], 0x4
	s_load_b64 s[2:3], s[20:21], 0xc4
	s_cmp_lt_u32 s28, 2
	s_waitcnt lgkmcnt(0)
	v_mul_hi_u32 v5, s5, v4
	s_delay_alu instid0(VALU_DEP_1) | instskip(NEXT) | instid1(VALU_DEP_1)
	v_add_nc_u32_e32 v5, v4, v5
	v_lshrrev_b32_e32 v8, s6, v5
	s_delay_alu instid0(VALU_DEP_1) | instskip(NEXT) | instid1(VALU_DEP_1)
	v_mul_lo_u32 v5, v8, s4
	v_sub_nc_u32_e32 v4, v4, v5
	s_delay_alu instid0(VALU_DEP_1)
	v_mul_lo_u32 v5, v4, s2
	v_mul_lo_u32 v9, v4, s3
	s_cbranch_scc1 .LBB8_1124
; %bb.1123:
	s_clause 0x1
	s_load_b128 s[4:7], s[20:21], 0x10
	s_load_b64 s[2:3], s[20:21], 0xcc
	s_waitcnt lgkmcnt(0)
	v_mul_hi_u32 v4, s5, v8
	s_delay_alu instid0(VALU_DEP_1) | instskip(NEXT) | instid1(VALU_DEP_1)
	v_add_nc_u32_e32 v4, v8, v4
	v_lshrrev_b32_e32 v4, s6, v4
	s_delay_alu instid0(VALU_DEP_1) | instskip(NEXT) | instid1(VALU_DEP_1)
	v_mul_lo_u32 v4, v4, s4
	v_sub_nc_u32_e32 v8, v8, v4
	s_waitcnt vmcnt(0)
	s_delay_alu instid0(VALU_DEP_1) | instskip(NEXT) | instid1(VALU_DEP_1)
	v_mad_u64_u32 v[10:11], null, v8, s2, v[5:6]
	v_mad_u64_u32 v[4:5], null, v8, s3, v[9:10]
	v_mov_b32_e32 v5, v10
	s_delay_alu instid0(VALU_DEP_2)
	v_mov_b32_e32 v9, v4
.LBB8_1124:
	v_cmp_ne_u32_e32 vcc_lo, 1, v1
	s_cbranch_vccnz .LBB8_1130
; %bb.1125:
	v_dual_mov_b32 v4, 0 :: v_dual_mov_b32 v1, 0
	s_cmp_lg_u32 s28, 0
	s_mov_b32 s6, 0
	s_cbranch_scc0 .LBB8_1134
; %bb.1126:
	s_min_u32 s7, s29, 15
	v_mov_b32_e32 v4, 0
	s_add_i32 s7, s7, 1
	s_cmp_eq_u32 s29, 2
	s_mov_b32 s8, 0
	s_cbranch_scc1 .LBB8_1131
; %bb.1127:
	v_dual_mov_b32 v1, 0 :: v_dual_mov_b32 v4, 0
	v_mov_b32_e32 v8, v3
	s_add_u32 s2, s20, 0xc4
	s_addc_u32 s3, s21, 0
	s_and_b32 s8, s7, 28
	s_mov_b32 s9, 0
	s_mov_b64 s[4:5], s[20:21]
.LBB8_1128:                             ; =>This Inner Loop Header: Depth=1
	s_clause 0x1
	s_load_b256 s[36:43], s[4:5], 0x4
	s_load_b128 s[16:19], s[4:5], 0x24
	s_load_b256 s[44:51], s[2:3], 0x0
	s_add_u32 s4, s4, 48
	s_addc_u32 s5, s5, 0
	s_add_i32 s9, s9, 4
	s_add_u32 s2, s2, 32
	s_addc_u32 s3, s3, 0
	s_cmp_lg_u32 s8, s9
	s_waitcnt lgkmcnt(0)
	v_mul_hi_u32 v10, s37, v8
	s_delay_alu instid0(VALU_DEP_1) | instskip(NEXT) | instid1(VALU_DEP_1)
	v_add_nc_u32_e32 v10, v8, v10
	v_lshrrev_b32_e32 v10, s38, v10
	s_delay_alu instid0(VALU_DEP_1) | instskip(SKIP_1) | instid1(VALU_DEP_2)
	v_mul_hi_u32 v11, s40, v10
	v_mul_lo_u32 v13, v10, s36
	v_add_nc_u32_e32 v11, v10, v11
	s_delay_alu instid0(VALU_DEP_2) | instskip(NEXT) | instid1(VALU_DEP_2)
	v_sub_nc_u32_e32 v8, v8, v13
	v_lshrrev_b32_e32 v11, s41, v11
	s_delay_alu instid0(VALU_DEP_2) | instskip(SKIP_1) | instid1(VALU_DEP_3)
	v_mul_lo_u32 v13, v8, s44
	v_mul_lo_u32 v15, v8, s45
	v_mul_hi_u32 v12, s43, v11
	s_delay_alu instid0(VALU_DEP_1) | instskip(NEXT) | instid1(VALU_DEP_1)
	v_add_nc_u32_e32 v12, v11, v12
	v_lshrrev_b32_e32 v12, s16, v12
	s_delay_alu instid0(VALU_DEP_1) | instskip(SKIP_1) | instid1(VALU_DEP_2)
	v_mul_hi_u32 v14, s18, v12
	v_mul_lo_u32 v16, v12, s42
	v_add_nc_u32_e32 v8, v12, v14
	v_mul_lo_u32 v14, v11, s39
	s_delay_alu instid0(VALU_DEP_3) | instskip(NEXT) | instid1(VALU_DEP_3)
	v_sub_nc_u32_e32 v11, v11, v16
	v_lshrrev_b32_e32 v8, s19, v8
	s_delay_alu instid0(VALU_DEP_2) | instskip(SKIP_2) | instid1(VALU_DEP_4)
	v_mul_lo_u32 v16, v11, s48
	v_mul_lo_u32 v11, v11, s49
	v_sub_nc_u32_e32 v10, v10, v14
	v_mul_lo_u32 v17, v8, s17
	s_delay_alu instid0(VALU_DEP_2) | instskip(SKIP_1) | instid1(VALU_DEP_3)
	v_mul_lo_u32 v14, v10, s46
	v_mul_lo_u32 v10, v10, s47
	v_sub_nc_u32_e32 v12, v12, v17
	s_delay_alu instid0(VALU_DEP_3) | instskip(NEXT) | instid1(VALU_DEP_2)
	v_add3_u32 v4, v13, v4, v14
	v_mul_lo_u32 v17, v12, s50
	v_mul_lo_u32 v12, v12, s51
	v_add3_u32 v1, v15, v1, v10
	s_delay_alu instid0(VALU_DEP_3) | instskip(NEXT) | instid1(VALU_DEP_2)
	v_add3_u32 v4, v16, v4, v17
	v_add3_u32 v1, v11, v1, v12
	s_cbranch_scc1 .LBB8_1128
; %bb.1129:
	s_and_b32 s7, s7, 3
	s_delay_alu instid0(SALU_CYCLE_1)
	s_cmp_eq_u32 s7, 0
	s_cbranch_scc0 .LBB8_1132
	s_branch .LBB8_1134
.LBB8_1130:
	s_mov_b32 s6, -1
                                        ; implicit-def: $vgpr4
                                        ; implicit-def: $vgpr1
	s_branch .LBB8_1134
.LBB8_1131:
	v_dual_mov_b32 v8, v3 :: v_dual_mov_b32 v1, 0
	s_and_b32 s7, s7, 3
	s_delay_alu instid0(SALU_CYCLE_1)
	s_cmp_eq_u32 s7, 0
	s_cbranch_scc1 .LBB8_1134
.LBB8_1132:
	s_lshl_b32 s2, s8, 3
	s_mul_i32 s4, s8, 12
	s_add_u32 s2, s2, s20
	s_addc_u32 s3, 0, s21
	s_add_u32 s2, s2, 0xc4
	s_addc_u32 s3, s3, 0
	;; [unrolled: 2-line block ×3, first 2 shown]
	.p2align	6
.LBB8_1133:                             ; =>This Inner Loop Header: Depth=1
	s_clause 0x1
	s_load_b64 s[8:9], s[4:5], 0x4
	s_load_b32 s14, s[4:5], 0xc
	s_load_b64 s[10:11], s[2:3], 0x0
	s_add_u32 s4, s4, 12
	s_addc_u32 s5, s5, 0
	s_add_u32 s2, s2, 8
	s_addc_u32 s3, s3, 0
	s_add_i32 s7, s7, -1
	s_delay_alu instid0(SALU_CYCLE_1) | instskip(SKIP_2) | instid1(VALU_DEP_1)
	s_cmp_lg_u32 s7, 0
	s_waitcnt lgkmcnt(0)
	v_mul_hi_u32 v10, s9, v8
	v_add_nc_u32_e32 v10, v8, v10
	s_delay_alu instid0(VALU_DEP_1) | instskip(NEXT) | instid1(VALU_DEP_1)
	v_lshrrev_b32_e32 v13, s14, v10
	v_mul_lo_u32 v10, v13, s8
	s_delay_alu instid0(VALU_DEP_1) | instskip(NEXT) | instid1(VALU_DEP_1)
	v_sub_nc_u32_e32 v8, v8, v10
	v_mad_u64_u32 v[10:11], null, v8, s10, v[4:5]
	v_mad_u64_u32 v[11:12], null, v8, s11, v[1:2]
	v_mov_b32_e32 v8, v13
	s_delay_alu instid0(VALU_DEP_2)
	v_dual_mov_b32 v4, v10 :: v_dual_mov_b32 v1, v11
	s_cbranch_scc1 .LBB8_1133
.LBB8_1134:
	s_and_not1_b32 vcc_lo, exec_lo, s6
	s_cbranch_vccnz .LBB8_1137
; %bb.1135:
	s_clause 0x1
	s_load_b128 s[4:7], s[20:21], 0x4
	s_load_b64 s[2:3], s[20:21], 0xc4
	s_cmp_lt_u32 s28, 2
	s_waitcnt lgkmcnt(0)
	v_mul_hi_u32 v1, s5, v3
	s_delay_alu instid0(VALU_DEP_1) | instskip(NEXT) | instid1(VALU_DEP_1)
	v_add_nc_u32_e32 v1, v3, v1
	v_lshrrev_b32_e32 v8, s6, v1
	s_delay_alu instid0(VALU_DEP_1) | instskip(NEXT) | instid1(VALU_DEP_1)
	v_mul_lo_u32 v1, v8, s4
	v_sub_nc_u32_e32 v1, v3, v1
	s_delay_alu instid0(VALU_DEP_1)
	v_mul_lo_u32 v4, v1, s2
	v_mul_lo_u32 v1, v1, s3
	s_cbranch_scc1 .LBB8_1137
; %bb.1136:
	s_clause 0x1
	s_load_b128 s[4:7], s[20:21], 0x10
	s_load_b64 s[2:3], s[20:21], 0xcc
	s_waitcnt lgkmcnt(0)
	v_mul_hi_u32 v3, s5, v8
	s_delay_alu instid0(VALU_DEP_1) | instskip(NEXT) | instid1(VALU_DEP_1)
	v_add_nc_u32_e32 v3, v8, v3
	v_lshrrev_b32_e32 v3, s6, v3
	s_delay_alu instid0(VALU_DEP_1) | instskip(NEXT) | instid1(VALU_DEP_1)
	v_mul_lo_u32 v3, v3, s4
	v_sub_nc_u32_e32 v8, v8, v3
	s_delay_alu instid0(VALU_DEP_1) | instskip(SKIP_1) | instid1(VALU_DEP_1)
	v_mad_u64_u32 v[10:11], null, v8, s2, v[4:5]
	v_mad_u64_u32 v[3:4], null, v8, s3, v[1:2]
	v_dual_mov_b32 v4, v10 :: v_dual_mov_b32 v1, v3
.LBB8_1137:
	s_clause 0x1
	s_load_b32 s0, s[0:1], 0x170
	s_load_b256 s[4:11], s[20:21], 0x148
	s_waitcnt lgkmcnt(0)
	s_lshr_b32 s0, s0, 8
	s_delay_alu instid0(SALU_CYCLE_1) | instskip(SKIP_1) | instid1(VALU_DEP_1)
	v_and_b32_e64 v21, 0xff, s0
	v_add_co_u32 v10, s0, s6, v2
	v_add_co_ci_u32_e64 v11, null, s7, 0, s0
	s_delay_alu instid0(VALU_DEP_3)
	v_cmp_gt_i16_e32 vcc_lo, 11, v21
	s_mov_b32 s0, 0
	s_cbranch_vccnz .LBB8_1144
; %bb.1138:
	v_cmp_lt_i16_e32 vcc_lo, 25, v21
	s_mov_b32 s3, 0
	s_cbranch_vccz .LBB8_1150
; %bb.1139:
	v_cmp_lt_i16_e32 vcc_lo, 28, v21
	s_cbranch_vccz .LBB8_1152
; %bb.1140:
	v_cmp_lt_i16_e32 vcc_lo, 43, v21
	s_cbranch_vccz .LBB8_1154
; %bb.1141:
	v_cmp_lt_i16_e32 vcc_lo, 45, v21
	s_cbranch_vccz .LBB8_1158
; %bb.1142:
	v_cmp_eq_u16_e32 vcc_lo, 46, v21
	s_mov_b32 s1, 0
	s_cbranch_vccz .LBB8_1200
; %bb.1143:
	global_load_b32 v2, v[10:11], off
	s_mov_b32 s2, 0
	s_mov_b32 s0, -1
	s_waitcnt vmcnt(0)
	v_lshlrev_b32_e32 v2, 16, v2
	s_delay_alu instid0(VALU_DEP_1)
	v_cvt_f64_f32_e32 v[2:3], v2
	s_branch .LBB8_1202
.LBB8_1144:
	s_mov_b32 s2, s12
                                        ; implicit-def: $vgpr2_vgpr3
	s_cbranch_execz .LBB8_1265
; %bb.1145:
	v_cmp_gt_i16_e32 vcc_lo, 5, v21
	s_cbranch_vccnz .LBB8_1151
; %bb.1146:
	v_cmp_gt_i16_e32 vcc_lo, 8, v21
	s_cbranch_vccnz .LBB8_1153
	;; [unrolled: 3-line block ×3, first 2 shown]
; %bb.1148:
	v_cmp_lt_i16_e32 vcc_lo, 9, v21
	s_cbranch_vccz .LBB8_1159
; %bb.1149:
	global_load_b64 v[2:3], v[10:11], off
	s_mov_b32 s0, 0
	s_branch .LBB8_1160
.LBB8_1150:
	s_mov_b32 s2, 0
                                        ; implicit-def: $vgpr2_vgpr3
	s_cbranch_execnz .LBB8_1232
	s_branch .LBB8_1261
.LBB8_1151:
                                        ; implicit-def: $vgpr2_vgpr3
	s_branch .LBB8_1177
.LBB8_1152:
	s_mov_b32 s1, -1
	s_mov_b32 s2, 0
                                        ; implicit-def: $vgpr2_vgpr3
	s_branch .LBB8_1211
.LBB8_1153:
                                        ; implicit-def: $vgpr2_vgpr3
	s_branch .LBB8_1166
.LBB8_1154:
	s_mov_b32 s2, 0
                                        ; implicit-def: $vgpr2_vgpr3
	s_cbranch_execnz .LBB8_1207
	s_branch .LBB8_1210
.LBB8_1155:
	s_mov_b32 s0, -1
                                        ; implicit-def: $vgpr2_vgpr3
	s_branch .LBB8_1163
.LBB8_1156:
	s_cbranch_execnz .LBB8_1198
; %bb.1157:
	s_or_b32 s3, s3, exec_lo
	s_and_not1_b32 s12, s12, exec_lo
	s_or_b32 exec_lo, exec_lo, s2
	s_and_saveexec_b32 s2, s12
	s_delay_alu instid0(SALU_CYCLE_1)
	s_xor_b32 s2, exec_lo, s2
	s_cbranch_execnz .LBB8_1044
	s_branch .LBB8_1045
.LBB8_1158:
	s_mov_b32 s1, -1
	s_mov_b32 s2, 0
	s_branch .LBB8_1201
.LBB8_1159:
	s_mov_b32 s0, -1
                                        ; implicit-def: $vgpr2_vgpr3
.LBB8_1160:
	s_delay_alu instid0(SALU_CYCLE_1)
	s_and_not1_b32 vcc_lo, exec_lo, s0
	s_cbranch_vccnz .LBB8_1162
; %bb.1161:
	global_load_b32 v2, v[10:11], off
	s_waitcnt vmcnt(0)
	v_cvt_f64_f32_e32 v[2:3], v2
.LBB8_1162:
	s_mov_b32 s0, 0
.LBB8_1163:
	s_delay_alu instid0(SALU_CYCLE_1)
	s_and_not1_b32 vcc_lo, exec_lo, s0
	s_cbranch_vccnz .LBB8_1165
; %bb.1164:
	global_load_b32 v2, v[10:11], off
	s_waitcnt vmcnt(0)
	v_cvt_f32_f16_e32 v2, v2
	s_delay_alu instid0(VALU_DEP_1)
	v_cvt_f64_f32_e32 v[2:3], v2
.LBB8_1165:
	s_cbranch_execnz .LBB8_1176
.LBB8_1166:
	v_cmp_gt_i16_e32 vcc_lo, 6, v21
	s_cbranch_vccnz .LBB8_1169
; %bb.1167:
	v_cmp_lt_i16_e32 vcc_lo, 6, v21
	s_cbranch_vccz .LBB8_1170
; %bb.1168:
	global_load_b64 v[2:3], v[10:11], off
	s_mov_b32 s0, 0
	s_branch .LBB8_1171
.LBB8_1169:
	s_mov_b32 s0, -1
                                        ; implicit-def: $vgpr2_vgpr3
	s_branch .LBB8_1174
.LBB8_1170:
	s_mov_b32 s0, -1
                                        ; implicit-def: $vgpr2_vgpr3
.LBB8_1171:
	s_delay_alu instid0(SALU_CYCLE_1)
	s_and_not1_b32 vcc_lo, exec_lo, s0
	s_cbranch_vccnz .LBB8_1173
; %bb.1172:
	global_load_b32 v2, v[10:11], off
	s_waitcnt vmcnt(0)
	v_cvt_f64_f32_e32 v[2:3], v2
.LBB8_1173:
	s_mov_b32 s0, 0
.LBB8_1174:
	s_delay_alu instid0(SALU_CYCLE_1)
	s_and_not1_b32 vcc_lo, exec_lo, s0
	s_cbranch_vccnz .LBB8_1176
; %bb.1175:
	global_load_u16 v2, v[10:11], off
	s_waitcnt vmcnt(0)
	v_cvt_f32_f16_e32 v2, v2
	s_delay_alu instid0(VALU_DEP_1)
	v_cvt_f64_f32_e32 v[2:3], v2
.LBB8_1176:
	s_cbranch_execnz .LBB8_1195
.LBB8_1177:
	v_cmp_gt_i16_e32 vcc_lo, 2, v21
	s_cbranch_vccnz .LBB8_1181
; %bb.1178:
	v_cmp_gt_i16_e32 vcc_lo, 3, v21
	s_cbranch_vccnz .LBB8_1182
; %bb.1179:
	v_cmp_lt_i16_e32 vcc_lo, 3, v21
	s_cbranch_vccz .LBB8_1183
; %bb.1180:
	global_load_b64 v[2:3], v[10:11], off
	s_mov_b32 s0, 0
	s_waitcnt vmcnt(0)
	v_cvt_f64_i32_e32 v[12:13], v3
	v_cvt_f64_u32_e32 v[2:3], v2
	s_delay_alu instid0(VALU_DEP_2) | instskip(NEXT) | instid1(VALU_DEP_1)
	v_ldexp_f64 v[12:13], v[12:13], 32
	v_add_f64 v[2:3], v[12:13], v[2:3]
	s_branch .LBB8_1184
.LBB8_1181:
                                        ; implicit-def: $vgpr2_vgpr3
	s_branch .LBB8_1190
.LBB8_1182:
	s_mov_b32 s0, -1
                                        ; implicit-def: $vgpr2_vgpr3
	s_branch .LBB8_1187
.LBB8_1183:
	s_mov_b32 s0, -1
                                        ; implicit-def: $vgpr2_vgpr3
.LBB8_1184:
	s_delay_alu instid0(SALU_CYCLE_1)
	s_and_not1_b32 vcc_lo, exec_lo, s0
	s_cbranch_vccnz .LBB8_1186
; %bb.1185:
	global_load_b32 v2, v[10:11], off
	s_waitcnt vmcnt(0)
	v_cvt_f64_i32_e32 v[2:3], v2
.LBB8_1186:
	s_mov_b32 s0, 0
.LBB8_1187:
	s_delay_alu instid0(SALU_CYCLE_1)
	s_and_not1_b32 vcc_lo, exec_lo, s0
	s_cbranch_vccnz .LBB8_1189
; %bb.1188:
	global_load_i16 v2, v[10:11], off
	s_waitcnt vmcnt(0)
	v_cvt_f64_i32_e32 v[2:3], v2
.LBB8_1189:
	s_cbranch_execnz .LBB8_1195
.LBB8_1190:
	v_cmp_lt_i16_e32 vcc_lo, 0, v21
	s_mov_b32 s0, 0
	s_cbranch_vccz .LBB8_1192
; %bb.1191:
	global_load_i8 v2, v[10:11], off
	s_waitcnt vmcnt(0)
	v_cvt_f64_i32_e32 v[2:3], v2
	s_branch .LBB8_1193
.LBB8_1192:
	s_mov_b32 s0, -1
                                        ; implicit-def: $vgpr2_vgpr3
.LBB8_1193:
	s_delay_alu instid0(SALU_CYCLE_1)
	s_and_not1_b32 vcc_lo, exec_lo, s0
	s_cbranch_vccnz .LBB8_1195
; %bb.1194:
	global_load_u8 v2, v[10:11], off
	s_waitcnt vmcnt(0)
	v_cvt_f64_u32_e32 v[2:3], v2
.LBB8_1195:
	s_branch .LBB8_1266
.LBB8_1196:
	s_trap 2
	s_sendmsg_rtn_b32 s0, sendmsg(MSG_RTN_GET_DOORBELL)
	s_mov_b32 ttmp2, m0
	s_waitcnt lgkmcnt(0)
	s_and_b32 s0, s0, 0x3ff
	s_delay_alu instid0(SALU_CYCLE_1) | instskip(NEXT) | instid1(SALU_CYCLE_1)
	s_bitset1_b32 s0, 10
	s_mov_b32 m0, s0
	s_sendmsg sendmsg(MSG_INTERRUPT)
	s_mov_b32 m0, ttmp2
.LBB8_1197:                             ; =>This Inner Loop Header: Depth=1
	s_sethalt 5
	s_branch .LBB8_1197
.LBB8_1198:
	s_trap 2
	s_sendmsg_rtn_b32 s0, sendmsg(MSG_RTN_GET_DOORBELL)
	s_mov_b32 ttmp2, m0
	s_waitcnt lgkmcnt(0)
	s_and_b32 s0, s0, 0x3ff
	s_delay_alu instid0(SALU_CYCLE_1) | instskip(NEXT) | instid1(SALU_CYCLE_1)
	s_bitset1_b32 s0, 10
	s_mov_b32 m0, s0
	s_sendmsg sendmsg(MSG_INTERRUPT)
	s_mov_b32 m0, ttmp2
.LBB8_1199:                             ; =>This Inner Loop Header: Depth=1
	s_sethalt 5
	s_branch .LBB8_1199
.LBB8_1200:
	s_mov_b32 s2, -1
.LBB8_1201:
                                        ; implicit-def: $vgpr2_vgpr3
.LBB8_1202:
	s_and_b32 vcc_lo, exec_lo, s1
	s_cbranch_vccz .LBB8_1205
; %bb.1203:
	v_cmp_eq_u16_e32 vcc_lo, 44, v21
	s_cbranch_vccz .LBB8_1206
; %bb.1204:
	global_load_u8 v8, v[10:11], off
	s_mov_b32 s2, 0
	s_mov_b32 s0, -1
	s_waitcnt vmcnt(0)
	v_cmp_ne_u32_e32 vcc_lo, 0xff, v8
	v_lshlrev_b32_e32 v2, 23, v8
	s_delay_alu instid0(VALU_DEP_1) | instskip(NEXT) | instid1(VALU_DEP_1)
	v_cvt_f64_f32_e32 v[2:3], v2
	v_cndmask_b32_e32 v3, 0x7ff80000, v3, vcc_lo
	s_delay_alu instid0(VALU_DEP_2) | instskip(SKIP_1) | instid1(VALU_DEP_3)
	v_cndmask_b32_e32 v2, 0x20000000, v2, vcc_lo
	v_cmp_ne_u32_e32 vcc_lo, 0, v8
	v_cndmask_b32_e32 v3, 0x38000000, v3, vcc_lo
	s_delay_alu instid0(VALU_DEP_3)
	v_cndmask_b32_e32 v2, 0, v2, vcc_lo
.LBB8_1205:
	s_branch .LBB8_1210
.LBB8_1206:
	s_mov_b32 s2, -1
                                        ; implicit-def: $vgpr2_vgpr3
	s_branch .LBB8_1210
.LBB8_1207:
	v_cmp_eq_u16_e32 vcc_lo, 29, v21
	s_cbranch_vccz .LBB8_1209
; %bb.1208:
	global_load_b64 v[2:3], v[10:11], off
	s_mov_b32 s2, 0
	s_mov_b32 s0, -1
	s_mov_b32 s1, 0
	s_waitcnt vmcnt(0)
	v_cvt_f64_u32_e32 v[12:13], v3
	v_cvt_f64_u32_e32 v[2:3], v2
	s_delay_alu instid0(VALU_DEP_2) | instskip(NEXT) | instid1(VALU_DEP_1)
	v_ldexp_f64 v[12:13], v[12:13], 32
	v_add_f64 v[2:3], v[12:13], v[2:3]
	s_branch .LBB8_1211
.LBB8_1209:
	s_mov_b32 s2, -1
                                        ; implicit-def: $vgpr2_vgpr3
.LBB8_1210:
	s_mov_b32 s1, 0
.LBB8_1211:
	s_delay_alu instid0(SALU_CYCLE_1)
	s_and_b32 vcc_lo, exec_lo, s1
	s_cbranch_vccz .LBB8_1231
; %bb.1212:
	v_cmp_gt_i16_e32 vcc_lo, 27, v21
	s_cbranch_vccnz .LBB8_1215
; %bb.1213:
	v_cmp_lt_i16_e32 vcc_lo, 27, v21
	s_cbranch_vccz .LBB8_1216
; %bb.1214:
	global_load_b32 v2, v[10:11], off
	s_mov_b32 s0, 0
	s_waitcnt vmcnt(0)
	v_cvt_f64_u32_e32 v[2:3], v2
	s_branch .LBB8_1217
.LBB8_1215:
	s_mov_b32 s0, -1
                                        ; implicit-def: $vgpr2_vgpr3
	s_branch .LBB8_1220
.LBB8_1216:
	s_mov_b32 s0, -1
                                        ; implicit-def: $vgpr2_vgpr3
.LBB8_1217:
	s_delay_alu instid0(SALU_CYCLE_1)
	s_and_not1_b32 vcc_lo, exec_lo, s0
	s_cbranch_vccnz .LBB8_1219
; %bb.1218:
	global_load_u16 v2, v[10:11], off
	s_waitcnt vmcnt(0)
	v_cvt_f64_u32_e32 v[2:3], v2
.LBB8_1219:
	s_mov_b32 s0, 0
.LBB8_1220:
	s_delay_alu instid0(SALU_CYCLE_1)
	s_and_not1_b32 vcc_lo, exec_lo, s0
	s_cbranch_vccnz .LBB8_1230
; %bb.1221:
	global_load_u8 v8, v[10:11], off
	s_mov_b32 s14, 0
	s_mov_b32 s15, exec_lo
                                        ; implicit-def: $sgpr0_sgpr1
	s_waitcnt vmcnt(0)
	v_cmpx_lt_i16_e32 0x7f, v8
	s_xor_b32 s15, exec_lo, s15
	s_cbranch_execz .LBB8_1225
; %bb.1222:
	s_mov_b32 s16, -1
	s_mov_b32 s14, exec_lo
                                        ; implicit-def: $sgpr0_sgpr1
	v_cmpx_eq_u16_e32 0x80, v8
; %bb.1223:
	s_mov_b32 s1, 0x7ff80000
	s_brev_b32 s0, 4
	s_xor_b32 s16, exec_lo, -1
; %bb.1224:
	s_or_b32 exec_lo, exec_lo, s14
	s_delay_alu instid0(SALU_CYCLE_1)
	s_and_b32 s14, s16, exec_lo
.LBB8_1225:
	s_or_saveexec_b32 s15, s15
	v_dual_mov_b32 v3, s1 :: v_dual_mov_b32 v2, s0
	s_xor_b32 exec_lo, exec_lo, s15
; %bb.1226:
	v_cmp_ne_u16_e32 vcc_lo, 0, v8
	v_mov_b32_e32 v2, 0
	v_mov_b32_e32 v3, 0
	s_and_not1_b32 s0, s14, exec_lo
	s_and_b32 s1, vcc_lo, exec_lo
	s_delay_alu instid0(SALU_CYCLE_1)
	s_or_b32 s14, s0, s1
; %bb.1227:
	s_or_b32 exec_lo, exec_lo, s15
	s_and_saveexec_b32 s0, s14
	s_cbranch_execz .LBB8_1229
; %bb.1228:
	v_and_b32_e32 v2, 0xffff, v8
	v_lshlrev_b32_e32 v8, 24, v8
	s_delay_alu instid0(VALU_DEP_2) | instskip(NEXT) | instid1(VALU_DEP_2)
	v_and_b32_e32 v3, 7, v2
	v_and_b32_e32 v8, 0x80000000, v8
	s_delay_alu instid0(VALU_DEP_2) | instskip(NEXT) | instid1(VALU_DEP_1)
	v_clz_i32_u32_e32 v12, v3
	v_min_u32_e32 v12, 32, v12
	s_delay_alu instid0(VALU_DEP_1) | instskip(SKIP_1) | instid1(VALU_DEP_2)
	v_subrev_nc_u32_e32 v13, 28, v12
	v_sub_nc_u32_e32 v12, 29, v12
	v_lshlrev_b32_e32 v13, v13, v2
	v_bfe_u32 v2, v2, 3, 4
	s_delay_alu instid0(VALU_DEP_2) | instskip(NEXT) | instid1(VALU_DEP_2)
	v_and_b32_e32 v13, 7, v13
	v_cmp_eq_u32_e32 vcc_lo, 0, v2
	s_delay_alu instid0(VALU_DEP_2) | instskip(NEXT) | instid1(VALU_DEP_1)
	v_dual_cndmask_b32 v2, v2, v12 :: v_dual_cndmask_b32 v3, v3, v13
	v_lshl_add_u32 v2, v2, 23, 0x3b800000
	s_delay_alu instid0(VALU_DEP_2) | instskip(NEXT) | instid1(VALU_DEP_1)
	v_lshlrev_b32_e32 v3, 20, v3
	v_or3_b32 v2, v8, v2, v3
	s_delay_alu instid0(VALU_DEP_1)
	v_cvt_f64_f32_e32 v[2:3], v2
.LBB8_1229:
	s_or_b32 exec_lo, exec_lo, s0
.LBB8_1230:
	s_mov_b32 s0, -1
.LBB8_1231:
	s_branch .LBB8_1261
.LBB8_1232:
	v_cmp_lt_i16_e32 vcc_lo, 22, v21
	s_cbranch_vccz .LBB8_1244
; %bb.1233:
	v_cmp_gt_i16_e32 vcc_lo, 24, v21
	s_cbranch_vccnz .LBB8_1245
; %bb.1234:
	v_cmp_lt_i16_e32 vcc_lo, 24, v21
	s_cbranch_vccz .LBB8_1246
; %bb.1235:
	global_load_u8 v8, v[10:11], off
	s_mov_b32 s14, exec_lo
                                        ; implicit-def: $sgpr0_sgpr1
	s_waitcnt vmcnt(0)
	v_cmpx_lt_i16_e32 0x7f, v8
	s_xor_b32 s14, exec_lo, s14
	s_cbranch_execz .LBB8_1239
; %bb.1236:
	s_mov_b32 s15, -1
	s_mov_b32 s3, exec_lo
                                        ; implicit-def: $sgpr0_sgpr1
	v_cmpx_eq_u16_e32 0x80, v8
; %bb.1237:
	s_mov_b32 s1, 0x7ff80000
	s_brev_b32 s0, 4
	s_xor_b32 s15, exec_lo, -1
; %bb.1238:
	s_or_b32 exec_lo, exec_lo, s3
	s_delay_alu instid0(SALU_CYCLE_1)
	s_and_b32 s3, s15, exec_lo
.LBB8_1239:
	s_or_saveexec_b32 s14, s14
	v_dual_mov_b32 v3, s1 :: v_dual_mov_b32 v2, s0
	s_xor_b32 exec_lo, exec_lo, s14
; %bb.1240:
	v_cmp_ne_u16_e32 vcc_lo, 0, v8
	v_mov_b32_e32 v2, 0
	v_mov_b32_e32 v3, 0
	s_and_not1_b32 s0, s3, exec_lo
	s_and_b32 s1, vcc_lo, exec_lo
	s_delay_alu instid0(SALU_CYCLE_1)
	s_or_b32 s3, s0, s1
; %bb.1241:
	s_or_b32 exec_lo, exec_lo, s14
	s_and_saveexec_b32 s0, s3
	s_cbranch_execz .LBB8_1243
; %bb.1242:
	v_and_b32_e32 v2, 0xffff, v8
	v_lshlrev_b32_e32 v8, 24, v8
	s_delay_alu instid0(VALU_DEP_2) | instskip(NEXT) | instid1(VALU_DEP_2)
	v_and_b32_e32 v3, 3, v2
	v_and_b32_e32 v8, 0x80000000, v8
	s_delay_alu instid0(VALU_DEP_2) | instskip(NEXT) | instid1(VALU_DEP_1)
	v_clz_i32_u32_e32 v12, v3
	v_min_u32_e32 v12, 32, v12
	s_delay_alu instid0(VALU_DEP_1) | instskip(SKIP_1) | instid1(VALU_DEP_2)
	v_subrev_nc_u32_e32 v13, 29, v12
	v_sub_nc_u32_e32 v12, 30, v12
	v_lshlrev_b32_e32 v13, v13, v2
	v_bfe_u32 v2, v2, 2, 5
	s_delay_alu instid0(VALU_DEP_2) | instskip(NEXT) | instid1(VALU_DEP_2)
	v_and_b32_e32 v13, 3, v13
	v_cmp_eq_u32_e32 vcc_lo, 0, v2
	s_delay_alu instid0(VALU_DEP_2) | instskip(NEXT) | instid1(VALU_DEP_1)
	v_dual_cndmask_b32 v2, v2, v12 :: v_dual_cndmask_b32 v3, v3, v13
	v_lshl_add_u32 v2, v2, 23, 0x37800000
	s_delay_alu instid0(VALU_DEP_2) | instskip(NEXT) | instid1(VALU_DEP_1)
	v_lshlrev_b32_e32 v3, 21, v3
	v_or3_b32 v2, v8, v2, v3
	s_delay_alu instid0(VALU_DEP_1)
	v_cvt_f64_f32_e32 v[2:3], v2
.LBB8_1243:
	s_or_b32 exec_lo, exec_lo, s0
	s_mov_b32 s0, 0
	s_branch .LBB8_1247
.LBB8_1244:
                                        ; implicit-def: $vgpr2_vgpr3
	s_mov_b32 s3, 0
	s_branch .LBB8_1253
.LBB8_1245:
	s_mov_b32 s0, -1
                                        ; implicit-def: $vgpr2_vgpr3
	s_branch .LBB8_1250
.LBB8_1246:
	s_mov_b32 s0, -1
                                        ; implicit-def: $vgpr2_vgpr3
.LBB8_1247:
	s_delay_alu instid0(SALU_CYCLE_1)
	s_and_b32 vcc_lo, exec_lo, s0
	s_cbranch_vccz .LBB8_1249
; %bb.1248:
	global_load_u8 v2, v[10:11], off
	s_waitcnt vmcnt(0)
	v_lshlrev_b32_e32 v2, 24, v2
	s_delay_alu instid0(VALU_DEP_1) | instskip(NEXT) | instid1(VALU_DEP_1)
	v_and_b32_e32 v3, 0x7f000000, v2
	v_clz_i32_u32_e32 v8, v3
	v_add_nc_u32_e32 v13, 0x1000000, v3
	v_cmp_ne_u32_e32 vcc_lo, 0, v3
	s_delay_alu instid0(VALU_DEP_3) | instskip(NEXT) | instid1(VALU_DEP_1)
	v_min_u32_e32 v8, 32, v8
	v_sub_nc_u32_e64 v8, v8, 4 clamp
	s_delay_alu instid0(VALU_DEP_1) | instskip(SKIP_1) | instid1(VALU_DEP_2)
	v_lshlrev_b32_e32 v12, v8, v3
	v_lshlrev_b32_e32 v8, 23, v8
	v_lshrrev_b32_e32 v12, 4, v12
	s_delay_alu instid0(VALU_DEP_1) | instskip(SKIP_1) | instid1(VALU_DEP_2)
	v_sub_nc_u32_e32 v8, v12, v8
	v_ashrrev_i32_e32 v12, 8, v13
	v_add_nc_u32_e32 v8, 0x3c000000, v8
	s_delay_alu instid0(VALU_DEP_1) | instskip(NEXT) | instid1(VALU_DEP_1)
	v_and_or_b32 v8, 0x7f800000, v12, v8
	v_cndmask_b32_e32 v3, 0, v8, vcc_lo
	s_delay_alu instid0(VALU_DEP_1) | instskip(NEXT) | instid1(VALU_DEP_1)
	v_and_or_b32 v2, 0x80000000, v2, v3
	v_cvt_f64_f32_e32 v[2:3], v2
.LBB8_1249:
	s_mov_b32 s0, 0
.LBB8_1250:
	s_delay_alu instid0(SALU_CYCLE_1)
	s_and_not1_b32 vcc_lo, exec_lo, s0
	s_cbranch_vccnz .LBB8_1252
; %bb.1251:
	global_load_u8 v2, v[10:11], off
	s_waitcnt vmcnt(0)
	v_lshlrev_b32_e32 v3, 25, v2
	v_lshlrev_b16 v2, 8, v2
	s_delay_alu instid0(VALU_DEP_1) | instskip(SKIP_1) | instid1(VALU_DEP_2)
	v_and_or_b32 v12, 0x7f00, v2, 0.5
	v_bfe_i32 v2, v2, 0, 16
	v_add_f32_e32 v12, -0.5, v12
	v_lshrrev_b32_e32 v8, 4, v3
	v_cmp_gt_u32_e32 vcc_lo, 0x8000000, v3
	s_delay_alu instid0(VALU_DEP_2) | instskip(NEXT) | instid1(VALU_DEP_1)
	v_or_b32_e32 v8, 0x70000000, v8
	v_mul_f32_e32 v8, 0x7800000, v8
	s_delay_alu instid0(VALU_DEP_1) | instskip(NEXT) | instid1(VALU_DEP_1)
	v_cndmask_b32_e32 v3, v8, v12, vcc_lo
	v_and_or_b32 v2, 0x80000000, v2, v3
	s_delay_alu instid0(VALU_DEP_1)
	v_cvt_f64_f32_e32 v[2:3], v2
.LBB8_1252:
	s_mov_b32 s0, -1
	s_mov_b32 s3, 0
	s_cbranch_execnz .LBB8_1261
.LBB8_1253:
	v_cmp_lt_i16_e32 vcc_lo, 14, v21
	s_cbranch_vccz .LBB8_1256
; %bb.1254:
	v_cmp_eq_u16_e32 vcc_lo, 15, v21
	s_cbranch_vccz .LBB8_1257
; %bb.1255:
	global_load_u16 v2, v[10:11], off
	s_mov_b32 s2, 0
	s_mov_b32 s0, -1
	s_waitcnt vmcnt(0)
	v_lshlrev_b32_e32 v2, 16, v2
	s_delay_alu instid0(VALU_DEP_1)
	v_cvt_f64_f32_e32 v[2:3], v2
	s_branch .LBB8_1258
.LBB8_1256:
	s_mov_b32 s1, -1
                                        ; implicit-def: $vgpr2_vgpr3
	s_branch .LBB8_1259
.LBB8_1257:
	s_mov_b32 s2, -1
                                        ; implicit-def: $vgpr2_vgpr3
.LBB8_1258:
	s_mov_b32 s1, 0
.LBB8_1259:
	s_delay_alu instid0(SALU_CYCLE_1)
	s_and_b32 vcc_lo, exec_lo, s1
	s_cbranch_vccz .LBB8_1261
; %bb.1260:
	v_cmp_ne_u16_e64 s2, 11, v21
	s_mov_b32 s3, -1
                                        ; implicit-def: $vgpr2_vgpr3
.LBB8_1261:
	s_delay_alu instid0(VALU_DEP_1)
	s_and_b32 vcc_lo, exec_lo, s2
	s_mov_b32 s2, s12
	s_cbranch_vccnz .LBB8_1287
; %bb.1262:
	s_and_not1_b32 vcc_lo, exec_lo, s3
	s_cbranch_vccnz .LBB8_1264
.LBB8_1263:
	global_load_u8 v2, v[10:11], off
	s_mov_b32 s0, -1
	s_waitcnt vmcnt(0)
	v_cmp_ne_u16_e32 vcc_lo, 0, v2
	v_mov_b32_e32 v2, 0
	v_cndmask_b32_e64 v3, 0, 0x3ff00000, vcc_lo
.LBB8_1264:
.LBB8_1265:
	s_and_not1_b32 vcc_lo, exec_lo, s0
	s_cbranch_vccnz .LBB8_2065
.LBB8_1266:
	s_waitcnt vmcnt(0)
	s_delay_alu instid0(VALU_DEP_1) | instskip(SKIP_1) | instid1(VALU_DEP_1)
	v_cvt_f32_f64_e32 v8, v[2:3]
	s_mov_b32 s0, exec_lo
	v_cmpx_nlg_f32_e64 0x7f800000, |v8|
	s_cbranch_execz .LBB8_1268
; %bb.1267:
	v_mov_b32_e32 v8, 0
	v_mov_b32_e32 v10, 1.0
	global_store_b32 v8, v10, s[8:9]
.LBB8_1268:
	s_or_b32 exec_lo, exec_lo, s0
	v_mov_b32_e32 v8, 0
	v_cmp_gt_i16_e32 vcc_lo, 11, v21
	v_add_co_u32 v10, s0, s6, v7
	s_delay_alu instid0(VALU_DEP_1)
	v_add_co_ci_u32_e64 v11, null, s7, 0, s0
	global_load_b32 v22, v8, s[10:11]
	s_mov_b32 s0, 0
	s_cbranch_vccnz .LBB8_1275
; %bb.1269:
	v_cmp_lt_i16_e32 vcc_lo, 25, v21
	s_mov_b32 s14, 0
	s_cbranch_vccz .LBB8_1281
; %bb.1270:
	v_cmp_lt_i16_e32 vcc_lo, 28, v21
	s_cbranch_vccz .LBB8_1283
; %bb.1271:
	v_cmp_lt_i16_e32 vcc_lo, 43, v21
	;; [unrolled: 3-line block ×3, first 2 shown]
	s_cbranch_vccz .LBB8_1291
; %bb.1273:
	v_cmp_eq_u16_e32 vcc_lo, 46, v21
	s_mov_b32 s1, 0
	s_cbranch_vccz .LBB8_1335
; %bb.1274:
	global_load_b32 v7, v[10:11], off
	s_mov_b32 s3, 0
	s_mov_b32 s0, -1
	s_waitcnt vmcnt(0)
	v_lshlrev_b32_e32 v7, 16, v7
	s_delay_alu instid0(VALU_DEP_1)
	v_cvt_f64_f32_e32 v[7:8], v7
	s_branch .LBB8_1337
.LBB8_1275:
                                        ; implicit-def: $vgpr7_vgpr8
	s_cbranch_execz .LBB8_1402
; %bb.1276:
	v_cmp_gt_i16_e32 vcc_lo, 5, v21
	s_cbranch_vccnz .LBB8_1282
; %bb.1277:
	v_cmp_gt_i16_e32 vcc_lo, 8, v21
	s_cbranch_vccnz .LBB8_1284
	;; [unrolled: 3-line block ×3, first 2 shown]
; %bb.1279:
	v_cmp_lt_i16_e32 vcc_lo, 9, v21
	s_cbranch_vccz .LBB8_1292
; %bb.1280:
	global_load_b64 v[7:8], v[10:11], off
	s_mov_b32 s0, 0
	s_branch .LBB8_1293
.LBB8_1281:
	s_mov_b32 s3, 0
                                        ; implicit-def: $vgpr7_vgpr8
	s_cbranch_execnz .LBB8_1368
	s_branch .LBB8_1398
.LBB8_1282:
                                        ; implicit-def: $vgpr7_vgpr8
	s_branch .LBB8_1311
.LBB8_1283:
	s_mov_b32 s1, -1
	s_mov_b32 s3, 0
                                        ; implicit-def: $vgpr7_vgpr8
	s_branch .LBB8_1347
.LBB8_1284:
	s_mov_b32 s0, -1
                                        ; implicit-def: $vgpr7_vgpr8
	s_branch .LBB8_1299
.LBB8_1285:
	s_mov_b32 s1, -1
	s_mov_b32 s3, 0
                                        ; implicit-def: $vgpr7_vgpr8
	s_branch .LBB8_1342
.LBB8_1286:
	s_mov_b32 s0, -1
                                        ; implicit-def: $vgpr7_vgpr8
	s_branch .LBB8_1296
.LBB8_1287:
	s_cbranch_execnz .LBB8_1331
; %bb.1288:
	s_or_b32 s2, s12, exec_lo
                                        ; implicit-def: $vgpr2_vgpr3
	s_cbranch_execz .LBB8_1263
	s_branch .LBB8_1264
.LBB8_1289:
	s_or_saveexec_b32 s7, s7
                                        ; implicit-def: $sgpr8
	s_delay_alu instid0(SALU_CYCLE_1)
	s_xor_b32 exec_lo, exec_lo, s7
	s_cbranch_execz .LBB8_995
.LBB8_1290:
	v_add_f32_e64 v3, 0x46000000, |v2|
	s_and_not1_b32 s5, s5, exec_lo
	s_mov_b32 s8, 0
	s_delay_alu instid0(VALU_DEP_1) | instskip(NEXT) | instid1(VALU_DEP_1)
	v_and_b32_e32 v3, 0xff, v3
	v_cmp_ne_u32_e32 vcc_lo, 0, v3
	s_and_b32 s9, vcc_lo, exec_lo
	s_delay_alu instid0(SALU_CYCLE_1)
	s_or_b32 s5, s5, s9
	s_or_b32 exec_lo, exec_lo, s7
	v_mov_b32_e32 v6, s8
	s_and_saveexec_b32 s7, s5
	s_cbranch_execnz .LBB8_996
	s_branch .LBB8_997
.LBB8_1291:
	s_mov_b32 s1, -1
	s_mov_b32 s3, 0
	s_branch .LBB8_1336
.LBB8_1292:
	s_mov_b32 s0, -1
                                        ; implicit-def: $vgpr7_vgpr8
.LBB8_1293:
	s_delay_alu instid0(SALU_CYCLE_1)
	s_and_not1_b32 vcc_lo, exec_lo, s0
	s_cbranch_vccnz .LBB8_1295
; %bb.1294:
	global_load_b32 v7, v[10:11], off
	s_waitcnt vmcnt(0)
	v_cvt_f64_f32_e32 v[7:8], v7
.LBB8_1295:
	s_mov_b32 s0, 0
.LBB8_1296:
	s_delay_alu instid0(SALU_CYCLE_1)
	s_and_not1_b32 vcc_lo, exec_lo, s0
	s_cbranch_vccnz .LBB8_1298
; %bb.1297:
	global_load_b32 v7, v[10:11], off
	s_waitcnt vmcnt(0)
	v_cvt_f32_f16_e32 v7, v7
	s_delay_alu instid0(VALU_DEP_1)
	v_cvt_f64_f32_e32 v[7:8], v7
.LBB8_1298:
	s_mov_b32 s0, 0
.LBB8_1299:
	s_delay_alu instid0(SALU_CYCLE_1)
	s_and_not1_b32 vcc_lo, exec_lo, s0
	s_cbranch_vccnz .LBB8_1310
; %bb.1300:
	v_cmp_gt_i16_e32 vcc_lo, 6, v21
	s_cbranch_vccnz .LBB8_1303
; %bb.1301:
	v_cmp_lt_i16_e32 vcc_lo, 6, v21
	s_cbranch_vccz .LBB8_1304
; %bb.1302:
	global_load_b64 v[7:8], v[10:11], off
	s_mov_b32 s0, 0
	s_branch .LBB8_1305
.LBB8_1303:
	s_mov_b32 s0, -1
                                        ; implicit-def: $vgpr7_vgpr8
	s_branch .LBB8_1308
.LBB8_1304:
	s_mov_b32 s0, -1
                                        ; implicit-def: $vgpr7_vgpr8
.LBB8_1305:
	s_delay_alu instid0(SALU_CYCLE_1)
	s_and_not1_b32 vcc_lo, exec_lo, s0
	s_cbranch_vccnz .LBB8_1307
; %bb.1306:
	global_load_b32 v7, v[10:11], off
	s_waitcnt vmcnt(0)
	v_cvt_f64_f32_e32 v[7:8], v7
.LBB8_1307:
	s_mov_b32 s0, 0
.LBB8_1308:
	s_delay_alu instid0(SALU_CYCLE_1)
	s_and_not1_b32 vcc_lo, exec_lo, s0
	s_cbranch_vccnz .LBB8_1310
; %bb.1309:
	global_load_u16 v7, v[10:11], off
	s_waitcnt vmcnt(0)
	v_cvt_f32_f16_e32 v7, v7
	s_delay_alu instid0(VALU_DEP_1)
	v_cvt_f64_f32_e32 v[7:8], v7
.LBB8_1310:
	s_cbranch_execnz .LBB8_1330
.LBB8_1311:
	v_cmp_gt_i16_e32 vcc_lo, 2, v21
	s_cbranch_vccnz .LBB8_1315
; %bb.1312:
	v_cmp_gt_i16_e32 vcc_lo, 3, v21
	s_cbranch_vccnz .LBB8_1316
; %bb.1313:
	v_cmp_lt_i16_e32 vcc_lo, 3, v21
	s_cbranch_vccz .LBB8_1317
; %bb.1314:
	global_load_b64 v[7:8], v[10:11], off
	s_mov_b32 s0, 0
	s_waitcnt vmcnt(0)
	v_cvt_f64_i32_e32 v[12:13], v8
	v_cvt_f64_u32_e32 v[7:8], v7
	s_delay_alu instid0(VALU_DEP_2) | instskip(NEXT) | instid1(VALU_DEP_1)
	v_ldexp_f64 v[12:13], v[12:13], 32
	v_add_f64 v[7:8], v[12:13], v[7:8]
	s_branch .LBB8_1318
.LBB8_1315:
	s_mov_b32 s0, -1
                                        ; implicit-def: $vgpr7_vgpr8
	s_branch .LBB8_1324
.LBB8_1316:
	s_mov_b32 s0, -1
                                        ; implicit-def: $vgpr7_vgpr8
	s_branch .LBB8_1321
.LBB8_1317:
	s_mov_b32 s0, -1
                                        ; implicit-def: $vgpr7_vgpr8
.LBB8_1318:
	s_delay_alu instid0(SALU_CYCLE_1)
	s_and_not1_b32 vcc_lo, exec_lo, s0
	s_cbranch_vccnz .LBB8_1320
; %bb.1319:
	global_load_b32 v7, v[10:11], off
	s_waitcnt vmcnt(0)
	v_cvt_f64_i32_e32 v[7:8], v7
.LBB8_1320:
	s_mov_b32 s0, 0
.LBB8_1321:
	s_delay_alu instid0(SALU_CYCLE_1)
	s_and_not1_b32 vcc_lo, exec_lo, s0
	s_cbranch_vccnz .LBB8_1323
; %bb.1322:
	global_load_i16 v7, v[10:11], off
	s_waitcnt vmcnt(0)
	v_cvt_f64_i32_e32 v[7:8], v7
.LBB8_1323:
	s_mov_b32 s0, 0
.LBB8_1324:
	s_delay_alu instid0(SALU_CYCLE_1)
	s_and_not1_b32 vcc_lo, exec_lo, s0
	s_cbranch_vccnz .LBB8_1330
; %bb.1325:
	v_cmp_lt_i16_e32 vcc_lo, 0, v21
	s_mov_b32 s0, 0
	s_cbranch_vccz .LBB8_1327
; %bb.1326:
	global_load_i8 v7, v[10:11], off
	s_waitcnt vmcnt(0)
	v_cvt_f64_i32_e32 v[7:8], v7
	s_branch .LBB8_1328
.LBB8_1327:
	s_mov_b32 s0, -1
                                        ; implicit-def: $vgpr7_vgpr8
.LBB8_1328:
	s_delay_alu instid0(SALU_CYCLE_1)
	s_and_not1_b32 vcc_lo, exec_lo, s0
	s_cbranch_vccnz .LBB8_1330
; %bb.1329:
	global_load_u8 v7, v[10:11], off
	s_waitcnt vmcnt(0)
	v_cvt_f64_u32_e32 v[7:8], v7
.LBB8_1330:
	s_branch .LBB8_1403
.LBB8_1331:
	s_trap 2
	s_sendmsg_rtn_b32 s0, sendmsg(MSG_RTN_GET_DOORBELL)
	s_mov_b32 ttmp2, m0
	s_waitcnt lgkmcnt(0)
	s_and_b32 s0, s0, 0x3ff
	s_delay_alu instid0(SALU_CYCLE_1) | instskip(NEXT) | instid1(SALU_CYCLE_1)
	s_bitset1_b32 s0, 10
	s_mov_b32 m0, s0
	s_sendmsg sendmsg(MSG_INTERRUPT)
	s_mov_b32 m0, ttmp2
.LBB8_1332:                             ; =>This Inner Loop Header: Depth=1
	s_sethalt 5
	s_branch .LBB8_1332
.LBB8_1333:
	s_or_saveexec_b32 s8, s8
                                        ; implicit-def: $sgpr9
	s_delay_alu instid0(SALU_CYCLE_1)
	s_xor_b32 exec_lo, exec_lo, s8
	s_cbranch_execz .LBB8_1007
.LBB8_1334:
	v_add_f32_e64 v3, 0x42800000, |v2|
	s_and_not1_b32 s7, s7, exec_lo
	s_mov_b32 s9, 0
	s_delay_alu instid0(VALU_DEP_1) | instskip(NEXT) | instid1(VALU_DEP_1)
	v_and_b32_e32 v3, 0xff, v3
	v_cmp_ne_u32_e32 vcc_lo, 0, v3
	s_and_b32 s10, vcc_lo, exec_lo
	s_delay_alu instid0(SALU_CYCLE_1)
	s_or_b32 s7, s7, s10
	s_or_b32 exec_lo, exec_lo, s8
	v_mov_b32_e32 v6, s9
	s_and_saveexec_b32 s8, s7
	s_cbranch_execnz .LBB8_1008
	s_branch .LBB8_1009
.LBB8_1335:
	s_mov_b32 s3, -1
.LBB8_1336:
                                        ; implicit-def: $vgpr7_vgpr8
.LBB8_1337:
	s_and_b32 vcc_lo, exec_lo, s1
	s_cbranch_vccz .LBB8_1341
; %bb.1338:
	v_cmp_eq_u16_e32 vcc_lo, 44, v21
	s_cbranch_vccz .LBB8_1340
; %bb.1339:
	global_load_u8 v12, v[10:11], off
	s_mov_b32 s3, 0
	s_mov_b32 s0, -1
	s_waitcnt vmcnt(0)
	v_lshlrev_b32_e32 v7, 23, v12
	v_cmp_ne_u32_e32 vcc_lo, 0xff, v12
	s_delay_alu instid0(VALU_DEP_2) | instskip(NEXT) | instid1(VALU_DEP_1)
	v_cvt_f64_f32_e32 v[7:8], v7
	v_cndmask_b32_e32 v7, 0x20000000, v7, vcc_lo
	s_delay_alu instid0(VALU_DEP_2) | instskip(SKIP_1) | instid1(VALU_DEP_2)
	v_cndmask_b32_e32 v8, 0x7ff80000, v8, vcc_lo
	v_cmp_ne_u32_e32 vcc_lo, 0, v12
	v_cndmask_b32_e32 v8, 0x38000000, v8, vcc_lo
	s_delay_alu instid0(VALU_DEP_4)
	v_cndmask_b32_e32 v7, 0, v7, vcc_lo
	s_branch .LBB8_1341
.LBB8_1340:
	s_mov_b32 s3, -1
                                        ; implicit-def: $vgpr7_vgpr8
.LBB8_1341:
	s_mov_b32 s1, 0
.LBB8_1342:
	s_delay_alu instid0(SALU_CYCLE_1)
	s_and_b32 vcc_lo, exec_lo, s1
	s_cbranch_vccz .LBB8_1346
; %bb.1343:
	v_cmp_eq_u16_e32 vcc_lo, 29, v21
	s_cbranch_vccz .LBB8_1345
; %bb.1344:
	global_load_b64 v[7:8], v[10:11], off
	s_mov_b32 s3, 0
	s_mov_b32 s0, -1
	s_mov_b32 s1, 0
	s_waitcnt vmcnt(0)
	v_cvt_f64_u32_e32 v[12:13], v8
	v_cvt_f64_u32_e32 v[7:8], v7
	s_delay_alu instid0(VALU_DEP_2) | instskip(NEXT) | instid1(VALU_DEP_1)
	v_ldexp_f64 v[12:13], v[12:13], 32
	v_add_f64 v[7:8], v[12:13], v[7:8]
	s_branch .LBB8_1347
.LBB8_1345:
	s_mov_b32 s3, -1
                                        ; implicit-def: $vgpr7_vgpr8
.LBB8_1346:
	s_mov_b32 s1, 0
.LBB8_1347:
	s_delay_alu instid0(SALU_CYCLE_1)
	s_and_b32 vcc_lo, exec_lo, s1
	s_cbranch_vccz .LBB8_1367
; %bb.1348:
	v_cmp_gt_i16_e32 vcc_lo, 27, v21
	s_cbranch_vccnz .LBB8_1351
; %bb.1349:
	v_cmp_lt_i16_e32 vcc_lo, 27, v21
	s_cbranch_vccz .LBB8_1352
; %bb.1350:
	global_load_b32 v7, v[10:11], off
	s_mov_b32 s0, 0
	s_waitcnt vmcnt(0)
	v_cvt_f64_u32_e32 v[7:8], v7
	s_branch .LBB8_1353
.LBB8_1351:
	s_mov_b32 s0, -1
                                        ; implicit-def: $vgpr7_vgpr8
	s_branch .LBB8_1356
.LBB8_1352:
	s_mov_b32 s0, -1
                                        ; implicit-def: $vgpr7_vgpr8
.LBB8_1353:
	s_delay_alu instid0(SALU_CYCLE_1)
	s_and_not1_b32 vcc_lo, exec_lo, s0
	s_cbranch_vccnz .LBB8_1355
; %bb.1354:
	global_load_u16 v7, v[10:11], off
	s_waitcnt vmcnt(0)
	v_cvt_f64_u32_e32 v[7:8], v7
.LBB8_1355:
	s_mov_b32 s0, 0
.LBB8_1356:
	s_delay_alu instid0(SALU_CYCLE_1)
	s_and_not1_b32 vcc_lo, exec_lo, s0
	s_cbranch_vccnz .LBB8_1366
; %bb.1357:
	global_load_u8 v12, v[10:11], off
	s_mov_b32 s15, 0
	s_mov_b32 s16, exec_lo
                                        ; implicit-def: $sgpr0_sgpr1
	s_waitcnt vmcnt(0)
	v_cmpx_lt_i16_e32 0x7f, v12
	s_xor_b32 s16, exec_lo, s16
	s_cbranch_execz .LBB8_1361
; %bb.1358:
	s_mov_b32 s17, -1
	s_mov_b32 s15, exec_lo
                                        ; implicit-def: $sgpr0_sgpr1
	v_cmpx_eq_u16_e32 0x80, v12
; %bb.1359:
	s_mov_b32 s1, 0x7ff80000
	s_brev_b32 s0, 4
	s_xor_b32 s17, exec_lo, -1
; %bb.1360:
	s_or_b32 exec_lo, exec_lo, s15
	s_delay_alu instid0(SALU_CYCLE_1)
	s_and_b32 s15, s17, exec_lo
.LBB8_1361:
	s_or_saveexec_b32 s16, s16
	v_dual_mov_b32 v8, s1 :: v_dual_mov_b32 v7, s0
	s_xor_b32 exec_lo, exec_lo, s16
; %bb.1362:
	v_cmp_ne_u16_e32 vcc_lo, 0, v12
	v_mov_b32_e32 v7, 0
	v_mov_b32_e32 v8, 0
	s_and_not1_b32 s0, s15, exec_lo
	s_and_b32 s1, vcc_lo, exec_lo
	s_delay_alu instid0(SALU_CYCLE_1)
	s_or_b32 s15, s0, s1
; %bb.1363:
	s_or_b32 exec_lo, exec_lo, s16
	s_and_saveexec_b32 s0, s15
	s_cbranch_execz .LBB8_1365
; %bb.1364:
	v_and_b32_e32 v7, 0xffff, v12
	v_lshlrev_b32_e32 v12, 24, v12
	s_delay_alu instid0(VALU_DEP_2) | instskip(NEXT) | instid1(VALU_DEP_2)
	v_and_b32_e32 v8, 7, v7
	v_and_b32_e32 v12, 0x80000000, v12
	s_delay_alu instid0(VALU_DEP_2) | instskip(NEXT) | instid1(VALU_DEP_1)
	v_clz_i32_u32_e32 v13, v8
	v_min_u32_e32 v13, 32, v13
	s_delay_alu instid0(VALU_DEP_1) | instskip(SKIP_1) | instid1(VALU_DEP_2)
	v_subrev_nc_u32_e32 v14, 28, v13
	v_sub_nc_u32_e32 v13, 29, v13
	v_lshlrev_b32_e32 v14, v14, v7
	v_bfe_u32 v7, v7, 3, 4
	s_delay_alu instid0(VALU_DEP_2) | instskip(NEXT) | instid1(VALU_DEP_2)
	v_and_b32_e32 v14, 7, v14
	v_cmp_eq_u32_e32 vcc_lo, 0, v7
	s_delay_alu instid0(VALU_DEP_2) | instskip(NEXT) | instid1(VALU_DEP_1)
	v_dual_cndmask_b32 v7, v7, v13 :: v_dual_cndmask_b32 v8, v8, v14
	v_lshl_add_u32 v7, v7, 23, 0x3b800000
	s_delay_alu instid0(VALU_DEP_2) | instskip(NEXT) | instid1(VALU_DEP_1)
	v_lshlrev_b32_e32 v8, 20, v8
	v_or3_b32 v7, v12, v7, v8
	s_delay_alu instid0(VALU_DEP_1)
	v_cvt_f64_f32_e32 v[7:8], v7
.LBB8_1365:
	s_or_b32 exec_lo, exec_lo, s0
.LBB8_1366:
	s_mov_b32 s0, -1
.LBB8_1367:
	s_branch .LBB8_1398
.LBB8_1368:
	v_cmp_lt_i16_e32 vcc_lo, 22, v21
	s_cbranch_vccz .LBB8_1380
; %bb.1369:
	v_cmp_gt_i16_e32 vcc_lo, 24, v21
	s_cbranch_vccnz .LBB8_1381
; %bb.1370:
	v_cmp_lt_i16_e32 vcc_lo, 24, v21
	s_cbranch_vccz .LBB8_1382
; %bb.1371:
	global_load_u8 v12, v[10:11], off
	s_mov_b32 s15, exec_lo
                                        ; implicit-def: $sgpr0_sgpr1
	s_waitcnt vmcnt(0)
	v_cmpx_lt_i16_e32 0x7f, v12
	s_xor_b32 s15, exec_lo, s15
	s_cbranch_execz .LBB8_1375
; %bb.1372:
	s_mov_b32 s16, -1
	s_mov_b32 s14, exec_lo
                                        ; implicit-def: $sgpr0_sgpr1
	v_cmpx_eq_u16_e32 0x80, v12
; %bb.1373:
	s_mov_b32 s1, 0x7ff80000
	s_brev_b32 s0, 4
	s_xor_b32 s16, exec_lo, -1
; %bb.1374:
	s_or_b32 exec_lo, exec_lo, s14
	s_delay_alu instid0(SALU_CYCLE_1)
	s_and_b32 s14, s16, exec_lo
.LBB8_1375:
	s_or_saveexec_b32 s15, s15
	v_dual_mov_b32 v8, s1 :: v_dual_mov_b32 v7, s0
	s_xor_b32 exec_lo, exec_lo, s15
; %bb.1376:
	v_cmp_ne_u16_e32 vcc_lo, 0, v12
	v_mov_b32_e32 v7, 0
	v_mov_b32_e32 v8, 0
	s_and_not1_b32 s0, s14, exec_lo
	s_and_b32 s1, vcc_lo, exec_lo
	s_delay_alu instid0(SALU_CYCLE_1)
	s_or_b32 s14, s0, s1
; %bb.1377:
	s_or_b32 exec_lo, exec_lo, s15
	s_and_saveexec_b32 s0, s14
	s_cbranch_execz .LBB8_1379
; %bb.1378:
	v_and_b32_e32 v7, 0xffff, v12
	v_lshlrev_b32_e32 v12, 24, v12
	s_delay_alu instid0(VALU_DEP_2) | instskip(NEXT) | instid1(VALU_DEP_2)
	v_and_b32_e32 v8, 3, v7
	v_and_b32_e32 v12, 0x80000000, v12
	s_delay_alu instid0(VALU_DEP_2) | instskip(NEXT) | instid1(VALU_DEP_1)
	v_clz_i32_u32_e32 v13, v8
	v_min_u32_e32 v13, 32, v13
	s_delay_alu instid0(VALU_DEP_1) | instskip(SKIP_1) | instid1(VALU_DEP_2)
	v_subrev_nc_u32_e32 v14, 29, v13
	v_sub_nc_u32_e32 v13, 30, v13
	v_lshlrev_b32_e32 v14, v14, v7
	v_bfe_u32 v7, v7, 2, 5
	s_delay_alu instid0(VALU_DEP_2) | instskip(NEXT) | instid1(VALU_DEP_2)
	v_and_b32_e32 v14, 3, v14
	v_cmp_eq_u32_e32 vcc_lo, 0, v7
	s_delay_alu instid0(VALU_DEP_2) | instskip(NEXT) | instid1(VALU_DEP_1)
	v_dual_cndmask_b32 v7, v7, v13 :: v_dual_cndmask_b32 v8, v8, v14
	v_lshl_add_u32 v7, v7, 23, 0x37800000
	s_delay_alu instid0(VALU_DEP_2) | instskip(NEXT) | instid1(VALU_DEP_1)
	v_lshlrev_b32_e32 v8, 21, v8
	v_or3_b32 v7, v12, v7, v8
	s_delay_alu instid0(VALU_DEP_1)
	v_cvt_f64_f32_e32 v[7:8], v7
.LBB8_1379:
	s_or_b32 exec_lo, exec_lo, s0
	s_mov_b32 s0, 0
	s_branch .LBB8_1383
.LBB8_1380:
	s_mov_b32 s1, -1
                                        ; implicit-def: $vgpr7_vgpr8
	s_branch .LBB8_1389
.LBB8_1381:
	s_mov_b32 s0, -1
                                        ; implicit-def: $vgpr7_vgpr8
	s_branch .LBB8_1386
.LBB8_1382:
	s_mov_b32 s0, -1
                                        ; implicit-def: $vgpr7_vgpr8
.LBB8_1383:
	s_delay_alu instid0(SALU_CYCLE_1)
	s_and_b32 vcc_lo, exec_lo, s0
	s_cbranch_vccz .LBB8_1385
; %bb.1384:
	global_load_u8 v7, v[10:11], off
	s_waitcnt vmcnt(0)
	v_lshlrev_b32_e32 v7, 24, v7
	s_delay_alu instid0(VALU_DEP_1) | instskip(NEXT) | instid1(VALU_DEP_1)
	v_and_b32_e32 v8, 0x7f000000, v7
	v_clz_i32_u32_e32 v12, v8
	v_add_nc_u32_e32 v14, 0x1000000, v8
	v_cmp_ne_u32_e32 vcc_lo, 0, v8
	s_delay_alu instid0(VALU_DEP_3) | instskip(NEXT) | instid1(VALU_DEP_1)
	v_min_u32_e32 v12, 32, v12
	v_sub_nc_u32_e64 v12, v12, 4 clamp
	s_delay_alu instid0(VALU_DEP_1) | instskip(SKIP_1) | instid1(VALU_DEP_2)
	v_lshlrev_b32_e32 v13, v12, v8
	v_lshlrev_b32_e32 v12, 23, v12
	v_lshrrev_b32_e32 v13, 4, v13
	s_delay_alu instid0(VALU_DEP_1) | instskip(SKIP_1) | instid1(VALU_DEP_2)
	v_sub_nc_u32_e32 v12, v13, v12
	v_ashrrev_i32_e32 v13, 8, v14
	v_add_nc_u32_e32 v12, 0x3c000000, v12
	s_delay_alu instid0(VALU_DEP_1) | instskip(NEXT) | instid1(VALU_DEP_1)
	v_and_or_b32 v12, 0x7f800000, v13, v12
	v_cndmask_b32_e32 v8, 0, v12, vcc_lo
	s_delay_alu instid0(VALU_DEP_1) | instskip(NEXT) | instid1(VALU_DEP_1)
	v_and_or_b32 v7, 0x80000000, v7, v8
	v_cvt_f64_f32_e32 v[7:8], v7
.LBB8_1385:
	s_mov_b32 s0, 0
.LBB8_1386:
	s_delay_alu instid0(SALU_CYCLE_1)
	s_and_not1_b32 vcc_lo, exec_lo, s0
	s_cbranch_vccnz .LBB8_1388
; %bb.1387:
	global_load_u8 v7, v[10:11], off
	s_waitcnt vmcnt(0)
	v_lshlrev_b32_e32 v8, 25, v7
	v_lshlrev_b16 v7, 8, v7
	s_delay_alu instid0(VALU_DEP_1) | instskip(SKIP_1) | instid1(VALU_DEP_2)
	v_and_or_b32 v13, 0x7f00, v7, 0.5
	v_bfe_i32 v7, v7, 0, 16
	v_add_f32_e32 v13, -0.5, v13
	v_lshrrev_b32_e32 v12, 4, v8
	v_cmp_gt_u32_e32 vcc_lo, 0x8000000, v8
	s_delay_alu instid0(VALU_DEP_2) | instskip(NEXT) | instid1(VALU_DEP_1)
	v_or_b32_e32 v12, 0x70000000, v12
	v_mul_f32_e32 v12, 0x7800000, v12
	s_delay_alu instid0(VALU_DEP_1) | instskip(NEXT) | instid1(VALU_DEP_1)
	v_cndmask_b32_e32 v8, v12, v13, vcc_lo
	v_and_or_b32 v7, 0x80000000, v7, v8
	s_delay_alu instid0(VALU_DEP_1)
	v_cvt_f64_f32_e32 v[7:8], v7
.LBB8_1388:
	s_mov_b32 s1, 0
	s_mov_b32 s0, -1
.LBB8_1389:
	s_and_not1_b32 vcc_lo, exec_lo, s1
	s_mov_b32 s14, 0
	s_cbranch_vccnz .LBB8_1398
; %bb.1390:
	v_cmp_lt_i16_e32 vcc_lo, 14, v21
	s_cbranch_vccz .LBB8_1393
; %bb.1391:
	v_cmp_eq_u16_e32 vcc_lo, 15, v21
	s_cbranch_vccz .LBB8_1394
; %bb.1392:
	global_load_u16 v7, v[10:11], off
	s_mov_b32 s3, 0
	s_mov_b32 s0, -1
	s_waitcnt vmcnt(0)
	v_lshlrev_b32_e32 v7, 16, v7
	s_delay_alu instid0(VALU_DEP_1)
	v_cvt_f64_f32_e32 v[7:8], v7
	s_branch .LBB8_1395
.LBB8_1393:
	s_mov_b32 s1, -1
                                        ; implicit-def: $vgpr7_vgpr8
	s_branch .LBB8_1396
.LBB8_1394:
	s_mov_b32 s3, -1
                                        ; implicit-def: $vgpr7_vgpr8
.LBB8_1395:
	s_mov_b32 s1, 0
.LBB8_1396:
	s_delay_alu instid0(SALU_CYCLE_1)
	s_and_b32 vcc_lo, exec_lo, s1
	s_cbranch_vccz .LBB8_1398
; %bb.1397:
	v_cmp_ne_u16_e64 s3, 11, v21
	s_mov_b32 s14, -1
                                        ; implicit-def: $vgpr7_vgpr8
.LBB8_1398:
	s_delay_alu instid0(VALU_DEP_1)
	s_and_b32 vcc_lo, exec_lo, s3
	s_cbranch_vccnz .LBB8_1424
; %bb.1399:
	s_and_not1_b32 vcc_lo, exec_lo, s14
	s_cbranch_vccnz .LBB8_1401
.LBB8_1400:
	global_load_u8 v7, v[10:11], off
	s_mov_b32 s0, -1
	s_waitcnt vmcnt(0)
	v_cmp_ne_u16_e32 vcc_lo, 0, v7
	v_mov_b32_e32 v7, 0
	v_cndmask_b32_e64 v8, 0, 0x3ff00000, vcc_lo
.LBB8_1401:
.LBB8_1402:
	s_and_not1_b32 vcc_lo, exec_lo, s0
	s_cbranch_vccnz .LBB8_2065
.LBB8_1403:
	s_waitcnt vmcnt(0)
	v_cvt_f64_f32_e32 v[19:20], v22
	s_delay_alu instid0(VALU_DEP_2) | instskip(SKIP_2) | instid1(VALU_DEP_3)
	v_cvt_f32_f64_e32 v10, v[7:8]
	v_mov_b32_e32 v23, v22
	s_mov_b32 s0, exec_lo
	v_dual_mov_b32 v13, v19 :: v_dual_mov_b32 v14, v20
	s_delay_alu instid0(VALU_DEP_3)
	v_cmpx_nlg_f32_e64 0x7f800000, |v10|
	s_cbranch_execz .LBB8_1405
; %bb.1404:
	v_dual_mov_b32 v10, 0 :: v_dual_mov_b32 v11, 1.0
	global_store_b32 v10, v11, s[8:9]
	global_load_b32 v23, v10, s[10:11]
	s_waitcnt vmcnt(0)
	v_cvt_f64_f32_e32 v[13:14], v23
.LBB8_1405:
	s_or_b32 exec_lo, exec_lo, s0
	v_cmp_gt_i16_e32 vcc_lo, 11, v21
	v_add_co_u32 v11, s0, s6, v9
	s_delay_alu instid0(VALU_DEP_1)
	v_add_co_ci_u32_e64 v12, null, s7, 0, s0
	s_mov_b32 s0, 0
	s_cbranch_vccnz .LBB8_1412
; %bb.1406:
	v_cmp_lt_i16_e32 vcc_lo, 25, v21
	s_mov_b32 s14, 0
	s_cbranch_vccz .LBB8_1418
; %bb.1407:
	v_cmp_lt_i16_e32 vcc_lo, 28, v21
	s_cbranch_vccz .LBB8_1420
; %bb.1408:
	v_cmp_lt_i16_e32 vcc_lo, 43, v21
	;; [unrolled: 3-line block ×3, first 2 shown]
	s_cbranch_vccz .LBB8_1426
; %bb.1410:
	v_cmp_eq_u16_e32 vcc_lo, 46, v21
	s_mov_b32 s1, 0
	s_cbranch_vccz .LBB8_1469
; %bb.1411:
	global_load_b32 v9, v[11:12], off
	s_mov_b32 s3, 0
	s_mov_b32 s0, -1
	s_waitcnt vmcnt(0)
	v_lshlrev_b32_e32 v9, 16, v9
	s_delay_alu instid0(VALU_DEP_1)
	v_cvt_f64_f32_e32 v[9:10], v9
	s_branch .LBB8_1471
.LBB8_1412:
                                        ; implicit-def: $vgpr9_vgpr10
	s_cbranch_execz .LBB8_1537
; %bb.1413:
	v_cmp_gt_i16_e32 vcc_lo, 5, v21
	s_cbranch_vccnz .LBB8_1419
; %bb.1414:
	v_cmp_gt_i16_e32 vcc_lo, 8, v21
	s_cbranch_vccnz .LBB8_1421
	;; [unrolled: 3-line block ×3, first 2 shown]
; %bb.1416:
	v_cmp_lt_i16_e32 vcc_lo, 9, v21
	s_cbranch_vccz .LBB8_1427
; %bb.1417:
	global_load_b64 v[9:10], v[11:12], off
	s_mov_b32 s0, 0
	s_branch .LBB8_1428
.LBB8_1418:
	s_mov_b32 s1, -1
	s_mov_b32 s3, 0
                                        ; implicit-def: $vgpr9_vgpr10
	s_branch .LBB8_1502
.LBB8_1419:
	s_mov_b32 s0, -1
                                        ; implicit-def: $vgpr9_vgpr10
	s_branch .LBB8_1446
.LBB8_1420:
	s_mov_b32 s1, -1
	s_mov_b32 s3, 0
                                        ; implicit-def: $vgpr9_vgpr10
	s_branch .LBB8_1481
.LBB8_1421:
	s_mov_b32 s0, -1
                                        ; implicit-def: $vgpr9_vgpr10
	s_branch .LBB8_1434
.LBB8_1422:
	s_mov_b32 s1, -1
	s_mov_b32 s3, 0
                                        ; implicit-def: $vgpr9_vgpr10
	s_branch .LBB8_1476
.LBB8_1423:
	s_mov_b32 s0, -1
                                        ; implicit-def: $vgpr9_vgpr10
	s_branch .LBB8_1431
.LBB8_1424:
	s_cbranch_execnz .LBB8_1467
; %bb.1425:
	s_or_b32 s2, s2, exec_lo
                                        ; implicit-def: $vgpr7_vgpr8
	s_cbranch_execz .LBB8_1400
	s_branch .LBB8_1401
.LBB8_1426:
	s_mov_b32 s1, -1
	s_mov_b32 s3, 0
	s_branch .LBB8_1470
.LBB8_1427:
	s_mov_b32 s0, -1
                                        ; implicit-def: $vgpr9_vgpr10
.LBB8_1428:
	s_delay_alu instid0(SALU_CYCLE_1)
	s_and_not1_b32 vcc_lo, exec_lo, s0
	s_cbranch_vccnz .LBB8_1430
; %bb.1429:
	global_load_b32 v9, v[11:12], off
	s_waitcnt vmcnt(0)
	v_cvt_f64_f32_e32 v[9:10], v9
.LBB8_1430:
	s_mov_b32 s0, 0
.LBB8_1431:
	s_delay_alu instid0(SALU_CYCLE_1)
	s_and_not1_b32 vcc_lo, exec_lo, s0
	s_cbranch_vccnz .LBB8_1433
; %bb.1432:
	global_load_b32 v9, v[11:12], off
	s_waitcnt vmcnt(0)
	v_cvt_f32_f16_e32 v9, v9
	s_delay_alu instid0(VALU_DEP_1)
	v_cvt_f64_f32_e32 v[9:10], v9
.LBB8_1433:
	s_mov_b32 s0, 0
.LBB8_1434:
	s_delay_alu instid0(SALU_CYCLE_1)
	s_and_not1_b32 vcc_lo, exec_lo, s0
	s_cbranch_vccnz .LBB8_1445
; %bb.1435:
	v_cmp_gt_i16_e32 vcc_lo, 6, v21
	s_cbranch_vccnz .LBB8_1438
; %bb.1436:
	v_cmp_lt_i16_e32 vcc_lo, 6, v21
	s_cbranch_vccz .LBB8_1439
; %bb.1437:
	global_load_b64 v[9:10], v[11:12], off
	s_mov_b32 s0, 0
	s_branch .LBB8_1440
.LBB8_1438:
	s_mov_b32 s0, -1
                                        ; implicit-def: $vgpr9_vgpr10
	s_branch .LBB8_1443
.LBB8_1439:
	s_mov_b32 s0, -1
                                        ; implicit-def: $vgpr9_vgpr10
.LBB8_1440:
	s_delay_alu instid0(SALU_CYCLE_1)
	s_and_not1_b32 vcc_lo, exec_lo, s0
	s_cbranch_vccnz .LBB8_1442
; %bb.1441:
	global_load_b32 v9, v[11:12], off
	s_waitcnt vmcnt(0)
	v_cvt_f64_f32_e32 v[9:10], v9
.LBB8_1442:
	s_mov_b32 s0, 0
.LBB8_1443:
	s_delay_alu instid0(SALU_CYCLE_1)
	s_and_not1_b32 vcc_lo, exec_lo, s0
	s_cbranch_vccnz .LBB8_1445
; %bb.1444:
	global_load_u16 v9, v[11:12], off
	s_waitcnt vmcnt(0)
	v_cvt_f32_f16_e32 v9, v9
	s_delay_alu instid0(VALU_DEP_1)
	v_cvt_f64_f32_e32 v[9:10], v9
.LBB8_1445:
	s_mov_b32 s0, 0
.LBB8_1446:
	s_delay_alu instid0(SALU_CYCLE_1)
	s_and_not1_b32 vcc_lo, exec_lo, s0
	s_cbranch_vccnz .LBB8_1466
; %bb.1447:
	v_cmp_gt_i16_e32 vcc_lo, 2, v21
	s_cbranch_vccnz .LBB8_1451
; %bb.1448:
	v_cmp_gt_i16_e32 vcc_lo, 3, v21
	s_cbranch_vccnz .LBB8_1452
; %bb.1449:
	v_cmp_lt_i16_e32 vcc_lo, 3, v21
	s_cbranch_vccz .LBB8_1453
; %bb.1450:
	global_load_b64 v[9:10], v[11:12], off
	s_mov_b32 s0, 0
	s_waitcnt vmcnt(0)
	v_cvt_f64_i32_e32 v[15:16], v10
	v_cvt_f64_u32_e32 v[9:10], v9
	s_delay_alu instid0(VALU_DEP_2) | instskip(NEXT) | instid1(VALU_DEP_1)
	v_ldexp_f64 v[15:16], v[15:16], 32
	v_add_f64 v[9:10], v[15:16], v[9:10]
	s_branch .LBB8_1454
.LBB8_1451:
	s_mov_b32 s0, -1
                                        ; implicit-def: $vgpr9_vgpr10
	s_branch .LBB8_1460
.LBB8_1452:
	s_mov_b32 s0, -1
                                        ; implicit-def: $vgpr9_vgpr10
	s_branch .LBB8_1457
.LBB8_1453:
	s_mov_b32 s0, -1
                                        ; implicit-def: $vgpr9_vgpr10
.LBB8_1454:
	s_delay_alu instid0(SALU_CYCLE_1)
	s_and_not1_b32 vcc_lo, exec_lo, s0
	s_cbranch_vccnz .LBB8_1456
; %bb.1455:
	global_load_b32 v9, v[11:12], off
	s_waitcnt vmcnt(0)
	v_cvt_f64_i32_e32 v[9:10], v9
.LBB8_1456:
	s_mov_b32 s0, 0
.LBB8_1457:
	s_delay_alu instid0(SALU_CYCLE_1)
	s_and_not1_b32 vcc_lo, exec_lo, s0
	s_cbranch_vccnz .LBB8_1459
; %bb.1458:
	global_load_i16 v9, v[11:12], off
	s_waitcnt vmcnt(0)
	v_cvt_f64_i32_e32 v[9:10], v9
.LBB8_1459:
	s_mov_b32 s0, 0
.LBB8_1460:
	s_delay_alu instid0(SALU_CYCLE_1)
	s_and_not1_b32 vcc_lo, exec_lo, s0
	s_cbranch_vccnz .LBB8_1466
; %bb.1461:
	v_cmp_lt_i16_e32 vcc_lo, 0, v21
	s_mov_b32 s0, 0
	s_cbranch_vccz .LBB8_1463
; %bb.1462:
	global_load_i8 v9, v[11:12], off
	s_waitcnt vmcnt(0)
	v_cvt_f64_i32_e32 v[9:10], v9
	s_branch .LBB8_1464
.LBB8_1463:
	s_mov_b32 s0, -1
                                        ; implicit-def: $vgpr9_vgpr10
.LBB8_1464:
	s_delay_alu instid0(SALU_CYCLE_1)
	s_and_not1_b32 vcc_lo, exec_lo, s0
	s_cbranch_vccnz .LBB8_1466
; %bb.1465:
	global_load_u8 v9, v[11:12], off
	s_waitcnt vmcnt(0)
	v_cvt_f64_u32_e32 v[9:10], v9
.LBB8_1466:
	s_branch .LBB8_1538
.LBB8_1467:
	s_trap 2
	s_sendmsg_rtn_b32 s0, sendmsg(MSG_RTN_GET_DOORBELL)
	s_mov_b32 ttmp2, m0
	s_waitcnt lgkmcnt(0)
	s_and_b32 s0, s0, 0x3ff
	s_delay_alu instid0(SALU_CYCLE_1) | instskip(NEXT) | instid1(SALU_CYCLE_1)
	s_bitset1_b32 s0, 10
	s_mov_b32 m0, s0
	s_sendmsg sendmsg(MSG_INTERRUPT)
	s_mov_b32 m0, ttmp2
.LBB8_1468:                             ; =>This Inner Loop Header: Depth=1
	s_sethalt 5
	s_branch .LBB8_1468
.LBB8_1469:
	s_mov_b32 s3, -1
.LBB8_1470:
                                        ; implicit-def: $vgpr9_vgpr10
.LBB8_1471:
	s_and_b32 vcc_lo, exec_lo, s1
	s_cbranch_vccz .LBB8_1475
; %bb.1472:
	v_cmp_eq_u16_e32 vcc_lo, 44, v21
	s_cbranch_vccz .LBB8_1474
; %bb.1473:
	global_load_u8 v15, v[11:12], off
	s_mov_b32 s3, 0
	s_mov_b32 s0, -1
	s_waitcnt vmcnt(0)
	v_cmp_ne_u32_e32 vcc_lo, 0xff, v15
	v_lshlrev_b32_e32 v9, 23, v15
	s_delay_alu instid0(VALU_DEP_1) | instskip(NEXT) | instid1(VALU_DEP_1)
	v_cvt_f64_f32_e32 v[9:10], v9
	v_cndmask_b32_e32 v10, 0x7ff80000, v10, vcc_lo
	s_delay_alu instid0(VALU_DEP_2) | instskip(SKIP_1) | instid1(VALU_DEP_3)
	v_cndmask_b32_e32 v9, 0x20000000, v9, vcc_lo
	v_cmp_ne_u32_e32 vcc_lo, 0, v15
	v_cndmask_b32_e32 v10, 0x38000000, v10, vcc_lo
	s_delay_alu instid0(VALU_DEP_3)
	v_cndmask_b32_e32 v9, 0, v9, vcc_lo
	s_branch .LBB8_1475
.LBB8_1474:
	s_mov_b32 s3, -1
                                        ; implicit-def: $vgpr9_vgpr10
.LBB8_1475:
	s_mov_b32 s1, 0
.LBB8_1476:
	s_delay_alu instid0(SALU_CYCLE_1)
	s_and_b32 vcc_lo, exec_lo, s1
	s_cbranch_vccz .LBB8_1480
; %bb.1477:
	v_cmp_eq_u16_e32 vcc_lo, 29, v21
	s_cbranch_vccz .LBB8_1479
; %bb.1478:
	global_load_b64 v[9:10], v[11:12], off
	s_mov_b32 s3, 0
	s_mov_b32 s0, -1
	s_mov_b32 s1, 0
	s_waitcnt vmcnt(0)
	v_cvt_f64_u32_e32 v[15:16], v10
	v_cvt_f64_u32_e32 v[9:10], v9
	s_delay_alu instid0(VALU_DEP_2) | instskip(NEXT) | instid1(VALU_DEP_1)
	v_ldexp_f64 v[15:16], v[15:16], 32
	v_add_f64 v[9:10], v[15:16], v[9:10]
	s_branch .LBB8_1481
.LBB8_1479:
	s_mov_b32 s3, -1
                                        ; implicit-def: $vgpr9_vgpr10
.LBB8_1480:
	s_mov_b32 s1, 0
.LBB8_1481:
	s_delay_alu instid0(SALU_CYCLE_1)
	s_and_b32 vcc_lo, exec_lo, s1
	s_cbranch_vccz .LBB8_1501
; %bb.1482:
	v_cmp_gt_i16_e32 vcc_lo, 27, v21
	s_cbranch_vccnz .LBB8_1485
; %bb.1483:
	v_cmp_lt_i16_e32 vcc_lo, 27, v21
	s_cbranch_vccz .LBB8_1486
; %bb.1484:
	global_load_b32 v9, v[11:12], off
	s_mov_b32 s0, 0
	s_waitcnt vmcnt(0)
	v_cvt_f64_u32_e32 v[9:10], v9
	s_branch .LBB8_1487
.LBB8_1485:
	s_mov_b32 s0, -1
                                        ; implicit-def: $vgpr9_vgpr10
	s_branch .LBB8_1490
.LBB8_1486:
	s_mov_b32 s0, -1
                                        ; implicit-def: $vgpr9_vgpr10
.LBB8_1487:
	s_delay_alu instid0(SALU_CYCLE_1)
	s_and_not1_b32 vcc_lo, exec_lo, s0
	s_cbranch_vccnz .LBB8_1489
; %bb.1488:
	global_load_u16 v9, v[11:12], off
	s_waitcnt vmcnt(0)
	v_cvt_f64_u32_e32 v[9:10], v9
.LBB8_1489:
	s_mov_b32 s0, 0
.LBB8_1490:
	s_delay_alu instid0(SALU_CYCLE_1)
	s_and_not1_b32 vcc_lo, exec_lo, s0
	s_cbranch_vccnz .LBB8_1500
; %bb.1491:
	global_load_u8 v15, v[11:12], off
	s_mov_b32 s15, 0
	s_mov_b32 s16, exec_lo
                                        ; implicit-def: $sgpr0_sgpr1
	s_waitcnt vmcnt(0)
	v_cmpx_lt_i16_e32 0x7f, v15
	s_xor_b32 s16, exec_lo, s16
	s_cbranch_execz .LBB8_1495
; %bb.1492:
	s_mov_b32 s17, -1
	s_mov_b32 s15, exec_lo
                                        ; implicit-def: $sgpr0_sgpr1
	v_cmpx_eq_u16_e32 0x80, v15
; %bb.1493:
	s_mov_b32 s1, 0x7ff80000
	s_brev_b32 s0, 4
	s_xor_b32 s17, exec_lo, -1
; %bb.1494:
	s_or_b32 exec_lo, exec_lo, s15
	s_delay_alu instid0(SALU_CYCLE_1)
	s_and_b32 s15, s17, exec_lo
.LBB8_1495:
	s_or_saveexec_b32 s16, s16
	v_dual_mov_b32 v10, s1 :: v_dual_mov_b32 v9, s0
	s_xor_b32 exec_lo, exec_lo, s16
; %bb.1496:
	v_cmp_ne_u16_e32 vcc_lo, 0, v15
	v_mov_b32_e32 v9, 0
	v_mov_b32_e32 v10, 0
	s_and_not1_b32 s0, s15, exec_lo
	s_and_b32 s1, vcc_lo, exec_lo
	s_delay_alu instid0(SALU_CYCLE_1)
	s_or_b32 s15, s0, s1
; %bb.1497:
	s_or_b32 exec_lo, exec_lo, s16
	s_and_saveexec_b32 s0, s15
	s_cbranch_execz .LBB8_1499
; %bb.1498:
	v_and_b32_e32 v9, 0xffff, v15
	v_lshlrev_b32_e32 v15, 24, v15
	s_delay_alu instid0(VALU_DEP_2) | instskip(NEXT) | instid1(VALU_DEP_2)
	v_and_b32_e32 v10, 7, v9
	v_and_b32_e32 v15, 0x80000000, v15
	s_delay_alu instid0(VALU_DEP_2) | instskip(NEXT) | instid1(VALU_DEP_1)
	v_clz_i32_u32_e32 v16, v10
	v_min_u32_e32 v16, 32, v16
	s_delay_alu instid0(VALU_DEP_1) | instskip(SKIP_1) | instid1(VALU_DEP_2)
	v_subrev_nc_u32_e32 v17, 28, v16
	v_sub_nc_u32_e32 v16, 29, v16
	v_lshlrev_b32_e32 v17, v17, v9
	v_bfe_u32 v9, v9, 3, 4
	s_delay_alu instid0(VALU_DEP_2) | instskip(NEXT) | instid1(VALU_DEP_2)
	v_and_b32_e32 v17, 7, v17
	v_cmp_eq_u32_e32 vcc_lo, 0, v9
	s_delay_alu instid0(VALU_DEP_2) | instskip(NEXT) | instid1(VALU_DEP_1)
	v_dual_cndmask_b32 v9, v9, v16 :: v_dual_cndmask_b32 v10, v10, v17
	v_lshl_add_u32 v9, v9, 23, 0x3b800000
	s_delay_alu instid0(VALU_DEP_2) | instskip(NEXT) | instid1(VALU_DEP_1)
	v_lshlrev_b32_e32 v10, 20, v10
	v_or3_b32 v9, v15, v9, v10
	s_delay_alu instid0(VALU_DEP_1)
	v_cvt_f64_f32_e32 v[9:10], v9
.LBB8_1499:
	s_or_b32 exec_lo, exec_lo, s0
.LBB8_1500:
	s_mov_b32 s0, -1
.LBB8_1501:
	s_mov_b32 s1, 0
.LBB8_1502:
	s_delay_alu instid0(SALU_CYCLE_1)
	s_and_b32 vcc_lo, exec_lo, s1
	s_cbranch_vccz .LBB8_1533
; %bb.1503:
	v_cmp_lt_i16_e32 vcc_lo, 22, v21
	s_cbranch_vccz .LBB8_1515
; %bb.1504:
	v_cmp_gt_i16_e32 vcc_lo, 24, v21
	s_cbranch_vccnz .LBB8_1516
; %bb.1505:
	v_cmp_lt_i16_e32 vcc_lo, 24, v21
	s_cbranch_vccz .LBB8_1517
; %bb.1506:
	global_load_u8 v15, v[11:12], off
	s_mov_b32 s15, exec_lo
                                        ; implicit-def: $sgpr0_sgpr1
	s_waitcnt vmcnt(0)
	v_cmpx_lt_i16_e32 0x7f, v15
	s_xor_b32 s15, exec_lo, s15
	s_cbranch_execz .LBB8_1510
; %bb.1507:
	s_mov_b32 s16, -1
	s_mov_b32 s14, exec_lo
                                        ; implicit-def: $sgpr0_sgpr1
	v_cmpx_eq_u16_e32 0x80, v15
; %bb.1508:
	s_mov_b32 s1, 0x7ff80000
	s_brev_b32 s0, 4
	s_xor_b32 s16, exec_lo, -1
; %bb.1509:
	s_or_b32 exec_lo, exec_lo, s14
	s_delay_alu instid0(SALU_CYCLE_1)
	s_and_b32 s14, s16, exec_lo
.LBB8_1510:
	s_or_saveexec_b32 s15, s15
	v_dual_mov_b32 v10, s1 :: v_dual_mov_b32 v9, s0
	s_xor_b32 exec_lo, exec_lo, s15
; %bb.1511:
	v_cmp_ne_u16_e32 vcc_lo, 0, v15
	v_mov_b32_e32 v9, 0
	v_mov_b32_e32 v10, 0
	s_and_not1_b32 s0, s14, exec_lo
	s_and_b32 s1, vcc_lo, exec_lo
	s_delay_alu instid0(SALU_CYCLE_1)
	s_or_b32 s14, s0, s1
; %bb.1512:
	s_or_b32 exec_lo, exec_lo, s15
	s_and_saveexec_b32 s0, s14
	s_cbranch_execz .LBB8_1514
; %bb.1513:
	v_and_b32_e32 v9, 0xffff, v15
	v_lshlrev_b32_e32 v15, 24, v15
	s_delay_alu instid0(VALU_DEP_2) | instskip(NEXT) | instid1(VALU_DEP_2)
	v_and_b32_e32 v10, 3, v9
	v_and_b32_e32 v15, 0x80000000, v15
	s_delay_alu instid0(VALU_DEP_2) | instskip(NEXT) | instid1(VALU_DEP_1)
	v_clz_i32_u32_e32 v16, v10
	v_min_u32_e32 v16, 32, v16
	s_delay_alu instid0(VALU_DEP_1) | instskip(SKIP_1) | instid1(VALU_DEP_2)
	v_subrev_nc_u32_e32 v17, 29, v16
	v_sub_nc_u32_e32 v16, 30, v16
	v_lshlrev_b32_e32 v17, v17, v9
	v_bfe_u32 v9, v9, 2, 5
	s_delay_alu instid0(VALU_DEP_2) | instskip(NEXT) | instid1(VALU_DEP_2)
	v_and_b32_e32 v17, 3, v17
	v_cmp_eq_u32_e32 vcc_lo, 0, v9
	s_delay_alu instid0(VALU_DEP_2) | instskip(NEXT) | instid1(VALU_DEP_1)
	v_dual_cndmask_b32 v9, v9, v16 :: v_dual_cndmask_b32 v10, v10, v17
	v_lshl_add_u32 v9, v9, 23, 0x37800000
	s_delay_alu instid0(VALU_DEP_2) | instskip(NEXT) | instid1(VALU_DEP_1)
	v_lshlrev_b32_e32 v10, 21, v10
	v_or3_b32 v9, v15, v9, v10
	s_delay_alu instid0(VALU_DEP_1)
	v_cvt_f64_f32_e32 v[9:10], v9
.LBB8_1514:
	s_or_b32 exec_lo, exec_lo, s0
	s_mov_b32 s0, 0
	s_branch .LBB8_1518
.LBB8_1515:
	s_mov_b32 s1, -1
                                        ; implicit-def: $vgpr9_vgpr10
	s_branch .LBB8_1524
.LBB8_1516:
	s_mov_b32 s0, -1
                                        ; implicit-def: $vgpr9_vgpr10
	s_branch .LBB8_1521
.LBB8_1517:
	s_mov_b32 s0, -1
                                        ; implicit-def: $vgpr9_vgpr10
.LBB8_1518:
	s_delay_alu instid0(SALU_CYCLE_1)
	s_and_b32 vcc_lo, exec_lo, s0
	s_cbranch_vccz .LBB8_1520
; %bb.1519:
	global_load_u8 v9, v[11:12], off
	s_waitcnt vmcnt(0)
	v_lshlrev_b32_e32 v9, 24, v9
	s_delay_alu instid0(VALU_DEP_1) | instskip(NEXT) | instid1(VALU_DEP_1)
	v_and_b32_e32 v10, 0x7f000000, v9
	v_clz_i32_u32_e32 v15, v10
	v_add_nc_u32_e32 v17, 0x1000000, v10
	v_cmp_ne_u32_e32 vcc_lo, 0, v10
	s_delay_alu instid0(VALU_DEP_3) | instskip(NEXT) | instid1(VALU_DEP_1)
	v_min_u32_e32 v15, 32, v15
	v_sub_nc_u32_e64 v15, v15, 4 clamp
	s_delay_alu instid0(VALU_DEP_1) | instskip(SKIP_1) | instid1(VALU_DEP_2)
	v_lshlrev_b32_e32 v16, v15, v10
	v_lshlrev_b32_e32 v15, 23, v15
	v_lshrrev_b32_e32 v16, 4, v16
	s_delay_alu instid0(VALU_DEP_1) | instskip(SKIP_1) | instid1(VALU_DEP_2)
	v_sub_nc_u32_e32 v15, v16, v15
	v_ashrrev_i32_e32 v16, 8, v17
	v_add_nc_u32_e32 v15, 0x3c000000, v15
	s_delay_alu instid0(VALU_DEP_1) | instskip(NEXT) | instid1(VALU_DEP_1)
	v_and_or_b32 v15, 0x7f800000, v16, v15
	v_cndmask_b32_e32 v10, 0, v15, vcc_lo
	s_delay_alu instid0(VALU_DEP_1) | instskip(NEXT) | instid1(VALU_DEP_1)
	v_and_or_b32 v9, 0x80000000, v9, v10
	v_cvt_f64_f32_e32 v[9:10], v9
.LBB8_1520:
	s_mov_b32 s0, 0
.LBB8_1521:
	s_delay_alu instid0(SALU_CYCLE_1)
	s_and_not1_b32 vcc_lo, exec_lo, s0
	s_cbranch_vccnz .LBB8_1523
; %bb.1522:
	global_load_u8 v9, v[11:12], off
	s_waitcnt vmcnt(0)
	v_lshlrev_b32_e32 v10, 25, v9
	v_lshlrev_b16 v9, 8, v9
	s_delay_alu instid0(VALU_DEP_2) | instskip(NEXT) | instid1(VALU_DEP_2)
	v_lshrrev_b32_e32 v15, 4, v10
	v_and_or_b32 v16, 0x7f00, v9, 0.5
	v_bfe_i32 v9, v9, 0, 16
	s_delay_alu instid0(VALU_DEP_3) | instskip(NEXT) | instid1(VALU_DEP_1)
	v_or_b32_e32 v15, 0x70000000, v15
	v_dual_add_f32 v16, -0.5, v16 :: v_dual_mul_f32 v15, 0x7800000, v15
	v_cmp_gt_u32_e32 vcc_lo, 0x8000000, v10
	s_delay_alu instid0(VALU_DEP_2) | instskip(NEXT) | instid1(VALU_DEP_1)
	v_cndmask_b32_e32 v10, v15, v16, vcc_lo
	v_and_or_b32 v9, 0x80000000, v9, v10
	s_delay_alu instid0(VALU_DEP_1)
	v_cvt_f64_f32_e32 v[9:10], v9
.LBB8_1523:
	s_mov_b32 s1, 0
	s_mov_b32 s0, -1
.LBB8_1524:
	s_and_not1_b32 vcc_lo, exec_lo, s1
	s_mov_b32 s14, 0
	s_cbranch_vccnz .LBB8_1533
; %bb.1525:
	v_cmp_lt_i16_e32 vcc_lo, 14, v21
	s_cbranch_vccz .LBB8_1528
; %bb.1526:
	v_cmp_eq_u16_e32 vcc_lo, 15, v21
	s_cbranch_vccz .LBB8_1529
; %bb.1527:
	global_load_u16 v9, v[11:12], off
	s_mov_b32 s3, 0
	s_mov_b32 s0, -1
	s_waitcnt vmcnt(0)
	v_lshlrev_b32_e32 v9, 16, v9
	s_delay_alu instid0(VALU_DEP_1)
	v_cvt_f64_f32_e32 v[9:10], v9
	s_branch .LBB8_1530
.LBB8_1528:
	s_mov_b32 s1, -1
                                        ; implicit-def: $vgpr9_vgpr10
	s_branch .LBB8_1531
.LBB8_1529:
	s_mov_b32 s3, -1
                                        ; implicit-def: $vgpr9_vgpr10
.LBB8_1530:
	s_mov_b32 s1, 0
.LBB8_1531:
	s_delay_alu instid0(SALU_CYCLE_1)
	s_and_b32 vcc_lo, exec_lo, s1
	s_cbranch_vccz .LBB8_1533
; %bb.1532:
	v_cmp_ne_u16_e64 s3, 11, v21
	s_mov_b32 s14, -1
                                        ; implicit-def: $vgpr9_vgpr10
.LBB8_1533:
	s_delay_alu instid0(VALU_DEP_1)
	s_and_b32 vcc_lo, exec_lo, s3
	s_cbranch_vccnz .LBB8_1551
; %bb.1534:
	s_and_not1_b32 vcc_lo, exec_lo, s14
	s_cbranch_vccnz .LBB8_1536
.LBB8_1535:
	global_load_u8 v9, v[11:12], off
	s_mov_b32 s0, -1
	s_waitcnt vmcnt(0)
	v_cmp_ne_u16_e32 vcc_lo, 0, v9
	v_mov_b32_e32 v9, 0
	v_cndmask_b32_e64 v10, 0, 0x3ff00000, vcc_lo
.LBB8_1536:
.LBB8_1537:
	s_and_not1_b32 vcc_lo, exec_lo, s0
	s_cbranch_vccnz .LBB8_2065
.LBB8_1538:
	s_waitcnt vmcnt(0)
	s_delay_alu instid0(VALU_DEP_1) | instskip(SKIP_3) | instid1(VALU_DEP_3)
	v_cvt_f32_f64_e32 v11, v[9:10]
	v_dual_mov_b32 v16, v14 :: v_dual_mov_b32 v15, v13
	v_mov_b32_e32 v24, v23
	s_mov_b32 s0, exec_lo
	v_cmpx_nlg_f32_e64 0x7f800000, |v11|
	s_cbranch_execz .LBB8_1540
; %bb.1539:
	v_dual_mov_b32 v11, 0 :: v_dual_mov_b32 v12, 1.0
	global_store_b32 v11, v12, s[8:9]
	global_load_b32 v24, v11, s[10:11]
	s_waitcnt vmcnt(0)
	v_cvt_f64_f32_e32 v[15:16], v24
.LBB8_1540:
	s_or_b32 exec_lo, exec_lo, s0
	v_cmp_gt_i16_e32 vcc_lo, 11, v21
	v_add_co_u32 v17, s0, s6, v1
	s_delay_alu instid0(VALU_DEP_1)
	v_add_co_ci_u32_e64 v18, null, s7, 0, s0
	s_mov_b32 s0, 0
	s_cbranch_vccnz .LBB8_1547
; %bb.1541:
	v_cmp_lt_i16_e32 vcc_lo, 25, v21
	s_mov_b32 s6, 0
	s_cbranch_vccz .LBB8_1548
; %bb.1542:
	v_cmp_lt_i16_e32 vcc_lo, 28, v21
	s_cbranch_vccz .LBB8_1549
; %bb.1543:
	v_cmp_lt_i16_e32 vcc_lo, 43, v21
	;; [unrolled: 3-line block ×3, first 2 shown]
	s_cbranch_vccz .LBB8_1553
; %bb.1545:
	v_cmp_eq_u16_e32 vcc_lo, 46, v21
	s_mov_b32 s1, 0
	s_cbranch_vccz .LBB8_1556
; %bb.1546:
	global_load_b32 v1, v[17:18], off
	s_mov_b32 s3, 0
	s_mov_b32 s0, -1
	s_waitcnt vmcnt(0)
	v_lshlrev_b32_e32 v1, 16, v1
	s_delay_alu instid0(VALU_DEP_1)
	v_cvt_f64_f32_e32 v[11:12], v1
	s_branch .LBB8_1558
.LBB8_1547:
	s_mov_b32 s1, -1
                                        ; implicit-def: $vgpr11_vgpr12
	s_branch .LBB8_1624
.LBB8_1548:
	s_mov_b32 s1, -1
	s_mov_b32 s3, 0
                                        ; implicit-def: $vgpr11_vgpr12
	s_branch .LBB8_1589
.LBB8_1549:
	s_mov_b32 s1, -1
	s_mov_b32 s3, 0
                                        ; implicit-def: $vgpr11_vgpr12
	s_branch .LBB8_1568
.LBB8_1550:
	s_mov_b32 s1, -1
	s_mov_b32 s3, 0
                                        ; implicit-def: $vgpr11_vgpr12
	s_branch .LBB8_1563
.LBB8_1551:
	s_cbranch_execnz .LBB8_1554
; %bb.1552:
	s_or_b32 s2, s2, exec_lo
                                        ; implicit-def: $vgpr9_vgpr10
	s_cbranch_execz .LBB8_1535
	s_branch .LBB8_1536
.LBB8_1553:
	s_mov_b32 s1, -1
	s_mov_b32 s3, 0
	s_branch .LBB8_1557
.LBB8_1554:
	s_trap 2
	s_sendmsg_rtn_b32 s0, sendmsg(MSG_RTN_GET_DOORBELL)
	s_mov_b32 ttmp2, m0
	s_waitcnt lgkmcnt(0)
	s_and_b32 s0, s0, 0x3ff
	s_delay_alu instid0(SALU_CYCLE_1) | instskip(NEXT) | instid1(SALU_CYCLE_1)
	s_bitset1_b32 s0, 10
	s_mov_b32 m0, s0
	s_sendmsg sendmsg(MSG_INTERRUPT)
	s_mov_b32 m0, ttmp2
.LBB8_1555:                             ; =>This Inner Loop Header: Depth=1
	s_sethalt 5
	s_branch .LBB8_1555
.LBB8_1556:
	s_mov_b32 s3, -1
.LBB8_1557:
                                        ; implicit-def: $vgpr11_vgpr12
.LBB8_1558:
	s_and_b32 vcc_lo, exec_lo, s1
	s_cbranch_vccz .LBB8_1562
; %bb.1559:
	v_cmp_eq_u16_e32 vcc_lo, 44, v21
	s_cbranch_vccz .LBB8_1561
; %bb.1560:
	global_load_u8 v1, v[17:18], off
	s_mov_b32 s3, 0
	s_mov_b32 s0, -1
	s_waitcnt vmcnt(0)
	v_cmp_ne_u32_e32 vcc_lo, 0xff, v1
	v_lshlrev_b32_e32 v11, 23, v1
	s_delay_alu instid0(VALU_DEP_1) | instskip(NEXT) | instid1(VALU_DEP_1)
	v_cvt_f64_f32_e32 v[11:12], v11
	v_cndmask_b32_e32 v12, 0x7ff80000, v12, vcc_lo
	s_delay_alu instid0(VALU_DEP_2) | instskip(SKIP_1) | instid1(VALU_DEP_3)
	v_cndmask_b32_e32 v11, 0x20000000, v11, vcc_lo
	v_cmp_ne_u32_e32 vcc_lo, 0, v1
	v_cndmask_b32_e32 v12, 0x38000000, v12, vcc_lo
	s_delay_alu instid0(VALU_DEP_3)
	v_cndmask_b32_e32 v11, 0, v11, vcc_lo
	s_branch .LBB8_1562
.LBB8_1561:
	s_mov_b32 s3, -1
                                        ; implicit-def: $vgpr11_vgpr12
.LBB8_1562:
	s_mov_b32 s1, 0
.LBB8_1563:
	s_delay_alu instid0(SALU_CYCLE_1)
	s_and_b32 vcc_lo, exec_lo, s1
	s_cbranch_vccz .LBB8_1567
; %bb.1564:
	v_cmp_eq_u16_e32 vcc_lo, 29, v21
	s_cbranch_vccz .LBB8_1566
; %bb.1565:
	global_load_b64 v[11:12], v[17:18], off
	s_mov_b32 s3, 0
	s_mov_b32 s0, -1
	s_mov_b32 s1, 0
	s_waitcnt vmcnt(0)
	v_cvt_f64_u32_e32 v[25:26], v12
	v_cvt_f64_u32_e32 v[11:12], v11
	s_delay_alu instid0(VALU_DEP_2) | instskip(NEXT) | instid1(VALU_DEP_1)
	v_ldexp_f64 v[25:26], v[25:26], 32
	v_add_f64 v[11:12], v[25:26], v[11:12]
	s_branch .LBB8_1568
.LBB8_1566:
	s_mov_b32 s3, -1
                                        ; implicit-def: $vgpr11_vgpr12
.LBB8_1567:
	s_mov_b32 s1, 0
.LBB8_1568:
	s_delay_alu instid0(SALU_CYCLE_1)
	s_and_b32 vcc_lo, exec_lo, s1
	s_cbranch_vccz .LBB8_1588
; %bb.1569:
	v_cmp_gt_i16_e32 vcc_lo, 27, v21
	s_cbranch_vccnz .LBB8_1572
; %bb.1570:
	v_cmp_lt_i16_e32 vcc_lo, 27, v21
	s_cbranch_vccz .LBB8_1573
; %bb.1571:
	global_load_b32 v1, v[17:18], off
	s_mov_b32 s0, 0
	s_waitcnt vmcnt(0)
	v_cvt_f64_u32_e32 v[11:12], v1
	s_branch .LBB8_1574
.LBB8_1572:
	s_mov_b32 s0, -1
                                        ; implicit-def: $vgpr11_vgpr12
	s_branch .LBB8_1577
.LBB8_1573:
	s_mov_b32 s0, -1
                                        ; implicit-def: $vgpr11_vgpr12
.LBB8_1574:
	s_delay_alu instid0(SALU_CYCLE_1)
	s_and_not1_b32 vcc_lo, exec_lo, s0
	s_cbranch_vccnz .LBB8_1576
; %bb.1575:
	global_load_u16 v1, v[17:18], off
	s_waitcnt vmcnt(0)
	v_cvt_f64_u32_e32 v[11:12], v1
.LBB8_1576:
	s_mov_b32 s0, 0
.LBB8_1577:
	s_delay_alu instid0(SALU_CYCLE_1)
	s_and_not1_b32 vcc_lo, exec_lo, s0
	s_cbranch_vccnz .LBB8_1587
; %bb.1578:
	global_load_u8 v1, v[17:18], off
	s_mov_b32 s7, 0
	s_mov_b32 s14, exec_lo
                                        ; implicit-def: $sgpr0_sgpr1
	s_waitcnt vmcnt(0)
	v_cmpx_lt_i16_e32 0x7f, v1
	s_xor_b32 s14, exec_lo, s14
	s_cbranch_execz .LBB8_1582
; %bb.1579:
	s_mov_b32 s15, -1
	s_mov_b32 s7, exec_lo
                                        ; implicit-def: $sgpr0_sgpr1
	v_cmpx_eq_u16_e32 0x80, v1
; %bb.1580:
	s_mov_b32 s1, 0x7ff80000
	s_brev_b32 s0, 4
	s_xor_b32 s15, exec_lo, -1
; %bb.1581:
	s_or_b32 exec_lo, exec_lo, s7
	s_delay_alu instid0(SALU_CYCLE_1)
	s_and_b32 s7, s15, exec_lo
.LBB8_1582:
	s_or_saveexec_b32 s14, s14
	v_dual_mov_b32 v12, s1 :: v_dual_mov_b32 v11, s0
	s_xor_b32 exec_lo, exec_lo, s14
; %bb.1583:
	v_cmp_ne_u16_e32 vcc_lo, 0, v1
	v_mov_b32_e32 v11, 0
	v_mov_b32_e32 v12, 0
	s_and_not1_b32 s0, s7, exec_lo
	s_and_b32 s1, vcc_lo, exec_lo
	s_delay_alu instid0(SALU_CYCLE_1)
	s_or_b32 s7, s0, s1
; %bb.1584:
	s_or_b32 exec_lo, exec_lo, s14
	s_and_saveexec_b32 s0, s7
	s_cbranch_execz .LBB8_1586
; %bb.1585:
	v_and_b32_e32 v11, 0xffff, v1
	v_lshlrev_b32_e32 v1, 24, v1
	s_delay_alu instid0(VALU_DEP_2) | instskip(NEXT) | instid1(VALU_DEP_2)
	v_and_b32_e32 v12, 7, v11
	v_and_b32_e32 v1, 0x80000000, v1
	s_delay_alu instid0(VALU_DEP_2) | instskip(NEXT) | instid1(VALU_DEP_1)
	v_clz_i32_u32_e32 v25, v12
	v_min_u32_e32 v25, 32, v25
	s_delay_alu instid0(VALU_DEP_1) | instskip(SKIP_1) | instid1(VALU_DEP_2)
	v_subrev_nc_u32_e32 v26, 28, v25
	v_sub_nc_u32_e32 v25, 29, v25
	v_lshlrev_b32_e32 v26, v26, v11
	v_bfe_u32 v11, v11, 3, 4
	s_delay_alu instid0(VALU_DEP_2) | instskip(NEXT) | instid1(VALU_DEP_2)
	v_and_b32_e32 v26, 7, v26
	v_cmp_eq_u32_e32 vcc_lo, 0, v11
	s_delay_alu instid0(VALU_DEP_2) | instskip(NEXT) | instid1(VALU_DEP_1)
	v_dual_cndmask_b32 v11, v11, v25 :: v_dual_cndmask_b32 v12, v12, v26
	v_lshl_add_u32 v11, v11, 23, 0x3b800000
	s_delay_alu instid0(VALU_DEP_2) | instskip(NEXT) | instid1(VALU_DEP_1)
	v_lshlrev_b32_e32 v12, 20, v12
	v_or3_b32 v1, v1, v11, v12
	s_delay_alu instid0(VALU_DEP_1)
	v_cvt_f64_f32_e32 v[11:12], v1
.LBB8_1586:
	s_or_b32 exec_lo, exec_lo, s0
.LBB8_1587:
	s_mov_b32 s0, -1
.LBB8_1588:
	s_mov_b32 s1, 0
.LBB8_1589:
	s_delay_alu instid0(SALU_CYCLE_1)
	s_and_b32 vcc_lo, exec_lo, s1
	s_cbranch_vccz .LBB8_1620
; %bb.1590:
	v_cmp_lt_i16_e32 vcc_lo, 22, v21
	s_cbranch_vccz .LBB8_1602
; %bb.1591:
	v_cmp_gt_i16_e32 vcc_lo, 24, v21
	s_cbranch_vccnz .LBB8_1603
; %bb.1592:
	v_cmp_lt_i16_e32 vcc_lo, 24, v21
	s_cbranch_vccz .LBB8_1604
; %bb.1593:
	global_load_u8 v1, v[17:18], off
	s_mov_b32 s7, exec_lo
                                        ; implicit-def: $sgpr0_sgpr1
	s_waitcnt vmcnt(0)
	v_cmpx_lt_i16_e32 0x7f, v1
	s_xor_b32 s7, exec_lo, s7
	s_cbranch_execz .LBB8_1597
; %bb.1594:
	s_mov_b32 s14, -1
	s_mov_b32 s6, exec_lo
                                        ; implicit-def: $sgpr0_sgpr1
	v_cmpx_eq_u16_e32 0x80, v1
; %bb.1595:
	s_mov_b32 s1, 0x7ff80000
	s_brev_b32 s0, 4
	s_xor_b32 s14, exec_lo, -1
; %bb.1596:
	s_or_b32 exec_lo, exec_lo, s6
	s_delay_alu instid0(SALU_CYCLE_1)
	s_and_b32 s6, s14, exec_lo
.LBB8_1597:
	s_or_saveexec_b32 s7, s7
	v_dual_mov_b32 v12, s1 :: v_dual_mov_b32 v11, s0
	s_xor_b32 exec_lo, exec_lo, s7
; %bb.1598:
	v_cmp_ne_u16_e32 vcc_lo, 0, v1
	v_mov_b32_e32 v11, 0
	v_mov_b32_e32 v12, 0
	s_and_not1_b32 s0, s6, exec_lo
	s_and_b32 s1, vcc_lo, exec_lo
	s_delay_alu instid0(SALU_CYCLE_1)
	s_or_b32 s6, s0, s1
; %bb.1599:
	s_or_b32 exec_lo, exec_lo, s7
	s_and_saveexec_b32 s0, s6
	s_cbranch_execz .LBB8_1601
; %bb.1600:
	v_and_b32_e32 v11, 0xffff, v1
	v_lshlrev_b32_e32 v1, 24, v1
	s_delay_alu instid0(VALU_DEP_2) | instskip(NEXT) | instid1(VALU_DEP_2)
	v_and_b32_e32 v12, 3, v11
	v_and_b32_e32 v1, 0x80000000, v1
	s_delay_alu instid0(VALU_DEP_2) | instskip(NEXT) | instid1(VALU_DEP_1)
	v_clz_i32_u32_e32 v25, v12
	v_min_u32_e32 v25, 32, v25
	s_delay_alu instid0(VALU_DEP_1) | instskip(SKIP_1) | instid1(VALU_DEP_2)
	v_subrev_nc_u32_e32 v26, 29, v25
	v_sub_nc_u32_e32 v25, 30, v25
	v_lshlrev_b32_e32 v26, v26, v11
	v_bfe_u32 v11, v11, 2, 5
	s_delay_alu instid0(VALU_DEP_2) | instskip(NEXT) | instid1(VALU_DEP_2)
	v_and_b32_e32 v26, 3, v26
	v_cmp_eq_u32_e32 vcc_lo, 0, v11
	s_delay_alu instid0(VALU_DEP_2) | instskip(NEXT) | instid1(VALU_DEP_1)
	v_dual_cndmask_b32 v11, v11, v25 :: v_dual_cndmask_b32 v12, v12, v26
	v_lshl_add_u32 v11, v11, 23, 0x37800000
	s_delay_alu instid0(VALU_DEP_2) | instskip(NEXT) | instid1(VALU_DEP_1)
	v_lshlrev_b32_e32 v12, 21, v12
	v_or3_b32 v1, v1, v11, v12
	s_delay_alu instid0(VALU_DEP_1)
	v_cvt_f64_f32_e32 v[11:12], v1
.LBB8_1601:
	s_or_b32 exec_lo, exec_lo, s0
	s_mov_b32 s0, 0
	s_branch .LBB8_1605
.LBB8_1602:
	s_mov_b32 s1, -1
                                        ; implicit-def: $vgpr11_vgpr12
	s_branch .LBB8_1611
.LBB8_1603:
	s_mov_b32 s0, -1
                                        ; implicit-def: $vgpr11_vgpr12
	s_branch .LBB8_1608
.LBB8_1604:
	s_mov_b32 s0, -1
                                        ; implicit-def: $vgpr11_vgpr12
.LBB8_1605:
	s_delay_alu instid0(SALU_CYCLE_1)
	s_and_b32 vcc_lo, exec_lo, s0
	s_cbranch_vccz .LBB8_1607
; %bb.1606:
	global_load_u8 v1, v[17:18], off
	s_waitcnt vmcnt(0)
	v_lshlrev_b32_e32 v1, 24, v1
	s_delay_alu instid0(VALU_DEP_1) | instskip(NEXT) | instid1(VALU_DEP_1)
	v_and_b32_e32 v11, 0x7f000000, v1
	v_clz_i32_u32_e32 v12, v11
	v_cmp_ne_u32_e32 vcc_lo, 0, v11
	v_add_nc_u32_e32 v26, 0x1000000, v11
	s_delay_alu instid0(VALU_DEP_3) | instskip(NEXT) | instid1(VALU_DEP_1)
	v_min_u32_e32 v12, 32, v12
	v_sub_nc_u32_e64 v12, v12, 4 clamp
	s_delay_alu instid0(VALU_DEP_1) | instskip(SKIP_1) | instid1(VALU_DEP_2)
	v_lshlrev_b32_e32 v25, v12, v11
	v_lshlrev_b32_e32 v12, 23, v12
	v_lshrrev_b32_e32 v25, 4, v25
	s_delay_alu instid0(VALU_DEP_1) | instskip(SKIP_1) | instid1(VALU_DEP_2)
	v_sub_nc_u32_e32 v12, v25, v12
	v_ashrrev_i32_e32 v25, 8, v26
	v_add_nc_u32_e32 v12, 0x3c000000, v12
	s_delay_alu instid0(VALU_DEP_1) | instskip(NEXT) | instid1(VALU_DEP_1)
	v_and_or_b32 v12, 0x7f800000, v25, v12
	v_cndmask_b32_e32 v11, 0, v12, vcc_lo
	s_delay_alu instid0(VALU_DEP_1) | instskip(NEXT) | instid1(VALU_DEP_1)
	v_and_or_b32 v1, 0x80000000, v1, v11
	v_cvt_f64_f32_e32 v[11:12], v1
.LBB8_1607:
	s_mov_b32 s0, 0
.LBB8_1608:
	s_delay_alu instid0(SALU_CYCLE_1)
	s_and_not1_b32 vcc_lo, exec_lo, s0
	s_cbranch_vccnz .LBB8_1610
; %bb.1609:
	global_load_u8 v1, v[17:18], off
	s_waitcnt vmcnt(0)
	v_lshlrev_b32_e32 v11, 25, v1
	v_lshlrev_b16 v1, 8, v1
	s_delay_alu instid0(VALU_DEP_2) | instskip(NEXT) | instid1(VALU_DEP_2)
	v_lshrrev_b32_e32 v12, 4, v11
	v_and_or_b32 v25, 0x7f00, v1, 0.5
	v_bfe_i32 v1, v1, 0, 16
	s_delay_alu instid0(VALU_DEP_3) | instskip(NEXT) | instid1(VALU_DEP_1)
	v_or_b32_e32 v12, 0x70000000, v12
	v_dual_add_f32 v25, -0.5, v25 :: v_dual_mul_f32 v12, 0x7800000, v12
	v_cmp_gt_u32_e32 vcc_lo, 0x8000000, v11
	s_delay_alu instid0(VALU_DEP_2) | instskip(NEXT) | instid1(VALU_DEP_1)
	v_cndmask_b32_e32 v11, v12, v25, vcc_lo
	v_and_or_b32 v1, 0x80000000, v1, v11
	s_delay_alu instid0(VALU_DEP_1)
	v_cvt_f64_f32_e32 v[11:12], v1
.LBB8_1610:
	s_mov_b32 s1, 0
	s_mov_b32 s0, -1
.LBB8_1611:
	s_and_not1_b32 vcc_lo, exec_lo, s1
	s_mov_b32 s6, 0
	s_cbranch_vccnz .LBB8_1620
; %bb.1612:
	v_cmp_lt_i16_e32 vcc_lo, 14, v21
	s_cbranch_vccz .LBB8_1615
; %bb.1613:
	v_cmp_eq_u16_e32 vcc_lo, 15, v21
	s_cbranch_vccz .LBB8_1616
; %bb.1614:
	global_load_u16 v1, v[17:18], off
	s_mov_b32 s3, 0
	s_mov_b32 s0, -1
	s_waitcnt vmcnt(0)
	v_lshlrev_b32_e32 v1, 16, v1
	s_delay_alu instid0(VALU_DEP_1)
	v_cvt_f64_f32_e32 v[11:12], v1
	s_branch .LBB8_1617
.LBB8_1615:
	s_mov_b32 s1, -1
                                        ; implicit-def: $vgpr11_vgpr12
	s_branch .LBB8_1618
.LBB8_1616:
	s_mov_b32 s3, -1
                                        ; implicit-def: $vgpr11_vgpr12
.LBB8_1617:
	s_mov_b32 s1, 0
.LBB8_1618:
	s_delay_alu instid0(SALU_CYCLE_1)
	s_and_b32 vcc_lo, exec_lo, s1
	s_cbranch_vccz .LBB8_1620
; %bb.1619:
	v_cmp_ne_u16_e64 s3, 11, v21
	s_mov_b32 s6, -1
                                        ; implicit-def: $vgpr11_vgpr12
.LBB8_1620:
	s_delay_alu instid0(VALU_DEP_1)
	s_and_b32 vcc_lo, exec_lo, s3
	s_cbranch_vccnz .LBB8_1685
; %bb.1621:
	s_and_not1_b32 vcc_lo, exec_lo, s6
	s_cbranch_vccnz .LBB8_1623
.LBB8_1622:
	global_load_u8 v1, v[17:18], off
	v_mov_b32_e32 v11, 0
	s_mov_b32 s0, -1
	s_waitcnt vmcnt(0)
	v_cmp_ne_u16_e32 vcc_lo, 0, v1
	v_cndmask_b32_e64 v12, 0, 0x3ff00000, vcc_lo
.LBB8_1623:
	s_mov_b32 s1, 0
.LBB8_1624:
	s_delay_alu instid0(SALU_CYCLE_1)
	s_and_b32 vcc_lo, exec_lo, s1
	s_cbranch_vccz .LBB8_1673
; %bb.1625:
	v_cmp_gt_i16_e32 vcc_lo, 5, v21
	s_cbranch_vccnz .LBB8_1630
; %bb.1626:
	v_cmp_gt_i16_e32 vcc_lo, 8, v21
	s_cbranch_vccnz .LBB8_1631
	;; [unrolled: 3-line block ×3, first 2 shown]
; %bb.1628:
	v_cmp_lt_i16_e32 vcc_lo, 9, v21
	s_cbranch_vccz .LBB8_1633
; %bb.1629:
	global_load_b64 v[11:12], v[17:18], off
	s_mov_b32 s0, 0
	s_branch .LBB8_1634
.LBB8_1630:
	s_mov_b32 s0, -1
                                        ; implicit-def: $vgpr11_vgpr12
	s_branch .LBB8_1652
.LBB8_1631:
	s_mov_b32 s0, -1
                                        ; implicit-def: $vgpr11_vgpr12
	s_branch .LBB8_1640
.LBB8_1632:
	s_mov_b32 s0, -1
                                        ; implicit-def: $vgpr11_vgpr12
	s_branch .LBB8_1637
.LBB8_1633:
	s_mov_b32 s0, -1
                                        ; implicit-def: $vgpr11_vgpr12
.LBB8_1634:
	s_delay_alu instid0(SALU_CYCLE_1)
	s_and_not1_b32 vcc_lo, exec_lo, s0
	s_cbranch_vccnz .LBB8_1636
; %bb.1635:
	global_load_b32 v1, v[17:18], off
	s_waitcnt vmcnt(0)
	v_cvt_f64_f32_e32 v[11:12], v1
.LBB8_1636:
	s_mov_b32 s0, 0
.LBB8_1637:
	s_delay_alu instid0(SALU_CYCLE_1)
	s_and_not1_b32 vcc_lo, exec_lo, s0
	s_cbranch_vccnz .LBB8_1639
; %bb.1638:
	global_load_b32 v1, v[17:18], off
	s_waitcnt vmcnt(0)
	v_cvt_f32_f16_e32 v1, v1
	s_delay_alu instid0(VALU_DEP_1)
	v_cvt_f64_f32_e32 v[11:12], v1
.LBB8_1639:
	s_mov_b32 s0, 0
.LBB8_1640:
	s_delay_alu instid0(SALU_CYCLE_1)
	s_and_not1_b32 vcc_lo, exec_lo, s0
	s_cbranch_vccnz .LBB8_1651
; %bb.1641:
	v_cmp_gt_i16_e32 vcc_lo, 6, v21
	s_cbranch_vccnz .LBB8_1644
; %bb.1642:
	v_cmp_lt_i16_e32 vcc_lo, 6, v21
	s_cbranch_vccz .LBB8_1645
; %bb.1643:
	global_load_b64 v[11:12], v[17:18], off
	s_mov_b32 s0, 0
	s_branch .LBB8_1646
.LBB8_1644:
	s_mov_b32 s0, -1
                                        ; implicit-def: $vgpr11_vgpr12
	s_branch .LBB8_1649
.LBB8_1645:
	s_mov_b32 s0, -1
                                        ; implicit-def: $vgpr11_vgpr12
.LBB8_1646:
	s_delay_alu instid0(SALU_CYCLE_1)
	s_and_not1_b32 vcc_lo, exec_lo, s0
	s_cbranch_vccnz .LBB8_1648
; %bb.1647:
	global_load_b32 v1, v[17:18], off
	s_waitcnt vmcnt(0)
	v_cvt_f64_f32_e32 v[11:12], v1
.LBB8_1648:
	s_mov_b32 s0, 0
.LBB8_1649:
	s_delay_alu instid0(SALU_CYCLE_1)
	s_and_not1_b32 vcc_lo, exec_lo, s0
	s_cbranch_vccnz .LBB8_1651
; %bb.1650:
	global_load_u16 v1, v[17:18], off
	s_waitcnt vmcnt(0)
	v_cvt_f32_f16_e32 v1, v1
	s_delay_alu instid0(VALU_DEP_1)
	v_cvt_f64_f32_e32 v[11:12], v1
.LBB8_1651:
	s_mov_b32 s0, 0
.LBB8_1652:
	s_delay_alu instid0(SALU_CYCLE_1)
	s_and_not1_b32 vcc_lo, exec_lo, s0
	s_cbranch_vccnz .LBB8_1672
; %bb.1653:
	v_cmp_gt_i16_e32 vcc_lo, 2, v21
	s_cbranch_vccnz .LBB8_1657
; %bb.1654:
	v_cmp_gt_i16_e32 vcc_lo, 3, v21
	s_cbranch_vccnz .LBB8_1658
; %bb.1655:
	v_cmp_lt_i16_e32 vcc_lo, 3, v21
	s_cbranch_vccz .LBB8_1659
; %bb.1656:
	global_load_b64 v[11:12], v[17:18], off
	s_mov_b32 s0, 0
	s_waitcnt vmcnt(0)
	v_cvt_f64_i32_e32 v[25:26], v12
	v_cvt_f64_u32_e32 v[11:12], v11
	s_delay_alu instid0(VALU_DEP_2) | instskip(NEXT) | instid1(VALU_DEP_1)
	v_ldexp_f64 v[25:26], v[25:26], 32
	v_add_f64 v[11:12], v[25:26], v[11:12]
	s_branch .LBB8_1660
.LBB8_1657:
	s_mov_b32 s0, -1
                                        ; implicit-def: $vgpr11_vgpr12
	s_branch .LBB8_1666
.LBB8_1658:
	s_mov_b32 s0, -1
                                        ; implicit-def: $vgpr11_vgpr12
	s_branch .LBB8_1663
.LBB8_1659:
	s_mov_b32 s0, -1
                                        ; implicit-def: $vgpr11_vgpr12
.LBB8_1660:
	s_delay_alu instid0(SALU_CYCLE_1)
	s_and_not1_b32 vcc_lo, exec_lo, s0
	s_cbranch_vccnz .LBB8_1662
; %bb.1661:
	global_load_b32 v1, v[17:18], off
	s_waitcnt vmcnt(0)
	v_cvt_f64_i32_e32 v[11:12], v1
.LBB8_1662:
	s_mov_b32 s0, 0
.LBB8_1663:
	s_delay_alu instid0(SALU_CYCLE_1)
	s_and_not1_b32 vcc_lo, exec_lo, s0
	s_cbranch_vccnz .LBB8_1665
; %bb.1664:
	global_load_i16 v1, v[17:18], off
	s_waitcnt vmcnt(0)
	v_cvt_f64_i32_e32 v[11:12], v1
.LBB8_1665:
	s_mov_b32 s0, 0
.LBB8_1666:
	s_delay_alu instid0(SALU_CYCLE_1)
	s_and_not1_b32 vcc_lo, exec_lo, s0
	s_cbranch_vccnz .LBB8_1672
; %bb.1667:
	v_cmp_lt_i16_e32 vcc_lo, 0, v21
	s_mov_b32 s0, 0
	s_cbranch_vccz .LBB8_1669
; %bb.1668:
	global_load_i8 v1, v[17:18], off
	s_waitcnt vmcnt(0)
	v_cvt_f64_i32_e32 v[11:12], v1
	s_branch .LBB8_1670
.LBB8_1669:
	s_mov_b32 s0, -1
                                        ; implicit-def: $vgpr11_vgpr12
.LBB8_1670:
	s_delay_alu instid0(SALU_CYCLE_1)
	s_and_not1_b32 vcc_lo, exec_lo, s0
	s_cbranch_vccnz .LBB8_1672
; %bb.1671:
	global_load_u8 v1, v[17:18], off
	s_waitcnt vmcnt(0)
	v_cvt_f64_u32_e32 v[11:12], v1
.LBB8_1672:
	s_mov_b32 s0, -1
.LBB8_1673:
	s_delay_alu instid0(SALU_CYCLE_1)
	s_and_not1_b32 vcc_lo, exec_lo, s0
	s_cbranch_vccnz .LBB8_2065
; %bb.1674:
	s_waitcnt vmcnt(0)
	s_delay_alu instid0(VALU_DEP_1) | instskip(SKIP_3) | instid1(VALU_DEP_3)
	v_cvt_f32_f64_e32 v1, v[11:12]
	v_dual_mov_b32 v18, v16 :: v_dual_mov_b32 v17, v15
	v_mov_b32_e32 v21, v24
	s_mov_b32 s0, exec_lo
	v_cmpx_nlg_f32_e64 0x7f800000, |v1|
	s_cbranch_execz .LBB8_1676
; %bb.1675:
	v_mov_b32_e32 v1, 0
	v_mov_b32_e32 v17, 1.0
	global_store_b32 v1, v17, s[8:9]
	global_load_b32 v21, v1, s[10:11]
	s_waitcnt vmcnt(0)
	v_cvt_f64_f32_e32 v[17:18], v21
.LBB8_1676:
	s_or_b32 exec_lo, exec_lo, s0
	v_mul_f64 v[25:26], v[2:3], v[19:20]
	s_load_b32 s0, s[20:21], 0x168
	v_cmp_eq_f32_e32 vcc_lo, 1.0, v22
	v_add_co_u32 v19, s1, s4, v0
	s_delay_alu instid0(VALU_DEP_1) | instskip(SKIP_3) | instid1(SALU_CYCLE_1)
	v_add_co_ci_u32_e64 v20, null, s5, 0, s1
	s_mov_b32 s6, 0
	s_waitcnt lgkmcnt(0)
	s_and_b32 s3, s0, 0xff
	v_cmp_lt_i16_e64 s0, s3, 11
	v_dual_cndmask_b32 v1, v26, v3 :: v_dual_cndmask_b32 v0, v25, v2
	s_delay_alu instid0(VALU_DEP_2)
	s_and_b32 vcc_lo, exec_lo, s0
	s_mov_b32 s0, -1
	s_cbranch_vccnz .LBB8_1759
; %bb.1677:
	v_cmp_gt_i16_e64 s0, s3, 25
	s_mov_b32 s7, -1
	s_mov_b32 s1, 0
	s_delay_alu instid0(VALU_DEP_1)
	s_and_b32 vcc_lo, exec_lo, s0
	s_mov_b32 s0, 0
	s_cbranch_vccz .LBB8_1715
; %bb.1678:
	v_cmp_gt_i16_e64 s0, s3, 28
	s_delay_alu instid0(VALU_DEP_1)
	s_and_b32 vcc_lo, exec_lo, s0
	s_cbranch_vccz .LBB8_1683
; %bb.1679:
	v_cmp_gt_i16_e64 s0, s3, 43
	s_delay_alu instid0(VALU_DEP_1)
	s_and_b32 vcc_lo, exec_lo, s0
	;; [unrolled: 5-line block ×3, first 2 shown]
	s_cbranch_vccz .LBB8_1687
; %bb.1681:
	v_cmp_eq_u16_e64 s6, s3, 46
	s_mov_b32 s0, -1
	s_mov_b32 s7, 0
	s_delay_alu instid0(VALU_DEP_1)
	s_and_b32 vcc_lo, exec_lo, s6
	s_mov_b32 s6, 0
	s_cbranch_vccz .LBB8_1688
; %bb.1682:
	v_cvt_f32_f64_e32 v2, v[0:1]
	s_mov_b32 s0, 0
	s_mov_b32 s6, -1
	s_delay_alu instid0(VALU_DEP_1) | instskip(SKIP_1) | instid1(VALU_DEP_2)
	v_bfe_u32 v3, v2, 16, 1
	v_cmp_o_f32_e32 vcc_lo, v2, v2
	v_add3_u32 v3, v2, v3, 0x7fff
	s_delay_alu instid0(VALU_DEP_1) | instskip(NEXT) | instid1(VALU_DEP_1)
	v_lshrrev_b32_e32 v3, 16, v3
	v_cndmask_b32_e32 v2, 0x7fc0, v3, vcc_lo
	global_store_b32 v[19:20], v2, off
	s_branch .LBB8_1688
.LBB8_1683:
	s_mov_b32 s0, 0
	s_branch .LBB8_1698
.LBB8_1684:
	s_mov_b32 s0, 0
	s_branch .LBB8_1694
.LBB8_1685:
	s_cbranch_execnz .LBB8_1810
; %bb.1686:
	s_or_b32 s2, s2, exec_lo
                                        ; implicit-def: $vgpr11_vgpr12
	s_cbranch_execz .LBB8_1622
	s_branch .LBB8_1623
.LBB8_1687:
	s_mov_b32 s0, 0
.LBB8_1688:
	s_and_b32 vcc_lo, exec_lo, s7
	s_cbranch_vccz .LBB8_1693
; %bb.1689:
	v_cmp_eq_u16_e64 s0, s3, 44
	s_delay_alu instid0(VALU_DEP_1)
	s_and_b32 vcc_lo, exec_lo, s0
	s_mov_b32 s0, -1
	s_cbranch_vccz .LBB8_1693
; %bb.1690:
	v_cvt_f32_f64_e32 v2, v[0:1]
	v_mov_b32_e32 v3, 0xff
	s_mov_b32 s6, exec_lo
	s_delay_alu instid0(VALU_DEP_2) | instskip(NEXT) | instid1(VALU_DEP_1)
	v_bfe_u32 v22, v2, 23, 8
	v_cmpx_ne_u32_e32 0xff, v22
; %bb.1691:
	v_and_b32_e32 v3, 0x400000, v2
	v_and_or_b32 v22, 0x3fffff, v2, v22
	v_lshrrev_b32_e32 v2, 23, v2
	s_delay_alu instid0(VALU_DEP_3) | instskip(NEXT) | instid1(VALU_DEP_3)
	v_cmp_ne_u32_e32 vcc_lo, 0, v3
	v_cmp_ne_u32_e64 s0, 0, v22
	s_delay_alu instid0(VALU_DEP_1) | instskip(NEXT) | instid1(SALU_CYCLE_1)
	s_and_b32 s0, vcc_lo, s0
	v_cndmask_b32_e64 v3, 0, 1, s0
	s_delay_alu instid0(VALU_DEP_1)
	v_add_nc_u32_e32 v3, v2, v3
; %bb.1692:
	s_or_b32 exec_lo, exec_lo, s6
	s_mov_b32 s0, 0
	s_mov_b32 s6, -1
	global_store_b8 v[19:20], v3, off
.LBB8_1693:
	s_mov_b32 s7, 0
.LBB8_1694:
	s_delay_alu instid0(SALU_CYCLE_1)
	s_and_b32 vcc_lo, exec_lo, s7
	s_cbranch_vccz .LBB8_1697
; %bb.1695:
	v_cmp_eq_u16_e64 s0, s3, 29
	s_delay_alu instid0(VALU_DEP_1)
	s_and_b32 vcc_lo, exec_lo, s0
	s_mov_b32 s0, -1
	s_cbranch_vccz .LBB8_1697
; %bb.1696:
	v_trunc_f64_e32 v[2:3], v[0:1]
	s_mov_b32 s0, 0
	s_mov_b32 s6, -1
	s_mov_b32 s7, 0
	s_delay_alu instid0(VALU_DEP_1) | instskip(NEXT) | instid1(VALU_DEP_1)
	v_ldexp_f64 v[25:26], v[2:3], 0xffffffe0
	v_floor_f64_e32 v[25:26], v[25:26]
	s_delay_alu instid0(VALU_DEP_1) | instskip(SKIP_1) | instid1(VALU_DEP_2)
	v_fma_f64 v[2:3], 0xc1f00000, v[25:26], v[2:3]
	v_cvt_u32_f64_e32 v26, v[25:26]
	v_cvt_u32_f64_e32 v25, v[2:3]
	global_store_b64 v[19:20], v[25:26], off
	s_branch .LBB8_1698
.LBB8_1697:
	s_mov_b32 s7, 0
.LBB8_1698:
	s_delay_alu instid0(SALU_CYCLE_1)
	s_and_b32 vcc_lo, exec_lo, s7
	s_cbranch_vccz .LBB8_1714
; %bb.1699:
	v_cmp_lt_i16_e64 s6, s3, 27
	s_delay_alu instid0(VALU_DEP_1)
	s_and_b32 vcc_lo, exec_lo, s6
	s_mov_b32 s6, -1
	s_cbranch_vccnz .LBB8_1705
; %bb.1700:
	v_cvt_u32_f64_e32 v2, v[0:1]
	v_cmp_gt_i16_e64 s6, s3, 27
	s_delay_alu instid0(VALU_DEP_1)
	s_and_b32 vcc_lo, exec_lo, s6
	s_mov_b32 s6, -1
	s_cbranch_vccz .LBB8_1702
; %bb.1701:
	s_mov_b32 s6, 0
	global_store_b32 v[19:20], v2, off
.LBB8_1702:
	s_and_not1_b32 vcc_lo, exec_lo, s6
	s_cbranch_vccnz .LBB8_1704
; %bb.1703:
	global_store_b16 v[19:20], v2, off
.LBB8_1704:
	s_mov_b32 s6, 0
.LBB8_1705:
	s_delay_alu instid0(SALU_CYCLE_1)
	s_and_not1_b32 vcc_lo, exec_lo, s6
	s_cbranch_vccnz .LBB8_1713
; %bb.1706:
	v_cvt_f32_f64_e32 v2, v[0:1]
	v_mov_b32_e32 v22, 0x80
	s_mov_b32 s6, exec_lo
	s_delay_alu instid0(VALU_DEP_2) | instskip(NEXT) | instid1(VALU_DEP_1)
	v_and_b32_e32 v3, 0x7fffffff, v2
	v_cmpx_gt_u32_e32 0x43800000, v3
	s_cbranch_execz .LBB8_1712
; %bb.1707:
	v_cmp_lt_u32_e32 vcc_lo, 0x3bffffff, v3
	s_mov_b32 s7, 0
                                        ; implicit-def: $vgpr3
	s_and_saveexec_b32 s8, vcc_lo
	s_delay_alu instid0(SALU_CYCLE_1)
	s_xor_b32 s8, exec_lo, s8
	s_cbranch_execz .LBB8_1807
; %bb.1708:
	v_bfe_u32 v3, v2, 20, 1
	s_mov_b32 s7, exec_lo
	s_delay_alu instid0(VALU_DEP_1) | instskip(NEXT) | instid1(VALU_DEP_1)
	v_add3_u32 v3, v2, v3, 0x487ffff
	v_lshrrev_b32_e32 v3, 20, v3
	s_or_saveexec_b32 s8, s8
                                        ; implicit-def: $sgpr9
	s_delay_alu instid0(SALU_CYCLE_1)
	s_xor_b32 exec_lo, exec_lo, s8
	s_cbranch_execnz .LBB8_1808
.LBB8_1709:
	s_or_b32 exec_lo, exec_lo, s8
	v_mov_b32_e32 v22, s9
	s_and_saveexec_b32 s8, s7
.LBB8_1710:
	v_lshrrev_b32_e32 v2, 24, v2
	s_delay_alu instid0(VALU_DEP_1)
	v_and_or_b32 v22, 0x80, v2, v3
.LBB8_1711:
	s_or_b32 exec_lo, exec_lo, s8
.LBB8_1712:
	s_delay_alu instid0(SALU_CYCLE_1)
	s_or_b32 exec_lo, exec_lo, s6
	global_store_b8 v[19:20], v22, off
.LBB8_1713:
	s_mov_b32 s6, -1
.LBB8_1714:
	s_mov_b32 s7, 0
.LBB8_1715:
	s_delay_alu instid0(SALU_CYCLE_1)
	s_and_b32 vcc_lo, exec_lo, s7
	s_cbranch_vccz .LBB8_1755
; %bb.1716:
	v_cmp_gt_i16_e64 s1, s3, 22
	s_delay_alu instid0(VALU_DEP_1)
	s_and_b32 vcc_lo, exec_lo, s1
	s_mov_b32 s1, -1
	s_cbranch_vccz .LBB8_1748
; %bb.1717:
	v_cmp_lt_i16_e64 s1, s3, 24
	s_delay_alu instid0(VALU_DEP_1)
	s_and_b32 vcc_lo, exec_lo, s1
	s_mov_b32 s1, -1
	s_cbranch_vccnz .LBB8_1737
; %bb.1718:
	v_cmp_gt_i16_e64 s1, s3, 24
	s_delay_alu instid0(VALU_DEP_1)
	s_and_b32 vcc_lo, exec_lo, s1
	s_mov_b32 s1, -1
	s_cbranch_vccz .LBB8_1726
; %bb.1719:
	v_cvt_f32_f64_e32 v2, v[0:1]
	v_mov_b32_e32 v22, 0x80
	s_mov_b32 s1, exec_lo
	s_delay_alu instid0(VALU_DEP_2) | instskip(NEXT) | instid1(VALU_DEP_1)
	v_and_b32_e32 v3, 0x7fffffff, v2
	v_cmpx_gt_u32_e32 0x47800000, v3
	s_cbranch_execz .LBB8_1725
; %bb.1720:
	v_cmp_lt_u32_e32 vcc_lo, 0x37ffffff, v3
	s_mov_b32 s6, 0
                                        ; implicit-def: $vgpr3
	s_and_saveexec_b32 s7, vcc_lo
	s_delay_alu instid0(SALU_CYCLE_1)
	s_xor_b32 s7, exec_lo, s7
	s_cbranch_execz .LBB8_1814
; %bb.1721:
	v_bfe_u32 v3, v2, 21, 1
	s_mov_b32 s6, exec_lo
	s_delay_alu instid0(VALU_DEP_1) | instskip(NEXT) | instid1(VALU_DEP_1)
	v_add3_u32 v3, v2, v3, 0x88fffff
	v_lshrrev_b32_e32 v3, 21, v3
	s_or_saveexec_b32 s7, s7
                                        ; implicit-def: $sgpr8
	s_delay_alu instid0(SALU_CYCLE_1)
	s_xor_b32 exec_lo, exec_lo, s7
	s_cbranch_execnz .LBB8_1815
.LBB8_1722:
	s_or_b32 exec_lo, exec_lo, s7
	v_mov_b32_e32 v22, s8
	s_and_saveexec_b32 s7, s6
.LBB8_1723:
	v_lshrrev_b32_e32 v2, 24, v2
	s_delay_alu instid0(VALU_DEP_1)
	v_and_or_b32 v22, 0x80, v2, v3
.LBB8_1724:
	s_or_b32 exec_lo, exec_lo, s7
.LBB8_1725:
	s_delay_alu instid0(SALU_CYCLE_1)
	s_or_b32 exec_lo, exec_lo, s1
	s_mov_b32 s1, 0
	global_store_b8 v[19:20], v22, off
.LBB8_1726:
	s_and_b32 vcc_lo, exec_lo, s1
	s_cbranch_vccz .LBB8_1736
; %bb.1727:
	v_cvt_f32_f64_e32 v2, v[0:1]
	s_mov_b32 s1, exec_lo
                                        ; implicit-def: $vgpr3
	s_delay_alu instid0(VALU_DEP_1) | instskip(NEXT) | instid1(VALU_DEP_1)
	v_and_b32_e32 v22, 0x7fffffff, v2
	v_cmpx_gt_u32_e32 0x43f00000, v22
	s_xor_b32 s1, exec_lo, s1
	s_cbranch_execz .LBB8_1733
; %bb.1728:
	s_mov_b32 s6, exec_lo
                                        ; implicit-def: $vgpr3
	v_cmpx_lt_u32_e32 0x3c7fffff, v22
	s_xor_b32 s6, exec_lo, s6
; %bb.1729:
	v_bfe_u32 v3, v2, 20, 1
	s_delay_alu instid0(VALU_DEP_1) | instskip(NEXT) | instid1(VALU_DEP_1)
	v_add3_u32 v3, v2, v3, 0x407ffff
	v_and_b32_e32 v22, 0xff00000, v3
	v_lshrrev_b32_e32 v3, 20, v3
	s_delay_alu instid0(VALU_DEP_2) | instskip(NEXT) | instid1(VALU_DEP_2)
	v_cmp_ne_u32_e32 vcc_lo, 0x7f00000, v22
	v_cndmask_b32_e32 v3, 0x7e, v3, vcc_lo
; %bb.1730:
	s_and_not1_saveexec_b32 s6, s6
; %bb.1731:
	v_add_f32_e64 v3, 0x46800000, |v2|
; %bb.1732:
	s_or_b32 exec_lo, exec_lo, s6
                                        ; implicit-def: $vgpr22
.LBB8_1733:
	s_and_not1_saveexec_b32 s1, s1
; %bb.1734:
	v_mov_b32_e32 v3, 0x7f
	v_cmp_lt_u32_e32 vcc_lo, 0x7f800000, v22
	s_delay_alu instid0(VALU_DEP_2)
	v_cndmask_b32_e32 v3, 0x7e, v3, vcc_lo
; %bb.1735:
	s_or_b32 exec_lo, exec_lo, s1
	v_lshrrev_b32_e32 v2, 24, v2
	s_delay_alu instid0(VALU_DEP_1)
	v_and_or_b32 v2, 0x80, v2, v3
	global_store_b8 v[19:20], v2, off
.LBB8_1736:
	s_mov_b32 s1, 0
.LBB8_1737:
	s_delay_alu instid0(SALU_CYCLE_1)
	s_and_not1_b32 vcc_lo, exec_lo, s1
	s_cbranch_vccnz .LBB8_1747
; %bb.1738:
	v_cvt_f32_f64_e32 v2, v[0:1]
	s_mov_b32 s1, exec_lo
                                        ; implicit-def: $vgpr3
	s_delay_alu instid0(VALU_DEP_1) | instskip(NEXT) | instid1(VALU_DEP_1)
	v_and_b32_e32 v22, 0x7fffffff, v2
	v_cmpx_gt_u32_e32 0x47800000, v22
	s_xor_b32 s1, exec_lo, s1
	s_cbranch_execz .LBB8_1744
; %bb.1739:
	s_mov_b32 s6, exec_lo
                                        ; implicit-def: $vgpr3
	v_cmpx_lt_u32_e32 0x387fffff, v22
	s_xor_b32 s6, exec_lo, s6
; %bb.1740:
	v_bfe_u32 v3, v2, 21, 1
	s_delay_alu instid0(VALU_DEP_1) | instskip(NEXT) | instid1(VALU_DEP_1)
	v_add3_u32 v3, v2, v3, 0x80fffff
	v_lshrrev_b32_e32 v3, 21, v3
; %bb.1741:
	s_and_not1_saveexec_b32 s6, s6
; %bb.1742:
	v_add_f32_e64 v3, 0x43000000, |v2|
; %bb.1743:
	s_or_b32 exec_lo, exec_lo, s6
                                        ; implicit-def: $vgpr22
.LBB8_1744:
	s_and_not1_saveexec_b32 s1, s1
; %bb.1745:
	v_mov_b32_e32 v3, 0x7f
	v_cmp_lt_u32_e32 vcc_lo, 0x7f800000, v22
	s_delay_alu instid0(VALU_DEP_2)
	v_cndmask_b32_e32 v3, 0x7c, v3, vcc_lo
; %bb.1746:
	s_or_b32 exec_lo, exec_lo, s1
	v_lshrrev_b32_e32 v2, 24, v2
	s_delay_alu instid0(VALU_DEP_1)
	v_and_or_b32 v2, 0x80, v2, v3
	global_store_b8 v[19:20], v2, off
.LBB8_1747:
	s_mov_b32 s1, 0
	s_mov_b32 s6, -1
.LBB8_1748:
	s_and_not1_b32 vcc_lo, exec_lo, s1
	s_mov_b32 s1, 0
	s_cbranch_vccnz .LBB8_1755
; %bb.1749:
	v_cmp_gt_i16_e64 s1, s3, 14
	s_delay_alu instid0(VALU_DEP_1)
	s_and_b32 vcc_lo, exec_lo, s1
	s_mov_b32 s1, -1
	s_cbranch_vccz .LBB8_1753
; %bb.1750:
	v_cmp_eq_u16_e64 s0, s3, 15
	s_delay_alu instid0(VALU_DEP_1)
	s_and_b32 vcc_lo, exec_lo, s0
	s_mov_b32 s0, -1
	s_cbranch_vccz .LBB8_1752
; %bb.1751:
	v_cvt_f32_f64_e32 v2, v[0:1]
	s_mov_b32 s0, 0
	s_mov_b32 s6, -1
	s_delay_alu instid0(VALU_DEP_1) | instskip(SKIP_1) | instid1(VALU_DEP_2)
	v_bfe_u32 v3, v2, 16, 1
	v_cmp_o_f32_e32 vcc_lo, v2, v2
	v_add3_u32 v3, v2, v3, 0x7fff
	s_delay_alu instid0(VALU_DEP_1) | instskip(NEXT) | instid1(VALU_DEP_1)
	v_lshrrev_b32_e32 v3, 16, v3
	v_cndmask_b32_e32 v2, 0x7fc0, v3, vcc_lo
	global_store_b16 v[19:20], v2, off
.LBB8_1752:
	s_mov_b32 s1, 0
.LBB8_1753:
	s_delay_alu instid0(SALU_CYCLE_1)
	s_and_b32 vcc_lo, exec_lo, s1
	s_mov_b32 s1, 0
	s_cbranch_vccz .LBB8_1755
; %bb.1754:
	v_cmp_ne_u16_e64 s0, s3, 11
	s_mov_b32 s1, -1
.LBB8_1755:
	s_delay_alu instid0(VALU_DEP_1)
	s_and_b32 vcc_lo, exec_lo, s0
	s_cbranch_vccnz .LBB8_1812
; %bb.1756:
	s_and_not1_b32 vcc_lo, exec_lo, s1
	s_cbranch_vccnz .LBB8_1758
.LBB8_1757:
	v_cmp_neq_f64_e32 vcc_lo, 0, v[0:1]
	s_mov_b32 s6, -1
	v_cndmask_b32_e64 v2, 0, 1, vcc_lo
	global_store_b8 v[19:20], v2, off
.LBB8_1758:
	s_mov_b32 s0, 0
.LBB8_1759:
	s_delay_alu instid0(SALU_CYCLE_1)
	s_and_b32 vcc_lo, exec_lo, s0
	s_cbranch_vccz .LBB8_1798
; %bb.1760:
	v_cmp_lt_i16_e64 s0, s3, 5
	s_delay_alu instid0(VALU_DEP_1)
	s_and_b32 vcc_lo, exec_lo, s0
	s_mov_b32 s0, -1
	s_cbranch_vccnz .LBB8_1781
; %bb.1761:
	v_cmp_lt_i16_e64 s0, s3, 8
	s_delay_alu instid0(VALU_DEP_1)
	s_and_b32 vcc_lo, exec_lo, s0
	s_mov_b32 s0, -1
	s_cbranch_vccnz .LBB8_1771
	;; [unrolled: 6-line block ×3, first 2 shown]
; %bb.1763:
	v_cmp_gt_i16_e64 s0, s3, 9
	s_delay_alu instid0(VALU_DEP_1)
	s_and_b32 vcc_lo, exec_lo, s0
	s_mov_b32 s0, -1
	s_cbranch_vccz .LBB8_1765
; %bb.1764:
	v_mov_b32_e32 v2, 0
	s_mov_b32 s0, 0
	s_delay_alu instid0(VALU_DEP_1)
	v_mov_b32_e32 v3, v2
	global_store_b128 v[19:20], v[0:3], off
.LBB8_1765:
	s_and_not1_b32 vcc_lo, exec_lo, s0
	s_cbranch_vccnz .LBB8_1767
; %bb.1766:
	v_cvt_f32_f64_e32 v2, v[0:1]
	v_mov_b32_e32 v3, 0
	global_store_b64 v[19:20], v[2:3], off
.LBB8_1767:
	s_mov_b32 s0, 0
.LBB8_1768:
	s_delay_alu instid0(SALU_CYCLE_1)
	s_and_not1_b32 vcc_lo, exec_lo, s0
	s_cbranch_vccnz .LBB8_1770
; %bb.1769:
	v_cvt_f32_f64_e32 v2, v[0:1]
	s_delay_alu instid0(VALU_DEP_1) | instskip(NEXT) | instid1(VALU_DEP_1)
	v_cvt_f16_f32_e32 v2, v2
	v_and_b32_e32 v2, 0xffff, v2
	global_store_b32 v[19:20], v2, off
.LBB8_1770:
	s_mov_b32 s0, 0
.LBB8_1771:
	s_delay_alu instid0(SALU_CYCLE_1)
	s_and_not1_b32 vcc_lo, exec_lo, s0
	s_cbranch_vccnz .LBB8_1780
; %bb.1772:
	v_cmp_lt_i16_e64 s0, s3, 6
	s_delay_alu instid0(VALU_DEP_1)
	s_and_b32 vcc_lo, exec_lo, s0
	s_mov_b32 s0, -1
	s_cbranch_vccnz .LBB8_1778
; %bb.1773:
	v_cmp_gt_i16_e64 s0, s3, 6
	s_delay_alu instid0(VALU_DEP_1)
	s_and_b32 vcc_lo, exec_lo, s0
	s_mov_b32 s0, -1
	s_cbranch_vccz .LBB8_1775
; %bb.1774:
	s_mov_b32 s0, 0
	global_store_b64 v[19:20], v[0:1], off
.LBB8_1775:
	s_and_not1_b32 vcc_lo, exec_lo, s0
	s_cbranch_vccnz .LBB8_1777
; %bb.1776:
	v_cvt_f32_f64_e32 v2, v[0:1]
	global_store_b32 v[19:20], v2, off
.LBB8_1777:
	s_mov_b32 s0, 0
.LBB8_1778:
	s_delay_alu instid0(SALU_CYCLE_1)
	s_and_not1_b32 vcc_lo, exec_lo, s0
	s_cbranch_vccnz .LBB8_1780
; %bb.1779:
	v_cvt_f32_f64_e32 v2, v[0:1]
	s_delay_alu instid0(VALU_DEP_1)
	v_cvt_f16_f32_e32 v2, v2
	global_store_b16 v[19:20], v2, off
.LBB8_1780:
	s_mov_b32 s0, 0
.LBB8_1781:
	s_delay_alu instid0(SALU_CYCLE_1)
	s_and_not1_b32 vcc_lo, exec_lo, s0
	s_cbranch_vccnz .LBB8_1797
; %bb.1782:
	v_cmp_lt_i16_e64 s0, s3, 2
	s_delay_alu instid0(VALU_DEP_1)
	s_and_b32 vcc_lo, exec_lo, s0
	s_mov_b32 s0, -1
	s_cbranch_vccnz .LBB8_1792
; %bb.1783:
	v_cmp_lt_i16_e64 s0, s3, 3
	s_delay_alu instid0(VALU_DEP_1)
	s_and_b32 vcc_lo, exec_lo, s0
	s_mov_b32 s0, -1
	s_cbranch_vccnz .LBB8_1789
; %bb.1784:
	v_cmp_gt_i16_e64 s0, s3, 3
	s_delay_alu instid0(VALU_DEP_1)
	s_and_b32 vcc_lo, exec_lo, s0
	s_mov_b32 s0, -1
	s_cbranch_vccz .LBB8_1786
; %bb.1785:
	v_trunc_f64_e32 v[2:3], v[0:1]
	s_mov_b32 s0, 0
	s_delay_alu instid0(VALU_DEP_1) | instskip(NEXT) | instid1(VALU_DEP_1)
	v_ldexp_f64 v[25:26], v[2:3], 0xffffffe0
	v_floor_f64_e32 v[25:26], v[25:26]
	s_delay_alu instid0(VALU_DEP_1) | instskip(SKIP_1) | instid1(VALU_DEP_2)
	v_fma_f64 v[2:3], 0xc1f00000, v[25:26], v[2:3]
	v_cvt_i32_f64_e32 v26, v[25:26]
	v_cvt_u32_f64_e32 v25, v[2:3]
	global_store_b64 v[19:20], v[25:26], off
.LBB8_1786:
	s_and_not1_b32 vcc_lo, exec_lo, s0
	s_cbranch_vccnz .LBB8_1788
; %bb.1787:
	v_cvt_i32_f64_e32 v2, v[0:1]
	global_store_b32 v[19:20], v2, off
.LBB8_1788:
	s_mov_b32 s0, 0
.LBB8_1789:
	s_delay_alu instid0(SALU_CYCLE_1)
	s_and_not1_b32 vcc_lo, exec_lo, s0
	s_cbranch_vccnz .LBB8_1791
; %bb.1790:
	v_cvt_i32_f64_e32 v2, v[0:1]
	global_store_b16 v[19:20], v2, off
.LBB8_1791:
	s_mov_b32 s0, 0
.LBB8_1792:
	s_delay_alu instid0(SALU_CYCLE_1)
	s_and_not1_b32 vcc_lo, exec_lo, s0
	s_cbranch_vccnz .LBB8_1797
; %bb.1793:
	v_cmp_gt_i16_e64 s0, s3, 0
	s_delay_alu instid0(VALU_DEP_1)
	s_and_b32 vcc_lo, exec_lo, s0
	s_mov_b32 s0, -1
	s_cbranch_vccz .LBB8_1795
; %bb.1794:
	v_cvt_i32_f64_e32 v2, v[0:1]
	s_mov_b32 s0, 0
	global_store_b8 v[19:20], v2, off
.LBB8_1795:
	s_and_not1_b32 vcc_lo, exec_lo, s0
	s_cbranch_vccnz .LBB8_1797
; %bb.1796:
	v_trunc_f64_e32 v[0:1], v[0:1]
	s_delay_alu instid0(VALU_DEP_1) | instskip(NEXT) | instid1(VALU_DEP_1)
	v_ldexp_f64 v[2:3], v[0:1], 0xffffffe0
	v_floor_f64_e32 v[2:3], v[2:3]
	s_delay_alu instid0(VALU_DEP_1) | instskip(NEXT) | instid1(VALU_DEP_1)
	v_fma_f64 v[0:1], 0xc1f00000, v[2:3], v[0:1]
	v_cvt_u32_f64_e32 v0, v[0:1]
	global_store_b8 v[19:20], v0, off
.LBB8_1797:
	s_mov_b32 s6, -1
.LBB8_1798:
	s_delay_alu instid0(SALU_CYCLE_1)
	s_and_not1_b32 vcc_lo, exec_lo, s6
	s_cbranch_vccnz .LBB8_2065
; %bb.1799:
	v_mul_f64 v[0:1], v[7:8], v[13:14]
	v_cmp_eq_f32_e32 vcc_lo, 1.0, v23
	v_cmp_lt_i16_e64 s0, s3, 11
	v_add_co_u32 v13, s1, s4, v6
	s_delay_alu instid0(VALU_DEP_1)
	v_add_co_ci_u32_e64 v14, null, s5, 0, s1
	s_mov_b32 s6, 0
	v_dual_cndmask_b32 v1, v1, v8 :: v_dual_cndmask_b32 v0, v0, v7
	s_and_b32 vcc_lo, exec_lo, s0
	s_mov_b32 s0, -1
	s_cbranch_vccnz .LBB8_1888
; %bb.1800:
	v_cmp_gt_i16_e64 s0, s3, 25
	s_mov_b32 s7, -1
	s_mov_b32 s1, 0
	s_delay_alu instid0(VALU_DEP_1)
	s_and_b32 vcc_lo, exec_lo, s0
	s_mov_b32 s0, 0
	s_cbranch_vccz .LBB8_1844
; %bb.1801:
	v_cmp_gt_i16_e64 s0, s3, 28
	s_delay_alu instid0(VALU_DEP_1)
	s_and_b32 vcc_lo, exec_lo, s0
	s_cbranch_vccz .LBB8_1806
; %bb.1802:
	v_cmp_gt_i16_e64 s0, s3, 43
	s_delay_alu instid0(VALU_DEP_1)
	s_and_b32 vcc_lo, exec_lo, s0
	s_cbranch_vccz .LBB8_1809
; %bb.1803:
	v_cmp_gt_i16_e64 s0, s3, 45
	s_delay_alu instid0(VALU_DEP_1)
	s_and_b32 vcc_lo, exec_lo, s0
	s_cbranch_vccz .LBB8_1816
; %bb.1804:
	v_cmp_eq_u16_e64 s6, s3, 46
	s_mov_b32 s0, -1
	s_mov_b32 s7, 0
	s_delay_alu instid0(VALU_DEP_1)
	s_and_b32 vcc_lo, exec_lo, s6
	s_mov_b32 s6, 0
	s_cbranch_vccz .LBB8_1817
; %bb.1805:
	v_cvt_f32_f64_e32 v2, v[0:1]
	s_mov_b32 s0, 0
	s_mov_b32 s6, -1
	s_delay_alu instid0(VALU_DEP_1) | instskip(SKIP_1) | instid1(VALU_DEP_2)
	v_bfe_u32 v3, v2, 16, 1
	v_cmp_o_f32_e32 vcc_lo, v2, v2
	v_add3_u32 v3, v2, v3, 0x7fff
	s_delay_alu instid0(VALU_DEP_1) | instskip(NEXT) | instid1(VALU_DEP_1)
	v_lshrrev_b32_e32 v3, 16, v3
	v_cndmask_b32_e32 v2, 0x7fc0, v3, vcc_lo
	global_store_b32 v[13:14], v2, off
	s_branch .LBB8_1817
.LBB8_1806:
	s_mov_b32 s0, 0
	s_branch .LBB8_1827
.LBB8_1807:
	s_or_saveexec_b32 s8, s8
                                        ; implicit-def: $sgpr9
	s_delay_alu instid0(SALU_CYCLE_1)
	s_xor_b32 exec_lo, exec_lo, s8
	s_cbranch_execz .LBB8_1709
.LBB8_1808:
	v_add_f32_e64 v3, 0x46000000, |v2|
	s_and_not1_b32 s7, s7, exec_lo
	s_mov_b32 s9, 0
	s_delay_alu instid0(VALU_DEP_1) | instskip(NEXT) | instid1(VALU_DEP_1)
	v_and_b32_e32 v3, 0xff, v3
	v_cmp_ne_u32_e32 vcc_lo, 0, v3
	s_and_b32 s10, vcc_lo, exec_lo
	s_delay_alu instid0(SALU_CYCLE_1)
	s_or_b32 s7, s7, s10
	s_or_b32 exec_lo, exec_lo, s8
	v_mov_b32_e32 v22, s9
	s_and_saveexec_b32 s8, s7
	s_cbranch_execnz .LBB8_1710
	s_branch .LBB8_1711
.LBB8_1809:
	s_mov_b32 s0, 0
	s_branch .LBB8_1823
.LBB8_1810:
	s_trap 2
	s_sendmsg_rtn_b32 s0, sendmsg(MSG_RTN_GET_DOORBELL)
	s_mov_b32 ttmp2, m0
	s_waitcnt lgkmcnt(0)
	s_and_b32 s0, s0, 0x3ff
	s_delay_alu instid0(SALU_CYCLE_1) | instskip(NEXT) | instid1(SALU_CYCLE_1)
	s_bitset1_b32 s0, 10
	s_mov_b32 m0, s0
	s_sendmsg sendmsg(MSG_INTERRUPT)
	s_mov_b32 m0, ttmp2
.LBB8_1811:                             ; =>This Inner Loop Header: Depth=1
	s_sethalt 5
	s_branch .LBB8_1811
.LBB8_1812:
	s_cbranch_execnz .LBB8_1939
; %bb.1813:
	s_or_b32 s2, s2, exec_lo
	s_cbranch_execz .LBB8_1757
	s_branch .LBB8_1758
.LBB8_1814:
	s_or_saveexec_b32 s7, s7
                                        ; implicit-def: $sgpr8
	s_delay_alu instid0(SALU_CYCLE_1)
	s_xor_b32 exec_lo, exec_lo, s7
	s_cbranch_execz .LBB8_1722
.LBB8_1815:
	v_add_f32_e64 v3, 0x42800000, |v2|
	s_and_not1_b32 s6, s6, exec_lo
	s_mov_b32 s8, 0
	s_delay_alu instid0(VALU_DEP_1) | instskip(NEXT) | instid1(VALU_DEP_1)
	v_and_b32_e32 v3, 0xff, v3
	v_cmp_ne_u32_e32 vcc_lo, 0, v3
	s_and_b32 s9, vcc_lo, exec_lo
	s_delay_alu instid0(SALU_CYCLE_1)
	s_or_b32 s6, s6, s9
	s_or_b32 exec_lo, exec_lo, s7
	v_mov_b32_e32 v22, s8
	s_and_saveexec_b32 s7, s6
	s_cbranch_execnz .LBB8_1723
	s_branch .LBB8_1724
.LBB8_1816:
	s_mov_b32 s0, 0
.LBB8_1817:
	s_and_b32 vcc_lo, exec_lo, s7
	s_cbranch_vccz .LBB8_1822
; %bb.1818:
	v_cmp_eq_u16_e64 s0, s3, 44
	s_delay_alu instid0(VALU_DEP_1)
	s_and_b32 vcc_lo, exec_lo, s0
	s_mov_b32 s0, -1
	s_cbranch_vccz .LBB8_1822
; %bb.1819:
	v_cvt_f32_f64_e32 v2, v[0:1]
	v_mov_b32_e32 v3, 0xff
	s_mov_b32 s6, exec_lo
	s_delay_alu instid0(VALU_DEP_2) | instskip(NEXT) | instid1(VALU_DEP_1)
	v_bfe_u32 v6, v2, 23, 8
	v_cmpx_ne_u32_e32 0xff, v6
; %bb.1820:
	v_and_b32_e32 v3, 0x400000, v2
	v_and_or_b32 v6, 0x3fffff, v2, v6
	v_lshrrev_b32_e32 v2, 23, v2
	s_delay_alu instid0(VALU_DEP_3) | instskip(NEXT) | instid1(VALU_DEP_3)
	v_cmp_ne_u32_e32 vcc_lo, 0, v3
	v_cmp_ne_u32_e64 s0, 0, v6
	s_delay_alu instid0(VALU_DEP_1) | instskip(NEXT) | instid1(SALU_CYCLE_1)
	s_and_b32 s0, vcc_lo, s0
	v_cndmask_b32_e64 v3, 0, 1, s0
	s_delay_alu instid0(VALU_DEP_1)
	v_add_nc_u32_e32 v3, v2, v3
; %bb.1821:
	s_or_b32 exec_lo, exec_lo, s6
	s_mov_b32 s0, 0
	s_mov_b32 s6, -1
	global_store_b8 v[13:14], v3, off
.LBB8_1822:
	s_mov_b32 s7, 0
.LBB8_1823:
	s_delay_alu instid0(SALU_CYCLE_1)
	s_and_b32 vcc_lo, exec_lo, s7
	s_cbranch_vccz .LBB8_1826
; %bb.1824:
	v_cmp_eq_u16_e64 s0, s3, 29
	s_delay_alu instid0(VALU_DEP_1)
	s_and_b32 vcc_lo, exec_lo, s0
	s_mov_b32 s0, -1
	s_cbranch_vccz .LBB8_1826
; %bb.1825:
	v_trunc_f64_e32 v[2:3], v[0:1]
	s_mov_b32 s0, 0
	s_mov_b32 s6, -1
	s_mov_b32 s7, 0
	s_delay_alu instid0(VALU_DEP_1) | instskip(NEXT) | instid1(VALU_DEP_1)
	v_ldexp_f64 v[6:7], v[2:3], 0xffffffe0
	v_floor_f64_e32 v[6:7], v[6:7]
	s_delay_alu instid0(VALU_DEP_1) | instskip(SKIP_1) | instid1(VALU_DEP_2)
	v_fma_f64 v[2:3], 0xc1f00000, v[6:7], v[2:3]
	v_cvt_u32_f64_e32 v7, v[6:7]
	v_cvt_u32_f64_e32 v6, v[2:3]
	global_store_b64 v[13:14], v[6:7], off
	s_branch .LBB8_1827
.LBB8_1826:
	s_mov_b32 s7, 0
.LBB8_1827:
	s_delay_alu instid0(SALU_CYCLE_1)
	s_and_b32 vcc_lo, exec_lo, s7
	s_cbranch_vccz .LBB8_1843
; %bb.1828:
	v_cmp_lt_i16_e64 s6, s3, 27
	s_delay_alu instid0(VALU_DEP_1)
	s_and_b32 vcc_lo, exec_lo, s6
	s_mov_b32 s6, -1
	s_cbranch_vccnz .LBB8_1834
; %bb.1829:
	v_cvt_u32_f64_e32 v2, v[0:1]
	v_cmp_gt_i16_e64 s6, s3, 27
	s_delay_alu instid0(VALU_DEP_1)
	s_and_b32 vcc_lo, exec_lo, s6
	s_mov_b32 s6, -1
	s_cbranch_vccz .LBB8_1831
; %bb.1830:
	s_mov_b32 s6, 0
	global_store_b32 v[13:14], v2, off
.LBB8_1831:
	s_and_not1_b32 vcc_lo, exec_lo, s6
	s_cbranch_vccnz .LBB8_1833
; %bb.1832:
	global_store_b16 v[13:14], v2, off
.LBB8_1833:
	s_mov_b32 s6, 0
.LBB8_1834:
	s_delay_alu instid0(SALU_CYCLE_1)
	s_and_not1_b32 vcc_lo, exec_lo, s6
	s_cbranch_vccnz .LBB8_1842
; %bb.1835:
	v_cvt_f32_f64_e32 v2, v[0:1]
	v_mov_b32_e32 v6, 0x80
	s_mov_b32 s6, exec_lo
	s_delay_alu instid0(VALU_DEP_2) | instskip(NEXT) | instid1(VALU_DEP_1)
	v_and_b32_e32 v3, 0x7fffffff, v2
	v_cmpx_gt_u32_e32 0x43800000, v3
	s_cbranch_execz .LBB8_1841
; %bb.1836:
	v_cmp_lt_u32_e32 vcc_lo, 0x3bffffff, v3
	s_mov_b32 s7, 0
                                        ; implicit-def: $vgpr3
	s_and_saveexec_b32 s8, vcc_lo
	s_delay_alu instid0(SALU_CYCLE_1)
	s_xor_b32 s8, exec_lo, s8
	s_cbranch_execz .LBB8_1936
; %bb.1837:
	v_bfe_u32 v3, v2, 20, 1
	s_mov_b32 s7, exec_lo
	s_delay_alu instid0(VALU_DEP_1) | instskip(NEXT) | instid1(VALU_DEP_1)
	v_add3_u32 v3, v2, v3, 0x487ffff
	v_lshrrev_b32_e32 v3, 20, v3
	s_or_saveexec_b32 s8, s8
                                        ; implicit-def: $sgpr9
	s_delay_alu instid0(SALU_CYCLE_1)
	s_xor_b32 exec_lo, exec_lo, s8
	s_cbranch_execnz .LBB8_1937
.LBB8_1838:
	s_or_b32 exec_lo, exec_lo, s8
	v_mov_b32_e32 v6, s9
	s_and_saveexec_b32 s8, s7
.LBB8_1839:
	v_lshrrev_b32_e32 v2, 24, v2
	s_delay_alu instid0(VALU_DEP_1)
	v_and_or_b32 v6, 0x80, v2, v3
.LBB8_1840:
	s_or_b32 exec_lo, exec_lo, s8
.LBB8_1841:
	s_delay_alu instid0(SALU_CYCLE_1)
	s_or_b32 exec_lo, exec_lo, s6
	global_store_b8 v[13:14], v6, off
.LBB8_1842:
	s_mov_b32 s6, -1
.LBB8_1843:
	s_mov_b32 s7, 0
.LBB8_1844:
	s_delay_alu instid0(SALU_CYCLE_1)
	s_and_b32 vcc_lo, exec_lo, s7
	s_cbranch_vccz .LBB8_1884
; %bb.1845:
	v_cmp_gt_i16_e64 s1, s3, 22
	s_delay_alu instid0(VALU_DEP_1)
	s_and_b32 vcc_lo, exec_lo, s1
	s_mov_b32 s1, -1
	s_cbranch_vccz .LBB8_1877
; %bb.1846:
	v_cmp_lt_i16_e64 s1, s3, 24
	s_delay_alu instid0(VALU_DEP_1)
	s_and_b32 vcc_lo, exec_lo, s1
	s_mov_b32 s1, -1
	s_cbranch_vccnz .LBB8_1866
; %bb.1847:
	v_cmp_gt_i16_e64 s1, s3, 24
	s_delay_alu instid0(VALU_DEP_1)
	s_and_b32 vcc_lo, exec_lo, s1
	s_mov_b32 s1, -1
	s_cbranch_vccz .LBB8_1855
; %bb.1848:
	v_cvt_f32_f64_e32 v2, v[0:1]
	v_mov_b32_e32 v6, 0x80
	s_mov_b32 s1, exec_lo
	s_delay_alu instid0(VALU_DEP_2) | instskip(NEXT) | instid1(VALU_DEP_1)
	v_and_b32_e32 v3, 0x7fffffff, v2
	v_cmpx_gt_u32_e32 0x47800000, v3
	s_cbranch_execz .LBB8_1854
; %bb.1849:
	v_cmp_lt_u32_e32 vcc_lo, 0x37ffffff, v3
	s_mov_b32 s6, 0
                                        ; implicit-def: $vgpr3
	s_and_saveexec_b32 s7, vcc_lo
	s_delay_alu instid0(SALU_CYCLE_1)
	s_xor_b32 s7, exec_lo, s7
	s_cbranch_execz .LBB8_1943
; %bb.1850:
	v_bfe_u32 v3, v2, 21, 1
	s_mov_b32 s6, exec_lo
	s_delay_alu instid0(VALU_DEP_1) | instskip(NEXT) | instid1(VALU_DEP_1)
	v_add3_u32 v3, v2, v3, 0x88fffff
	v_lshrrev_b32_e32 v3, 21, v3
	s_or_saveexec_b32 s7, s7
                                        ; implicit-def: $sgpr8
	s_delay_alu instid0(SALU_CYCLE_1)
	s_xor_b32 exec_lo, exec_lo, s7
	s_cbranch_execnz .LBB8_1944
.LBB8_1851:
	s_or_b32 exec_lo, exec_lo, s7
	v_mov_b32_e32 v6, s8
	s_and_saveexec_b32 s7, s6
.LBB8_1852:
	v_lshrrev_b32_e32 v2, 24, v2
	s_delay_alu instid0(VALU_DEP_1)
	v_and_or_b32 v6, 0x80, v2, v3
.LBB8_1853:
	s_or_b32 exec_lo, exec_lo, s7
.LBB8_1854:
	s_delay_alu instid0(SALU_CYCLE_1)
	s_or_b32 exec_lo, exec_lo, s1
	s_mov_b32 s1, 0
	global_store_b8 v[13:14], v6, off
.LBB8_1855:
	s_and_b32 vcc_lo, exec_lo, s1
	s_cbranch_vccz .LBB8_1865
; %bb.1856:
	v_cvt_f32_f64_e32 v2, v[0:1]
	s_mov_b32 s1, exec_lo
                                        ; implicit-def: $vgpr3
	s_delay_alu instid0(VALU_DEP_1) | instskip(NEXT) | instid1(VALU_DEP_1)
	v_and_b32_e32 v6, 0x7fffffff, v2
	v_cmpx_gt_u32_e32 0x43f00000, v6
	s_xor_b32 s1, exec_lo, s1
	s_cbranch_execz .LBB8_1862
; %bb.1857:
	s_mov_b32 s6, exec_lo
                                        ; implicit-def: $vgpr3
	v_cmpx_lt_u32_e32 0x3c7fffff, v6
	s_xor_b32 s6, exec_lo, s6
; %bb.1858:
	v_bfe_u32 v3, v2, 20, 1
	s_delay_alu instid0(VALU_DEP_1) | instskip(NEXT) | instid1(VALU_DEP_1)
	v_add3_u32 v3, v2, v3, 0x407ffff
	v_and_b32_e32 v6, 0xff00000, v3
	v_lshrrev_b32_e32 v3, 20, v3
	s_delay_alu instid0(VALU_DEP_2) | instskip(NEXT) | instid1(VALU_DEP_2)
	v_cmp_ne_u32_e32 vcc_lo, 0x7f00000, v6
	v_cndmask_b32_e32 v3, 0x7e, v3, vcc_lo
; %bb.1859:
	s_and_not1_saveexec_b32 s6, s6
; %bb.1860:
	v_add_f32_e64 v3, 0x46800000, |v2|
; %bb.1861:
	s_or_b32 exec_lo, exec_lo, s6
                                        ; implicit-def: $vgpr6
.LBB8_1862:
	s_and_not1_saveexec_b32 s1, s1
; %bb.1863:
	v_mov_b32_e32 v3, 0x7f
	v_cmp_lt_u32_e32 vcc_lo, 0x7f800000, v6
	s_delay_alu instid0(VALU_DEP_2)
	v_cndmask_b32_e32 v3, 0x7e, v3, vcc_lo
; %bb.1864:
	s_or_b32 exec_lo, exec_lo, s1
	v_lshrrev_b32_e32 v2, 24, v2
	s_delay_alu instid0(VALU_DEP_1)
	v_and_or_b32 v2, 0x80, v2, v3
	global_store_b8 v[13:14], v2, off
.LBB8_1865:
	s_mov_b32 s1, 0
.LBB8_1866:
	s_delay_alu instid0(SALU_CYCLE_1)
	s_and_not1_b32 vcc_lo, exec_lo, s1
	s_cbranch_vccnz .LBB8_1876
; %bb.1867:
	v_cvt_f32_f64_e32 v2, v[0:1]
	s_mov_b32 s1, exec_lo
                                        ; implicit-def: $vgpr3
	s_delay_alu instid0(VALU_DEP_1) | instskip(NEXT) | instid1(VALU_DEP_1)
	v_and_b32_e32 v6, 0x7fffffff, v2
	v_cmpx_gt_u32_e32 0x47800000, v6
	s_xor_b32 s1, exec_lo, s1
	s_cbranch_execz .LBB8_1873
; %bb.1868:
	s_mov_b32 s6, exec_lo
                                        ; implicit-def: $vgpr3
	v_cmpx_lt_u32_e32 0x387fffff, v6
	s_xor_b32 s6, exec_lo, s6
; %bb.1869:
	v_bfe_u32 v3, v2, 21, 1
	s_delay_alu instid0(VALU_DEP_1) | instskip(NEXT) | instid1(VALU_DEP_1)
	v_add3_u32 v3, v2, v3, 0x80fffff
	v_lshrrev_b32_e32 v3, 21, v3
; %bb.1870:
	s_and_not1_saveexec_b32 s6, s6
; %bb.1871:
	v_add_f32_e64 v3, 0x43000000, |v2|
; %bb.1872:
	s_or_b32 exec_lo, exec_lo, s6
                                        ; implicit-def: $vgpr6
.LBB8_1873:
	s_and_not1_saveexec_b32 s1, s1
; %bb.1874:
	v_mov_b32_e32 v3, 0x7f
	v_cmp_lt_u32_e32 vcc_lo, 0x7f800000, v6
	s_delay_alu instid0(VALU_DEP_2)
	v_cndmask_b32_e32 v3, 0x7c, v3, vcc_lo
; %bb.1875:
	s_or_b32 exec_lo, exec_lo, s1
	v_lshrrev_b32_e32 v2, 24, v2
	s_delay_alu instid0(VALU_DEP_1)
	v_and_or_b32 v2, 0x80, v2, v3
	global_store_b8 v[13:14], v2, off
.LBB8_1876:
	s_mov_b32 s1, 0
	s_mov_b32 s6, -1
.LBB8_1877:
	s_and_not1_b32 vcc_lo, exec_lo, s1
	s_mov_b32 s1, 0
	s_cbranch_vccnz .LBB8_1884
; %bb.1878:
	v_cmp_gt_i16_e64 s1, s3, 14
	s_delay_alu instid0(VALU_DEP_1)
	s_and_b32 vcc_lo, exec_lo, s1
	s_mov_b32 s1, -1
	s_cbranch_vccz .LBB8_1882
; %bb.1879:
	v_cmp_eq_u16_e64 s0, s3, 15
	s_delay_alu instid0(VALU_DEP_1)
	s_and_b32 vcc_lo, exec_lo, s0
	s_mov_b32 s0, -1
	s_cbranch_vccz .LBB8_1881
; %bb.1880:
	v_cvt_f32_f64_e32 v2, v[0:1]
	s_mov_b32 s0, 0
	s_mov_b32 s6, -1
	s_delay_alu instid0(VALU_DEP_1) | instskip(SKIP_1) | instid1(VALU_DEP_2)
	v_bfe_u32 v3, v2, 16, 1
	v_cmp_o_f32_e32 vcc_lo, v2, v2
	v_add3_u32 v3, v2, v3, 0x7fff
	s_delay_alu instid0(VALU_DEP_1) | instskip(NEXT) | instid1(VALU_DEP_1)
	v_lshrrev_b32_e32 v3, 16, v3
	v_cndmask_b32_e32 v2, 0x7fc0, v3, vcc_lo
	global_store_b16 v[13:14], v2, off
.LBB8_1881:
	s_mov_b32 s1, 0
.LBB8_1882:
	s_delay_alu instid0(SALU_CYCLE_1)
	s_and_b32 vcc_lo, exec_lo, s1
	s_mov_b32 s1, 0
	s_cbranch_vccz .LBB8_1884
; %bb.1883:
	v_cmp_ne_u16_e64 s0, s3, 11
	s_mov_b32 s1, -1
.LBB8_1884:
	s_delay_alu instid0(VALU_DEP_1)
	s_and_b32 vcc_lo, exec_lo, s0
	s_cbranch_vccnz .LBB8_1941
; %bb.1885:
	s_and_not1_b32 vcc_lo, exec_lo, s1
	s_cbranch_vccnz .LBB8_1887
.LBB8_1886:
	v_cmp_neq_f64_e32 vcc_lo, 0, v[0:1]
	s_mov_b32 s6, -1
	v_cndmask_b32_e64 v2, 0, 1, vcc_lo
	global_store_b8 v[13:14], v2, off
.LBB8_1887:
	s_mov_b32 s0, 0
.LBB8_1888:
	s_delay_alu instid0(SALU_CYCLE_1)
	s_and_b32 vcc_lo, exec_lo, s0
	s_cbranch_vccz .LBB8_1927
; %bb.1889:
	v_cmp_lt_i16_e64 s0, s3, 5
	s_delay_alu instid0(VALU_DEP_1)
	s_and_b32 vcc_lo, exec_lo, s0
	s_mov_b32 s0, -1
	s_cbranch_vccnz .LBB8_1910
; %bb.1890:
	v_cmp_lt_i16_e64 s0, s3, 8
	s_delay_alu instid0(VALU_DEP_1)
	s_and_b32 vcc_lo, exec_lo, s0
	s_mov_b32 s0, -1
	s_cbranch_vccnz .LBB8_1900
	;; [unrolled: 6-line block ×3, first 2 shown]
; %bb.1892:
	v_cmp_gt_i16_e64 s0, s3, 9
	s_delay_alu instid0(VALU_DEP_1)
	s_and_b32 vcc_lo, exec_lo, s0
	s_mov_b32 s0, -1
	s_cbranch_vccz .LBB8_1894
; %bb.1893:
	v_mov_b32_e32 v2, 0
	s_mov_b32 s0, 0
	s_delay_alu instid0(VALU_DEP_1)
	v_mov_b32_e32 v3, v2
	global_store_b128 v[13:14], v[0:3], off
.LBB8_1894:
	s_and_not1_b32 vcc_lo, exec_lo, s0
	s_cbranch_vccnz .LBB8_1896
; %bb.1895:
	v_cvt_f32_f64_e32 v2, v[0:1]
	v_mov_b32_e32 v3, 0
	global_store_b64 v[13:14], v[2:3], off
.LBB8_1896:
	s_mov_b32 s0, 0
.LBB8_1897:
	s_delay_alu instid0(SALU_CYCLE_1)
	s_and_not1_b32 vcc_lo, exec_lo, s0
	s_cbranch_vccnz .LBB8_1899
; %bb.1898:
	v_cvt_f32_f64_e32 v2, v[0:1]
	s_delay_alu instid0(VALU_DEP_1) | instskip(NEXT) | instid1(VALU_DEP_1)
	v_cvt_f16_f32_e32 v2, v2
	v_and_b32_e32 v2, 0xffff, v2
	global_store_b32 v[13:14], v2, off
.LBB8_1899:
	s_mov_b32 s0, 0
.LBB8_1900:
	s_delay_alu instid0(SALU_CYCLE_1)
	s_and_not1_b32 vcc_lo, exec_lo, s0
	s_cbranch_vccnz .LBB8_1909
; %bb.1901:
	v_cmp_lt_i16_e64 s0, s3, 6
	s_delay_alu instid0(VALU_DEP_1)
	s_and_b32 vcc_lo, exec_lo, s0
	s_mov_b32 s0, -1
	s_cbranch_vccnz .LBB8_1907
; %bb.1902:
	v_cmp_gt_i16_e64 s0, s3, 6
	s_delay_alu instid0(VALU_DEP_1)
	s_and_b32 vcc_lo, exec_lo, s0
	s_mov_b32 s0, -1
	s_cbranch_vccz .LBB8_1904
; %bb.1903:
	s_mov_b32 s0, 0
	global_store_b64 v[13:14], v[0:1], off
.LBB8_1904:
	s_and_not1_b32 vcc_lo, exec_lo, s0
	s_cbranch_vccnz .LBB8_1906
; %bb.1905:
	v_cvt_f32_f64_e32 v2, v[0:1]
	global_store_b32 v[13:14], v2, off
.LBB8_1906:
	s_mov_b32 s0, 0
.LBB8_1907:
	s_delay_alu instid0(SALU_CYCLE_1)
	s_and_not1_b32 vcc_lo, exec_lo, s0
	s_cbranch_vccnz .LBB8_1909
; %bb.1908:
	v_cvt_f32_f64_e32 v2, v[0:1]
	s_delay_alu instid0(VALU_DEP_1)
	v_cvt_f16_f32_e32 v2, v2
	global_store_b16 v[13:14], v2, off
.LBB8_1909:
	s_mov_b32 s0, 0
.LBB8_1910:
	s_delay_alu instid0(SALU_CYCLE_1)
	s_and_not1_b32 vcc_lo, exec_lo, s0
	s_cbranch_vccnz .LBB8_1926
; %bb.1911:
	v_cmp_lt_i16_e64 s0, s3, 2
	s_delay_alu instid0(VALU_DEP_1)
	s_and_b32 vcc_lo, exec_lo, s0
	s_mov_b32 s0, -1
	s_cbranch_vccnz .LBB8_1921
; %bb.1912:
	v_cmp_lt_i16_e64 s0, s3, 3
	s_delay_alu instid0(VALU_DEP_1)
	s_and_b32 vcc_lo, exec_lo, s0
	s_mov_b32 s0, -1
	s_cbranch_vccnz .LBB8_1918
; %bb.1913:
	v_cmp_gt_i16_e64 s0, s3, 3
	s_delay_alu instid0(VALU_DEP_1)
	s_and_b32 vcc_lo, exec_lo, s0
	s_mov_b32 s0, -1
	s_cbranch_vccz .LBB8_1915
; %bb.1914:
	v_trunc_f64_e32 v[2:3], v[0:1]
	s_mov_b32 s0, 0
	s_delay_alu instid0(VALU_DEP_1) | instskip(NEXT) | instid1(VALU_DEP_1)
	v_ldexp_f64 v[6:7], v[2:3], 0xffffffe0
	v_floor_f64_e32 v[6:7], v[6:7]
	s_delay_alu instid0(VALU_DEP_1) | instskip(SKIP_1) | instid1(VALU_DEP_2)
	v_fma_f64 v[2:3], 0xc1f00000, v[6:7], v[2:3]
	v_cvt_i32_f64_e32 v7, v[6:7]
	v_cvt_u32_f64_e32 v6, v[2:3]
	global_store_b64 v[13:14], v[6:7], off
.LBB8_1915:
	s_and_not1_b32 vcc_lo, exec_lo, s0
	s_cbranch_vccnz .LBB8_1917
; %bb.1916:
	v_cvt_i32_f64_e32 v2, v[0:1]
	global_store_b32 v[13:14], v2, off
.LBB8_1917:
	s_mov_b32 s0, 0
.LBB8_1918:
	s_delay_alu instid0(SALU_CYCLE_1)
	s_and_not1_b32 vcc_lo, exec_lo, s0
	s_cbranch_vccnz .LBB8_1920
; %bb.1919:
	v_cvt_i32_f64_e32 v2, v[0:1]
	global_store_b16 v[13:14], v2, off
.LBB8_1920:
	s_mov_b32 s0, 0
.LBB8_1921:
	s_delay_alu instid0(SALU_CYCLE_1)
	s_and_not1_b32 vcc_lo, exec_lo, s0
	s_cbranch_vccnz .LBB8_1926
; %bb.1922:
	v_cmp_gt_i16_e64 s0, s3, 0
	s_delay_alu instid0(VALU_DEP_1)
	s_and_b32 vcc_lo, exec_lo, s0
	s_mov_b32 s0, -1
	s_cbranch_vccz .LBB8_1924
; %bb.1923:
	v_cvt_i32_f64_e32 v2, v[0:1]
	s_mov_b32 s0, 0
	global_store_b8 v[13:14], v2, off
.LBB8_1924:
	s_and_not1_b32 vcc_lo, exec_lo, s0
	s_cbranch_vccnz .LBB8_1926
; %bb.1925:
	v_trunc_f64_e32 v[0:1], v[0:1]
	s_delay_alu instid0(VALU_DEP_1) | instskip(NEXT) | instid1(VALU_DEP_1)
	v_ldexp_f64 v[2:3], v[0:1], 0xffffffe0
	v_floor_f64_e32 v[2:3], v[2:3]
	s_delay_alu instid0(VALU_DEP_1) | instskip(NEXT) | instid1(VALU_DEP_1)
	v_fma_f64 v[0:1], 0xc1f00000, v[2:3], v[0:1]
	v_cvt_u32_f64_e32 v0, v[0:1]
	global_store_b8 v[13:14], v0, off
.LBB8_1926:
	s_mov_b32 s6, -1
.LBB8_1927:
	s_delay_alu instid0(SALU_CYCLE_1)
	s_and_not1_b32 vcc_lo, exec_lo, s6
	s_cbranch_vccnz .LBB8_2065
; %bb.1928:
	v_mul_f64 v[0:1], v[9:10], v[15:16]
	v_cmp_eq_f32_e32 vcc_lo, 1.0, v24
	v_cmp_lt_i16_e64 s0, s3, 11
	v_add_co_u32 v5, s1, s4, v5
	s_delay_alu instid0(VALU_DEP_1)
	v_add_co_ci_u32_e64 v6, null, s5, 0, s1
	s_mov_b32 s6, 0
	v_dual_cndmask_b32 v1, v1, v10 :: v_dual_cndmask_b32 v0, v0, v9
	s_and_b32 vcc_lo, exec_lo, s0
	s_mov_b32 s0, -1
	s_cbranch_vccnz .LBB8_2017
; %bb.1929:
	v_cmp_gt_i16_e64 s0, s3, 25
	s_mov_b32 s7, -1
	s_mov_b32 s1, 0
	s_delay_alu instid0(VALU_DEP_1)
	s_and_b32 vcc_lo, exec_lo, s0
	s_mov_b32 s0, 0
	s_cbranch_vccz .LBB8_1973
; %bb.1930:
	v_cmp_gt_i16_e64 s0, s3, 28
	s_delay_alu instid0(VALU_DEP_1)
	s_and_b32 vcc_lo, exec_lo, s0
	s_cbranch_vccz .LBB8_1935
; %bb.1931:
	v_cmp_gt_i16_e64 s0, s3, 43
	s_delay_alu instid0(VALU_DEP_1)
	s_and_b32 vcc_lo, exec_lo, s0
	;; [unrolled: 5-line block ×3, first 2 shown]
	s_cbranch_vccz .LBB8_1945
; %bb.1933:
	v_cmp_eq_u16_e64 s6, s3, 46
	s_mov_b32 s0, -1
	s_mov_b32 s7, 0
	s_delay_alu instid0(VALU_DEP_1)
	s_and_b32 vcc_lo, exec_lo, s6
	s_mov_b32 s6, 0
	s_cbranch_vccz .LBB8_1946
; %bb.1934:
	v_cvt_f32_f64_e32 v2, v[0:1]
	s_mov_b32 s0, 0
	s_mov_b32 s6, -1
	s_delay_alu instid0(VALU_DEP_1) | instskip(SKIP_1) | instid1(VALU_DEP_2)
	v_bfe_u32 v3, v2, 16, 1
	v_cmp_o_f32_e32 vcc_lo, v2, v2
	v_add3_u32 v3, v2, v3, 0x7fff
	s_delay_alu instid0(VALU_DEP_1) | instskip(NEXT) | instid1(VALU_DEP_1)
	v_lshrrev_b32_e32 v3, 16, v3
	v_cndmask_b32_e32 v2, 0x7fc0, v3, vcc_lo
	global_store_b32 v[5:6], v2, off
	s_branch .LBB8_1946
.LBB8_1935:
	s_mov_b32 s0, 0
	s_branch .LBB8_1956
.LBB8_1936:
	s_or_saveexec_b32 s8, s8
                                        ; implicit-def: $sgpr9
	s_delay_alu instid0(SALU_CYCLE_1)
	s_xor_b32 exec_lo, exec_lo, s8
	s_cbranch_execz .LBB8_1838
.LBB8_1937:
	v_add_f32_e64 v3, 0x46000000, |v2|
	s_and_not1_b32 s7, s7, exec_lo
	s_mov_b32 s9, 0
	s_delay_alu instid0(VALU_DEP_1) | instskip(NEXT) | instid1(VALU_DEP_1)
	v_and_b32_e32 v3, 0xff, v3
	v_cmp_ne_u32_e32 vcc_lo, 0, v3
	s_and_b32 s10, vcc_lo, exec_lo
	s_delay_alu instid0(SALU_CYCLE_1)
	s_or_b32 s7, s7, s10
	s_or_b32 exec_lo, exec_lo, s8
	v_mov_b32_e32 v6, s9
	s_and_saveexec_b32 s8, s7
	s_cbranch_execnz .LBB8_1839
	s_branch .LBB8_1840
.LBB8_1938:
	s_mov_b32 s0, 0
	s_branch .LBB8_1952
.LBB8_1939:
	s_trap 2
	s_sendmsg_rtn_b32 s0, sendmsg(MSG_RTN_GET_DOORBELL)
	s_mov_b32 ttmp2, m0
	s_waitcnt lgkmcnt(0)
	s_and_b32 s0, s0, 0x3ff
	s_delay_alu instid0(SALU_CYCLE_1) | instskip(NEXT) | instid1(SALU_CYCLE_1)
	s_bitset1_b32 s0, 10
	s_mov_b32 m0, s0
	s_sendmsg sendmsg(MSG_INTERRUPT)
	s_mov_b32 m0, ttmp2
.LBB8_1940:                             ; =>This Inner Loop Header: Depth=1
	s_sethalt 5
	s_branch .LBB8_1940
.LBB8_1941:
	s_cbranch_execnz .LBB8_2114
; %bb.1942:
	s_or_b32 s2, s2, exec_lo
	s_cbranch_execz .LBB8_1886
	s_branch .LBB8_1887
.LBB8_1943:
	s_or_saveexec_b32 s7, s7
                                        ; implicit-def: $sgpr8
	s_delay_alu instid0(SALU_CYCLE_1)
	s_xor_b32 exec_lo, exec_lo, s7
	s_cbranch_execz .LBB8_1851
.LBB8_1944:
	v_add_f32_e64 v3, 0x42800000, |v2|
	s_and_not1_b32 s6, s6, exec_lo
	s_mov_b32 s8, 0
	s_delay_alu instid0(VALU_DEP_1) | instskip(NEXT) | instid1(VALU_DEP_1)
	v_and_b32_e32 v3, 0xff, v3
	v_cmp_ne_u32_e32 vcc_lo, 0, v3
	s_and_b32 s9, vcc_lo, exec_lo
	s_delay_alu instid0(SALU_CYCLE_1)
	s_or_b32 s6, s6, s9
	s_or_b32 exec_lo, exec_lo, s7
	v_mov_b32_e32 v6, s8
	s_and_saveexec_b32 s7, s6
	s_cbranch_execnz .LBB8_1852
	s_branch .LBB8_1853
.LBB8_1945:
	s_mov_b32 s0, 0
.LBB8_1946:
	s_and_b32 vcc_lo, exec_lo, s7
	s_cbranch_vccz .LBB8_1951
; %bb.1947:
	v_cmp_eq_u16_e64 s0, s3, 44
	s_delay_alu instid0(VALU_DEP_1)
	s_and_b32 vcc_lo, exec_lo, s0
	s_mov_b32 s0, -1
	s_cbranch_vccz .LBB8_1951
; %bb.1948:
	v_cvt_f32_f64_e32 v2, v[0:1]
	v_mov_b32_e32 v3, 0xff
	s_mov_b32 s6, exec_lo
	s_delay_alu instid0(VALU_DEP_2) | instskip(NEXT) | instid1(VALU_DEP_1)
	v_bfe_u32 v7, v2, 23, 8
	v_cmpx_ne_u32_e32 0xff, v7
; %bb.1949:
	v_and_b32_e32 v3, 0x400000, v2
	v_and_or_b32 v7, 0x3fffff, v2, v7
	v_lshrrev_b32_e32 v2, 23, v2
	s_delay_alu instid0(VALU_DEP_3) | instskip(NEXT) | instid1(VALU_DEP_3)
	v_cmp_ne_u32_e32 vcc_lo, 0, v3
	v_cmp_ne_u32_e64 s0, 0, v7
	s_delay_alu instid0(VALU_DEP_1) | instskip(NEXT) | instid1(SALU_CYCLE_1)
	s_and_b32 s0, vcc_lo, s0
	v_cndmask_b32_e64 v3, 0, 1, s0
	s_delay_alu instid0(VALU_DEP_1)
	v_add_nc_u32_e32 v3, v2, v3
; %bb.1950:
	s_or_b32 exec_lo, exec_lo, s6
	s_mov_b32 s0, 0
	s_mov_b32 s6, -1
	global_store_b8 v[5:6], v3, off
.LBB8_1951:
	s_mov_b32 s7, 0
.LBB8_1952:
	s_delay_alu instid0(SALU_CYCLE_1)
	s_and_b32 vcc_lo, exec_lo, s7
	s_cbranch_vccz .LBB8_1955
; %bb.1953:
	v_cmp_eq_u16_e64 s0, s3, 29
	s_delay_alu instid0(VALU_DEP_1)
	s_and_b32 vcc_lo, exec_lo, s0
	s_mov_b32 s0, -1
	s_cbranch_vccz .LBB8_1955
; %bb.1954:
	v_trunc_f64_e32 v[2:3], v[0:1]
	s_mov_b32 s0, 0
	s_mov_b32 s6, -1
	s_mov_b32 s7, 0
	s_delay_alu instid0(VALU_DEP_1) | instskip(NEXT) | instid1(VALU_DEP_1)
	v_ldexp_f64 v[7:8], v[2:3], 0xffffffe0
	v_floor_f64_e32 v[7:8], v[7:8]
	s_delay_alu instid0(VALU_DEP_1) | instskip(SKIP_1) | instid1(VALU_DEP_2)
	v_fma_f64 v[2:3], 0xc1f00000, v[7:8], v[2:3]
	v_cvt_u32_f64_e32 v8, v[7:8]
	v_cvt_u32_f64_e32 v7, v[2:3]
	global_store_b64 v[5:6], v[7:8], off
	s_branch .LBB8_1956
.LBB8_1955:
	s_mov_b32 s7, 0
.LBB8_1956:
	s_delay_alu instid0(SALU_CYCLE_1)
	s_and_b32 vcc_lo, exec_lo, s7
	s_cbranch_vccz .LBB8_1972
; %bb.1957:
	v_cmp_lt_i16_e64 s6, s3, 27
	s_delay_alu instid0(VALU_DEP_1)
	s_and_b32 vcc_lo, exec_lo, s6
	s_mov_b32 s6, -1
	s_cbranch_vccnz .LBB8_1963
; %bb.1958:
	v_cvt_u32_f64_e32 v2, v[0:1]
	v_cmp_gt_i16_e64 s6, s3, 27
	s_delay_alu instid0(VALU_DEP_1)
	s_and_b32 vcc_lo, exec_lo, s6
	s_mov_b32 s6, -1
	s_cbranch_vccz .LBB8_1960
; %bb.1959:
	s_mov_b32 s6, 0
	global_store_b32 v[5:6], v2, off
.LBB8_1960:
	s_and_not1_b32 vcc_lo, exec_lo, s6
	s_cbranch_vccnz .LBB8_1962
; %bb.1961:
	global_store_b16 v[5:6], v2, off
.LBB8_1962:
	s_mov_b32 s6, 0
.LBB8_1963:
	s_delay_alu instid0(SALU_CYCLE_1)
	s_and_not1_b32 vcc_lo, exec_lo, s6
	s_cbranch_vccnz .LBB8_1971
; %bb.1964:
	v_cvt_f32_f64_e32 v2, v[0:1]
	v_mov_b32_e32 v7, 0x80
	s_mov_b32 s6, exec_lo
	s_delay_alu instid0(VALU_DEP_2) | instskip(NEXT) | instid1(VALU_DEP_1)
	v_and_b32_e32 v3, 0x7fffffff, v2
	v_cmpx_gt_u32_e32 0x43800000, v3
	s_cbranch_execz .LBB8_1970
; %bb.1965:
	v_cmp_lt_u32_e32 vcc_lo, 0x3bffffff, v3
	s_mov_b32 s7, 0
                                        ; implicit-def: $vgpr3
	s_and_saveexec_b32 s8, vcc_lo
	s_delay_alu instid0(SALU_CYCLE_1)
	s_xor_b32 s8, exec_lo, s8
	s_cbranch_execz .LBB8_2111
; %bb.1966:
	v_bfe_u32 v3, v2, 20, 1
	s_mov_b32 s7, exec_lo
	s_delay_alu instid0(VALU_DEP_1) | instskip(NEXT) | instid1(VALU_DEP_1)
	v_add3_u32 v3, v2, v3, 0x487ffff
	v_lshrrev_b32_e32 v3, 20, v3
	s_or_saveexec_b32 s8, s8
                                        ; implicit-def: $sgpr9
	s_delay_alu instid0(SALU_CYCLE_1)
	s_xor_b32 exec_lo, exec_lo, s8
	s_cbranch_execnz .LBB8_2112
.LBB8_1967:
	s_or_b32 exec_lo, exec_lo, s8
	v_mov_b32_e32 v7, s9
	s_and_saveexec_b32 s8, s7
.LBB8_1968:
	v_lshrrev_b32_e32 v2, 24, v2
	s_delay_alu instid0(VALU_DEP_1)
	v_and_or_b32 v7, 0x80, v2, v3
.LBB8_1969:
	s_or_b32 exec_lo, exec_lo, s8
.LBB8_1970:
	s_delay_alu instid0(SALU_CYCLE_1)
	s_or_b32 exec_lo, exec_lo, s6
	global_store_b8 v[5:6], v7, off
.LBB8_1971:
	s_mov_b32 s6, -1
.LBB8_1972:
	s_mov_b32 s7, 0
.LBB8_1973:
	s_delay_alu instid0(SALU_CYCLE_1)
	s_and_b32 vcc_lo, exec_lo, s7
	s_cbranch_vccz .LBB8_2013
; %bb.1974:
	v_cmp_gt_i16_e64 s1, s3, 22
	s_delay_alu instid0(VALU_DEP_1)
	s_and_b32 vcc_lo, exec_lo, s1
	s_mov_b32 s1, -1
	s_cbranch_vccz .LBB8_2006
; %bb.1975:
	v_cmp_lt_i16_e64 s1, s3, 24
	s_delay_alu instid0(VALU_DEP_1)
	s_and_b32 vcc_lo, exec_lo, s1
	s_mov_b32 s1, -1
	s_cbranch_vccnz .LBB8_1995
; %bb.1976:
	v_cmp_gt_i16_e64 s1, s3, 24
	s_delay_alu instid0(VALU_DEP_1)
	s_and_b32 vcc_lo, exec_lo, s1
	s_mov_b32 s1, -1
	s_cbranch_vccz .LBB8_1984
; %bb.1977:
	v_cvt_f32_f64_e32 v2, v[0:1]
	v_mov_b32_e32 v7, 0x80
	s_mov_b32 s1, exec_lo
	s_delay_alu instid0(VALU_DEP_2) | instskip(NEXT) | instid1(VALU_DEP_1)
	v_and_b32_e32 v3, 0x7fffffff, v2
	v_cmpx_gt_u32_e32 0x47800000, v3
	s_cbranch_execz .LBB8_1983
; %bb.1978:
	v_cmp_lt_u32_e32 vcc_lo, 0x37ffffff, v3
	s_mov_b32 s6, 0
                                        ; implicit-def: $vgpr3
	s_and_saveexec_b32 s7, vcc_lo
	s_delay_alu instid0(SALU_CYCLE_1)
	s_xor_b32 s7, exec_lo, s7
	s_cbranch_execz .LBB8_2118
; %bb.1979:
	v_bfe_u32 v3, v2, 21, 1
	s_mov_b32 s6, exec_lo
	s_delay_alu instid0(VALU_DEP_1) | instskip(NEXT) | instid1(VALU_DEP_1)
	v_add3_u32 v3, v2, v3, 0x88fffff
	v_lshrrev_b32_e32 v3, 21, v3
	s_or_saveexec_b32 s7, s7
                                        ; implicit-def: $sgpr8
	s_delay_alu instid0(SALU_CYCLE_1)
	s_xor_b32 exec_lo, exec_lo, s7
	s_cbranch_execnz .LBB8_2119
.LBB8_1980:
	s_or_b32 exec_lo, exec_lo, s7
	v_mov_b32_e32 v7, s8
	s_and_saveexec_b32 s7, s6
.LBB8_1981:
	v_lshrrev_b32_e32 v2, 24, v2
	s_delay_alu instid0(VALU_DEP_1)
	v_and_or_b32 v7, 0x80, v2, v3
.LBB8_1982:
	s_or_b32 exec_lo, exec_lo, s7
.LBB8_1983:
	s_delay_alu instid0(SALU_CYCLE_1)
	s_or_b32 exec_lo, exec_lo, s1
	s_mov_b32 s1, 0
	global_store_b8 v[5:6], v7, off
.LBB8_1984:
	s_and_b32 vcc_lo, exec_lo, s1
	s_cbranch_vccz .LBB8_1994
; %bb.1985:
	v_cvt_f32_f64_e32 v2, v[0:1]
	s_mov_b32 s1, exec_lo
                                        ; implicit-def: $vgpr3
	s_delay_alu instid0(VALU_DEP_1) | instskip(NEXT) | instid1(VALU_DEP_1)
	v_and_b32_e32 v7, 0x7fffffff, v2
	v_cmpx_gt_u32_e32 0x43f00000, v7
	s_xor_b32 s1, exec_lo, s1
	s_cbranch_execz .LBB8_1991
; %bb.1986:
	s_mov_b32 s6, exec_lo
                                        ; implicit-def: $vgpr3
	v_cmpx_lt_u32_e32 0x3c7fffff, v7
	s_xor_b32 s6, exec_lo, s6
; %bb.1987:
	v_bfe_u32 v3, v2, 20, 1
	s_delay_alu instid0(VALU_DEP_1) | instskip(NEXT) | instid1(VALU_DEP_1)
	v_add3_u32 v3, v2, v3, 0x407ffff
	v_and_b32_e32 v7, 0xff00000, v3
	v_lshrrev_b32_e32 v3, 20, v3
	s_delay_alu instid0(VALU_DEP_2) | instskip(NEXT) | instid1(VALU_DEP_2)
	v_cmp_ne_u32_e32 vcc_lo, 0x7f00000, v7
	v_cndmask_b32_e32 v3, 0x7e, v3, vcc_lo
; %bb.1988:
	s_and_not1_saveexec_b32 s6, s6
; %bb.1989:
	v_add_f32_e64 v3, 0x46800000, |v2|
; %bb.1990:
	s_or_b32 exec_lo, exec_lo, s6
                                        ; implicit-def: $vgpr7
.LBB8_1991:
	s_and_not1_saveexec_b32 s1, s1
; %bb.1992:
	v_mov_b32_e32 v3, 0x7f
	v_cmp_lt_u32_e32 vcc_lo, 0x7f800000, v7
	s_delay_alu instid0(VALU_DEP_2)
	v_cndmask_b32_e32 v3, 0x7e, v3, vcc_lo
; %bb.1993:
	s_or_b32 exec_lo, exec_lo, s1
	v_lshrrev_b32_e32 v2, 24, v2
	s_delay_alu instid0(VALU_DEP_1)
	v_and_or_b32 v2, 0x80, v2, v3
	global_store_b8 v[5:6], v2, off
.LBB8_1994:
	s_mov_b32 s1, 0
.LBB8_1995:
	s_delay_alu instid0(SALU_CYCLE_1)
	s_and_not1_b32 vcc_lo, exec_lo, s1
	s_cbranch_vccnz .LBB8_2005
; %bb.1996:
	v_cvt_f32_f64_e32 v2, v[0:1]
	s_mov_b32 s1, exec_lo
                                        ; implicit-def: $vgpr3
	s_delay_alu instid0(VALU_DEP_1) | instskip(NEXT) | instid1(VALU_DEP_1)
	v_and_b32_e32 v7, 0x7fffffff, v2
	v_cmpx_gt_u32_e32 0x47800000, v7
	s_xor_b32 s1, exec_lo, s1
	s_cbranch_execz .LBB8_2002
; %bb.1997:
	s_mov_b32 s6, exec_lo
                                        ; implicit-def: $vgpr3
	v_cmpx_lt_u32_e32 0x387fffff, v7
	s_xor_b32 s6, exec_lo, s6
; %bb.1998:
	v_bfe_u32 v3, v2, 21, 1
	s_delay_alu instid0(VALU_DEP_1) | instskip(NEXT) | instid1(VALU_DEP_1)
	v_add3_u32 v3, v2, v3, 0x80fffff
	v_lshrrev_b32_e32 v3, 21, v3
; %bb.1999:
	s_and_not1_saveexec_b32 s6, s6
; %bb.2000:
	v_add_f32_e64 v3, 0x43000000, |v2|
; %bb.2001:
	s_or_b32 exec_lo, exec_lo, s6
                                        ; implicit-def: $vgpr7
.LBB8_2002:
	s_and_not1_saveexec_b32 s1, s1
; %bb.2003:
	v_mov_b32_e32 v3, 0x7f
	v_cmp_lt_u32_e32 vcc_lo, 0x7f800000, v7
	s_delay_alu instid0(VALU_DEP_2)
	v_cndmask_b32_e32 v3, 0x7c, v3, vcc_lo
; %bb.2004:
	s_or_b32 exec_lo, exec_lo, s1
	v_lshrrev_b32_e32 v2, 24, v2
	s_delay_alu instid0(VALU_DEP_1)
	v_and_or_b32 v2, 0x80, v2, v3
	global_store_b8 v[5:6], v2, off
.LBB8_2005:
	s_mov_b32 s1, 0
	s_mov_b32 s6, -1
.LBB8_2006:
	s_and_not1_b32 vcc_lo, exec_lo, s1
	s_mov_b32 s1, 0
	s_cbranch_vccnz .LBB8_2013
; %bb.2007:
	v_cmp_gt_i16_e64 s1, s3, 14
	s_delay_alu instid0(VALU_DEP_1)
	s_and_b32 vcc_lo, exec_lo, s1
	s_mov_b32 s1, -1
	s_cbranch_vccz .LBB8_2011
; %bb.2008:
	v_cmp_eq_u16_e64 s0, s3, 15
	s_delay_alu instid0(VALU_DEP_1)
	s_and_b32 vcc_lo, exec_lo, s0
	s_mov_b32 s0, -1
	s_cbranch_vccz .LBB8_2010
; %bb.2009:
	v_cvt_f32_f64_e32 v2, v[0:1]
	s_mov_b32 s0, 0
	s_mov_b32 s6, -1
	s_delay_alu instid0(VALU_DEP_1) | instskip(SKIP_1) | instid1(VALU_DEP_2)
	v_bfe_u32 v3, v2, 16, 1
	v_cmp_o_f32_e32 vcc_lo, v2, v2
	v_add3_u32 v3, v2, v3, 0x7fff
	s_delay_alu instid0(VALU_DEP_1) | instskip(NEXT) | instid1(VALU_DEP_1)
	v_lshrrev_b32_e32 v3, 16, v3
	v_cndmask_b32_e32 v2, 0x7fc0, v3, vcc_lo
	global_store_b16 v[5:6], v2, off
.LBB8_2010:
	s_mov_b32 s1, 0
.LBB8_2011:
	s_delay_alu instid0(SALU_CYCLE_1)
	s_and_b32 vcc_lo, exec_lo, s1
	s_mov_b32 s1, 0
	s_cbranch_vccz .LBB8_2013
; %bb.2012:
	v_cmp_ne_u16_e64 s0, s3, 11
	s_mov_b32 s1, -1
.LBB8_2013:
	s_delay_alu instid0(VALU_DEP_1)
	s_and_b32 vcc_lo, exec_lo, s0
	s_cbranch_vccnz .LBB8_2116
; %bb.2014:
	s_and_not1_b32 vcc_lo, exec_lo, s1
	s_cbranch_vccnz .LBB8_2016
.LBB8_2015:
	v_cmp_neq_f64_e32 vcc_lo, 0, v[0:1]
	s_mov_b32 s6, -1
	v_cndmask_b32_e64 v2, 0, 1, vcc_lo
	global_store_b8 v[5:6], v2, off
.LBB8_2016:
	s_mov_b32 s0, 0
.LBB8_2017:
	s_delay_alu instid0(SALU_CYCLE_1)
	s_and_b32 vcc_lo, exec_lo, s0
	s_cbranch_vccz .LBB8_2056
; %bb.2018:
	v_cmp_lt_i16_e64 s0, s3, 5
	s_delay_alu instid0(VALU_DEP_1)
	s_and_b32 vcc_lo, exec_lo, s0
	s_mov_b32 s0, -1
	s_cbranch_vccnz .LBB8_2039
; %bb.2019:
	v_cmp_lt_i16_e64 s0, s3, 8
	s_delay_alu instid0(VALU_DEP_1)
	s_and_b32 vcc_lo, exec_lo, s0
	s_mov_b32 s0, -1
	s_cbranch_vccnz .LBB8_2029
	;; [unrolled: 6-line block ×3, first 2 shown]
; %bb.2021:
	v_cmp_gt_i16_e64 s0, s3, 9
	s_delay_alu instid0(VALU_DEP_1)
	s_and_b32 vcc_lo, exec_lo, s0
	s_mov_b32 s0, -1
	s_cbranch_vccz .LBB8_2023
; %bb.2022:
	v_mov_b32_e32 v2, 0
	s_mov_b32 s0, 0
	s_delay_alu instid0(VALU_DEP_1)
	v_mov_b32_e32 v3, v2
	global_store_b128 v[5:6], v[0:3], off
.LBB8_2023:
	s_and_not1_b32 vcc_lo, exec_lo, s0
	s_cbranch_vccnz .LBB8_2025
; %bb.2024:
	v_cvt_f32_f64_e32 v2, v[0:1]
	v_mov_b32_e32 v3, 0
	global_store_b64 v[5:6], v[2:3], off
.LBB8_2025:
	s_mov_b32 s0, 0
.LBB8_2026:
	s_delay_alu instid0(SALU_CYCLE_1)
	s_and_not1_b32 vcc_lo, exec_lo, s0
	s_cbranch_vccnz .LBB8_2028
; %bb.2027:
	v_cvt_f32_f64_e32 v2, v[0:1]
	s_delay_alu instid0(VALU_DEP_1) | instskip(NEXT) | instid1(VALU_DEP_1)
	v_cvt_f16_f32_e32 v2, v2
	v_and_b32_e32 v2, 0xffff, v2
	global_store_b32 v[5:6], v2, off
.LBB8_2028:
	s_mov_b32 s0, 0
.LBB8_2029:
	s_delay_alu instid0(SALU_CYCLE_1)
	s_and_not1_b32 vcc_lo, exec_lo, s0
	s_cbranch_vccnz .LBB8_2038
; %bb.2030:
	v_cmp_lt_i16_e64 s0, s3, 6
	s_delay_alu instid0(VALU_DEP_1)
	s_and_b32 vcc_lo, exec_lo, s0
	s_mov_b32 s0, -1
	s_cbranch_vccnz .LBB8_2036
; %bb.2031:
	v_cmp_gt_i16_e64 s0, s3, 6
	s_delay_alu instid0(VALU_DEP_1)
	s_and_b32 vcc_lo, exec_lo, s0
	s_mov_b32 s0, -1
	s_cbranch_vccz .LBB8_2033
; %bb.2032:
	s_mov_b32 s0, 0
	global_store_b64 v[5:6], v[0:1], off
.LBB8_2033:
	s_and_not1_b32 vcc_lo, exec_lo, s0
	s_cbranch_vccnz .LBB8_2035
; %bb.2034:
	v_cvt_f32_f64_e32 v2, v[0:1]
	global_store_b32 v[5:6], v2, off
.LBB8_2035:
	s_mov_b32 s0, 0
.LBB8_2036:
	s_delay_alu instid0(SALU_CYCLE_1)
	s_and_not1_b32 vcc_lo, exec_lo, s0
	s_cbranch_vccnz .LBB8_2038
; %bb.2037:
	v_cvt_f32_f64_e32 v2, v[0:1]
	s_delay_alu instid0(VALU_DEP_1)
	v_cvt_f16_f32_e32 v2, v2
	global_store_b16 v[5:6], v2, off
.LBB8_2038:
	s_mov_b32 s0, 0
.LBB8_2039:
	s_delay_alu instid0(SALU_CYCLE_1)
	s_and_not1_b32 vcc_lo, exec_lo, s0
	s_cbranch_vccnz .LBB8_2055
; %bb.2040:
	v_cmp_lt_i16_e64 s0, s3, 2
	s_delay_alu instid0(VALU_DEP_1)
	s_and_b32 vcc_lo, exec_lo, s0
	s_mov_b32 s0, -1
	s_cbranch_vccnz .LBB8_2050
; %bb.2041:
	v_cmp_lt_i16_e64 s0, s3, 3
	s_delay_alu instid0(VALU_DEP_1)
	s_and_b32 vcc_lo, exec_lo, s0
	s_mov_b32 s0, -1
	s_cbranch_vccnz .LBB8_2047
; %bb.2042:
	v_cmp_gt_i16_e64 s0, s3, 3
	s_delay_alu instid0(VALU_DEP_1)
	s_and_b32 vcc_lo, exec_lo, s0
	s_mov_b32 s0, -1
	s_cbranch_vccz .LBB8_2044
; %bb.2043:
	v_trunc_f64_e32 v[2:3], v[0:1]
	s_mov_b32 s0, 0
	s_delay_alu instid0(VALU_DEP_1) | instskip(NEXT) | instid1(VALU_DEP_1)
	v_ldexp_f64 v[7:8], v[2:3], 0xffffffe0
	v_floor_f64_e32 v[7:8], v[7:8]
	s_delay_alu instid0(VALU_DEP_1) | instskip(SKIP_1) | instid1(VALU_DEP_2)
	v_fma_f64 v[2:3], 0xc1f00000, v[7:8], v[2:3]
	v_cvt_i32_f64_e32 v8, v[7:8]
	v_cvt_u32_f64_e32 v7, v[2:3]
	global_store_b64 v[5:6], v[7:8], off
.LBB8_2044:
	s_and_not1_b32 vcc_lo, exec_lo, s0
	s_cbranch_vccnz .LBB8_2046
; %bb.2045:
	v_cvt_i32_f64_e32 v2, v[0:1]
	global_store_b32 v[5:6], v2, off
.LBB8_2046:
	s_mov_b32 s0, 0
.LBB8_2047:
	s_delay_alu instid0(SALU_CYCLE_1)
	s_and_not1_b32 vcc_lo, exec_lo, s0
	s_cbranch_vccnz .LBB8_2049
; %bb.2048:
	v_cvt_i32_f64_e32 v2, v[0:1]
	global_store_b16 v[5:6], v2, off
.LBB8_2049:
	s_mov_b32 s0, 0
.LBB8_2050:
	s_delay_alu instid0(SALU_CYCLE_1)
	s_and_not1_b32 vcc_lo, exec_lo, s0
	s_cbranch_vccnz .LBB8_2055
; %bb.2051:
	v_cmp_gt_i16_e64 s0, s3, 0
	s_delay_alu instid0(VALU_DEP_1)
	s_and_b32 vcc_lo, exec_lo, s0
	s_mov_b32 s0, -1
	s_cbranch_vccz .LBB8_2053
; %bb.2052:
	v_cvt_i32_f64_e32 v2, v[0:1]
	s_mov_b32 s0, 0
	global_store_b8 v[5:6], v2, off
.LBB8_2053:
	s_and_not1_b32 vcc_lo, exec_lo, s0
	s_cbranch_vccnz .LBB8_2055
; %bb.2054:
	v_trunc_f64_e32 v[0:1], v[0:1]
	s_delay_alu instid0(VALU_DEP_1) | instskip(NEXT) | instid1(VALU_DEP_1)
	v_ldexp_f64 v[2:3], v[0:1], 0xffffffe0
	v_floor_f64_e32 v[2:3], v[2:3]
	s_delay_alu instid0(VALU_DEP_1) | instskip(NEXT) | instid1(VALU_DEP_1)
	v_fma_f64 v[0:1], 0xc1f00000, v[2:3], v[0:1]
	v_cvt_u32_f64_e32 v0, v[0:1]
	global_store_b8 v[5:6], v0, off
.LBB8_2055:
	s_mov_b32 s6, -1
.LBB8_2056:
	s_delay_alu instid0(SALU_CYCLE_1)
	s_and_not1_b32 vcc_lo, exec_lo, s6
	s_cbranch_vccnz .LBB8_2065
; %bb.2057:
	v_mul_f64 v[0:1], v[11:12], v[17:18]
	v_cmp_eq_f32_e32 vcc_lo, 1.0, v21
	v_cmp_lt_i16_e64 s0, s3, 11
	v_add_co_u32 v4, s4, s4, v4
	s_delay_alu instid0(VALU_DEP_1)
	v_add_co_ci_u32_e64 v5, null, s5, 0, s4
	s_mov_b32 s1, 0
	v_dual_cndmask_b32 v1, v1, v12 :: v_dual_cndmask_b32 v0, v0, v11
	s_and_b32 vcc_lo, exec_lo, s0
	s_mov_b32 s0, -1
	s_cbranch_vccnz .LBB8_2066
; %bb.2058:
	v_cmp_gt_i16_e64 s0, s3, 25
	s_mov_b32 s4, -1
	s_delay_alu instid0(VALU_DEP_1)
	s_and_b32 vcc_lo, exec_lo, s0
	s_mov_b32 s0, 0
	s_cbranch_vccz .LBB8_2147
; %bb.2059:
	v_cmp_gt_i16_e64 s0, s3, 28
	s_delay_alu instid0(VALU_DEP_1)
	s_and_b32 vcc_lo, exec_lo, s0
	s_cbranch_vccz .LBB8_2110
; %bb.2060:
	v_cmp_gt_i16_e64 s0, s3, 43
	s_delay_alu instid0(VALU_DEP_1)
	s_and_b32 vcc_lo, exec_lo, s0
	;; [unrolled: 5-line block ×3, first 2 shown]
	s_cbranch_vccz .LBB8_2120
; %bb.2062:
	v_cmp_eq_u16_e64 s0, s3, 46
	s_delay_alu instid0(VALU_DEP_1)
	s_and_b32 vcc_lo, exec_lo, s0
	s_mov_b32 s0, -1
	s_cbranch_vccz .LBB8_2064
; %bb.2063:
	v_cvt_f32_f64_e32 v2, v[0:1]
	s_mov_b32 s0, 0
	s_delay_alu instid0(VALU_DEP_1) | instskip(SKIP_1) | instid1(VALU_DEP_2)
	v_bfe_u32 v3, v2, 16, 1
	v_cmp_o_f32_e32 vcc_lo, v2, v2
	v_add3_u32 v3, v2, v3, 0x7fff
	s_delay_alu instid0(VALU_DEP_1) | instskip(NEXT) | instid1(VALU_DEP_1)
	v_lshrrev_b32_e32 v3, 16, v3
	v_cndmask_b32_e32 v2, 0x7fc0, v3, vcc_lo
	global_store_b32 v[4:5], v2, off
.LBB8_2064:
	s_mov_b32 s4, 0
	s_branch .LBB8_2121
.LBB8_2065:
	s_mov_b32 s0, 0
	s_mov_b32 s1, 0
                                        ; implicit-def: $vgpr4_vgpr5
                                        ; implicit-def: $sgpr3
                                        ; implicit-def: $vgpr0_vgpr1
.LBB8_2066:
	s_and_b32 s4, s0, exec_lo
	s_and_not1_b32 s0, s12, exec_lo
	s_and_b32 s2, s2, exec_lo
	s_and_b32 s30, s1, exec_lo
	s_or_b32 s12, s0, s2
.LBB8_2067:
	s_or_b32 exec_lo, exec_lo, s13
	s_and_saveexec_b32 s0, s12
	s_cbranch_execz .LBB8_2070
; %bb.2068:
	; divergent unreachable
	s_or_b32 exec_lo, exec_lo, s0
	s_and_saveexec_b32 s0, s30
	s_delay_alu instid0(SALU_CYCLE_1)
	s_xor_b32 s0, exec_lo, s0
	s_cbranch_execnz .LBB8_2071
.LBB8_2069:
	s_or_b32 exec_lo, exec_lo, s0
	s_and_saveexec_b32 s0, s4
	s_cbranch_execnz .LBB8_2072
	s_branch .LBB8_2109
.LBB8_2070:
	s_or_b32 exec_lo, exec_lo, s0
	s_and_saveexec_b32 s0, s30
	s_delay_alu instid0(SALU_CYCLE_1)
	s_xor_b32 s0, exec_lo, s0
	s_cbranch_execz .LBB8_2069
.LBB8_2071:
	v_cmp_neq_f64_e32 vcc_lo, 0, v[0:1]
	s_waitcnt vmcnt(0)
	v_cndmask_b32_e64 v2, 0, 1, vcc_lo
	global_store_b8 v[4:5], v2, off
	s_or_b32 exec_lo, exec_lo, s0
	s_and_saveexec_b32 s0, s4
	s_cbranch_execz .LBB8_2109
.LBB8_2072:
	v_cmp_lt_i16_e64 s0, s3, 5
	s_delay_alu instid0(VALU_DEP_1)
	s_and_b32 vcc_lo, exec_lo, s0
	s_mov_b32 s0, -1
	s_cbranch_vccnz .LBB8_2093
; %bb.2073:
	v_cmp_lt_i16_e64 s0, s3, 8
	s_delay_alu instid0(VALU_DEP_1)
	s_and_b32 vcc_lo, exec_lo, s0
	s_mov_b32 s0, -1
	s_cbranch_vccnz .LBB8_2083
; %bb.2074:
	;; [unrolled: 6-line block ×3, first 2 shown]
	v_cmp_gt_i16_e64 s0, s3, 9
	s_delay_alu instid0(VALU_DEP_1)
	s_and_b32 vcc_lo, exec_lo, s0
	s_mov_b32 s0, -1
	s_cbranch_vccz .LBB8_2077
; %bb.2076:
	s_waitcnt vmcnt(0)
	v_mov_b32_e32 v2, 0
	s_mov_b32 s0, 0
	s_delay_alu instid0(VALU_DEP_1)
	v_mov_b32_e32 v3, v2
	global_store_b128 v[4:5], v[0:3], off
.LBB8_2077:
	s_and_not1_b32 vcc_lo, exec_lo, s0
	s_cbranch_vccnz .LBB8_2079
; %bb.2078:
	s_waitcnt vmcnt(0)
	v_cvt_f32_f64_e32 v2, v[0:1]
	v_mov_b32_e32 v3, 0
	global_store_b64 v[4:5], v[2:3], off
.LBB8_2079:
	s_mov_b32 s0, 0
.LBB8_2080:
	s_delay_alu instid0(SALU_CYCLE_1)
	s_and_not1_b32 vcc_lo, exec_lo, s0
	s_cbranch_vccnz .LBB8_2082
; %bb.2081:
	s_waitcnt vmcnt(0)
	v_cvt_f32_f64_e32 v2, v[0:1]
	s_delay_alu instid0(VALU_DEP_1) | instskip(NEXT) | instid1(VALU_DEP_1)
	v_cvt_f16_f32_e32 v2, v2
	v_and_b32_e32 v2, 0xffff, v2
	global_store_b32 v[4:5], v2, off
.LBB8_2082:
	s_mov_b32 s0, 0
.LBB8_2083:
	s_delay_alu instid0(SALU_CYCLE_1)
	s_and_not1_b32 vcc_lo, exec_lo, s0
	s_cbranch_vccnz .LBB8_2092
; %bb.2084:
	v_cmp_lt_i16_e64 s0, s3, 6
	s_delay_alu instid0(VALU_DEP_1)
	s_and_b32 vcc_lo, exec_lo, s0
	s_mov_b32 s0, -1
	s_cbranch_vccnz .LBB8_2090
; %bb.2085:
	v_cmp_gt_i16_e64 s0, s3, 6
	s_delay_alu instid0(VALU_DEP_1)
	s_and_b32 vcc_lo, exec_lo, s0
	s_mov_b32 s0, -1
	s_cbranch_vccz .LBB8_2087
; %bb.2086:
	s_mov_b32 s0, 0
	global_store_b64 v[4:5], v[0:1], off
.LBB8_2087:
	s_and_not1_b32 vcc_lo, exec_lo, s0
	s_cbranch_vccnz .LBB8_2089
; %bb.2088:
	s_waitcnt vmcnt(0)
	v_cvt_f32_f64_e32 v2, v[0:1]
	global_store_b32 v[4:5], v2, off
.LBB8_2089:
	s_mov_b32 s0, 0
.LBB8_2090:
	s_delay_alu instid0(SALU_CYCLE_1)
	s_and_not1_b32 vcc_lo, exec_lo, s0
	s_cbranch_vccnz .LBB8_2092
; %bb.2091:
	s_waitcnt vmcnt(0)
	v_cvt_f32_f64_e32 v2, v[0:1]
	s_delay_alu instid0(VALU_DEP_1)
	v_cvt_f16_f32_e32 v2, v2
	global_store_b16 v[4:5], v2, off
.LBB8_2092:
	s_mov_b32 s0, 0
.LBB8_2093:
	s_delay_alu instid0(SALU_CYCLE_1)
	s_and_not1_b32 vcc_lo, exec_lo, s0
	s_cbranch_vccnz .LBB8_2109
; %bb.2094:
	v_cmp_lt_i16_e64 s0, s3, 2
	s_delay_alu instid0(VALU_DEP_1)
	s_and_b32 vcc_lo, exec_lo, s0
	s_mov_b32 s0, -1
	s_cbranch_vccnz .LBB8_2104
; %bb.2095:
	v_cmp_lt_i16_e64 s0, s3, 3
	s_delay_alu instid0(VALU_DEP_1)
	s_and_b32 vcc_lo, exec_lo, s0
	s_mov_b32 s0, -1
	s_cbranch_vccnz .LBB8_2101
; %bb.2096:
	v_cmp_gt_i16_e64 s0, s3, 3
	s_delay_alu instid0(VALU_DEP_1)
	s_and_b32 vcc_lo, exec_lo, s0
	s_mov_b32 s0, -1
	s_cbranch_vccz .LBB8_2098
; %bb.2097:
	s_waitcnt vmcnt(0)
	v_trunc_f64_e32 v[2:3], v[0:1]
	s_mov_b32 s0, 0
	s_delay_alu instid0(VALU_DEP_1) | instskip(NEXT) | instid1(VALU_DEP_1)
	v_ldexp_f64 v[6:7], v[2:3], 0xffffffe0
	v_floor_f64_e32 v[6:7], v[6:7]
	s_delay_alu instid0(VALU_DEP_1) | instskip(SKIP_1) | instid1(VALU_DEP_2)
	v_fma_f64 v[2:3], 0xc1f00000, v[6:7], v[2:3]
	v_cvt_i32_f64_e32 v7, v[6:7]
	v_cvt_u32_f64_e32 v6, v[2:3]
	global_store_b64 v[4:5], v[6:7], off
.LBB8_2098:
	s_and_not1_b32 vcc_lo, exec_lo, s0
	s_cbranch_vccnz .LBB8_2100
; %bb.2099:
	s_waitcnt vmcnt(0)
	v_cvt_i32_f64_e32 v2, v[0:1]
	global_store_b32 v[4:5], v2, off
.LBB8_2100:
	s_mov_b32 s0, 0
.LBB8_2101:
	s_delay_alu instid0(SALU_CYCLE_1)
	s_and_not1_b32 vcc_lo, exec_lo, s0
	s_cbranch_vccnz .LBB8_2103
; %bb.2102:
	s_waitcnt vmcnt(0)
	v_cvt_i32_f64_e32 v2, v[0:1]
	global_store_b16 v[4:5], v2, off
.LBB8_2103:
	s_mov_b32 s0, 0
.LBB8_2104:
	s_delay_alu instid0(SALU_CYCLE_1)
	s_and_not1_b32 vcc_lo, exec_lo, s0
	s_cbranch_vccnz .LBB8_2109
; %bb.2105:
	v_cmp_gt_i16_e64 s0, s3, 0
	s_delay_alu instid0(VALU_DEP_1)
	s_and_b32 vcc_lo, exec_lo, s0
	s_mov_b32 s0, -1
	s_cbranch_vccz .LBB8_2107
; %bb.2106:
	s_waitcnt vmcnt(0)
	v_cvt_i32_f64_e32 v2, v[0:1]
	s_mov_b32 s0, 0
	global_store_b8 v[4:5], v2, off
.LBB8_2107:
	s_and_not1_b32 vcc_lo, exec_lo, s0
	s_cbranch_vccnz .LBB8_2109
; %bb.2108:
	v_trunc_f64_e32 v[0:1], v[0:1]
	s_waitcnt vmcnt(0)
	s_delay_alu instid0(VALU_DEP_1) | instskip(NEXT) | instid1(VALU_DEP_1)
	v_ldexp_f64 v[2:3], v[0:1], 0xffffffe0
	v_floor_f64_e32 v[2:3], v[2:3]
	s_delay_alu instid0(VALU_DEP_1) | instskip(NEXT) | instid1(VALU_DEP_1)
	v_fma_f64 v[0:1], 0xc1f00000, v[2:3], v[0:1]
	v_cvt_u32_f64_e32 v0, v[0:1]
	global_store_b8 v[4:5], v0, off
	s_nop 0
	s_sendmsg sendmsg(MSG_DEALLOC_VGPRS)
	s_endpgm
.LBB8_2109:
	s_nop 0
	s_sendmsg sendmsg(MSG_DEALLOC_VGPRS)
	s_endpgm
.LBB8_2110:
	s_mov_b32 s0, 0
	s_branch .LBB8_2131
.LBB8_2111:
	s_or_saveexec_b32 s8, s8
                                        ; implicit-def: $sgpr9
	s_delay_alu instid0(SALU_CYCLE_1)
	s_xor_b32 exec_lo, exec_lo, s8
	s_cbranch_execz .LBB8_1967
.LBB8_2112:
	v_add_f32_e64 v3, 0x46000000, |v2|
	s_and_not1_b32 s7, s7, exec_lo
	s_mov_b32 s9, 0
	s_delay_alu instid0(VALU_DEP_1) | instskip(NEXT) | instid1(VALU_DEP_1)
	v_and_b32_e32 v3, 0xff, v3
	v_cmp_ne_u32_e32 vcc_lo, 0, v3
	s_and_b32 s10, vcc_lo, exec_lo
	s_delay_alu instid0(SALU_CYCLE_1)
	s_or_b32 s7, s7, s10
	s_or_b32 exec_lo, exec_lo, s8
	v_mov_b32_e32 v7, s9
	s_and_saveexec_b32 s8, s7
	s_cbranch_execnz .LBB8_1968
	s_branch .LBB8_1969
.LBB8_2113:
	s_mov_b32 s0, 0
	s_branch .LBB8_2127
.LBB8_2114:
	s_trap 2
	s_sendmsg_rtn_b32 s0, sendmsg(MSG_RTN_GET_DOORBELL)
	s_mov_b32 ttmp2, m0
	s_waitcnt lgkmcnt(0)
	s_and_b32 s0, s0, 0x3ff
	s_delay_alu instid0(SALU_CYCLE_1) | instskip(NEXT) | instid1(SALU_CYCLE_1)
	s_bitset1_b32 s0, 10
	s_mov_b32 m0, s0
	s_sendmsg sendmsg(MSG_INTERRUPT)
	s_mov_b32 m0, ttmp2
.LBB8_2115:                             ; =>This Inner Loop Header: Depth=1
	s_sethalt 5
	s_branch .LBB8_2115
.LBB8_2116:
	s_cbranch_execnz .LBB8_2191
; %bb.2117:
	s_or_b32 s2, s2, exec_lo
	s_cbranch_execz .LBB8_2015
	s_branch .LBB8_2016
.LBB8_2118:
	s_or_saveexec_b32 s7, s7
                                        ; implicit-def: $sgpr8
	s_delay_alu instid0(SALU_CYCLE_1)
	s_xor_b32 exec_lo, exec_lo, s7
	s_cbranch_execz .LBB8_1980
.LBB8_2119:
	v_add_f32_e64 v3, 0x42800000, |v2|
	s_and_not1_b32 s6, s6, exec_lo
	s_mov_b32 s8, 0
	s_delay_alu instid0(VALU_DEP_1) | instskip(NEXT) | instid1(VALU_DEP_1)
	v_and_b32_e32 v3, 0xff, v3
	v_cmp_ne_u32_e32 vcc_lo, 0, v3
	s_and_b32 s9, vcc_lo, exec_lo
	s_delay_alu instid0(SALU_CYCLE_1)
	s_or_b32 s6, s6, s9
	s_or_b32 exec_lo, exec_lo, s7
	v_mov_b32_e32 v7, s8
	s_and_saveexec_b32 s7, s6
	s_cbranch_execnz .LBB8_1981
	s_branch .LBB8_1982
.LBB8_2120:
	s_mov_b32 s0, 0
.LBB8_2121:
	s_and_b32 vcc_lo, exec_lo, s4
	s_cbranch_vccz .LBB8_2126
; %bb.2122:
	v_cmp_eq_u16_e64 s0, s3, 44
	s_delay_alu instid0(VALU_DEP_1)
	s_and_b32 vcc_lo, exec_lo, s0
	s_mov_b32 s0, -1
	s_cbranch_vccz .LBB8_2126
; %bb.2123:
	v_cvt_f32_f64_e32 v2, v[0:1]
	v_mov_b32_e32 v3, 0xff
	s_mov_b32 s4, exec_lo
	s_delay_alu instid0(VALU_DEP_2) | instskip(NEXT) | instid1(VALU_DEP_1)
	v_bfe_u32 v6, v2, 23, 8
	v_cmpx_ne_u32_e32 0xff, v6
; %bb.2124:
	v_and_b32_e32 v3, 0x400000, v2
	v_and_or_b32 v6, 0x3fffff, v2, v6
	v_lshrrev_b32_e32 v2, 23, v2
	s_delay_alu instid0(VALU_DEP_3) | instskip(NEXT) | instid1(VALU_DEP_3)
	v_cmp_ne_u32_e32 vcc_lo, 0, v3
	v_cmp_ne_u32_e64 s0, 0, v6
	s_delay_alu instid0(VALU_DEP_1) | instskip(NEXT) | instid1(SALU_CYCLE_1)
	s_and_b32 s0, vcc_lo, s0
	v_cndmask_b32_e64 v3, 0, 1, s0
	s_delay_alu instid0(VALU_DEP_1)
	v_add_nc_u32_e32 v3, v2, v3
; %bb.2125:
	s_or_b32 exec_lo, exec_lo, s4
	s_mov_b32 s0, 0
	global_store_b8 v[4:5], v3, off
.LBB8_2126:
	s_mov_b32 s4, 0
.LBB8_2127:
	s_delay_alu instid0(SALU_CYCLE_1)
	s_and_b32 vcc_lo, exec_lo, s4
	s_cbranch_vccz .LBB8_2130
; %bb.2128:
	v_cmp_eq_u16_e64 s0, s3, 29
	s_delay_alu instid0(VALU_DEP_1)
	s_and_b32 vcc_lo, exec_lo, s0
	s_mov_b32 s0, -1
	s_cbranch_vccz .LBB8_2130
; %bb.2129:
	v_trunc_f64_e32 v[2:3], v[0:1]
	s_mov_b32 s0, 0
	s_delay_alu instid0(VALU_DEP_1) | instskip(NEXT) | instid1(VALU_DEP_1)
	v_ldexp_f64 v[6:7], v[2:3], 0xffffffe0
	v_floor_f64_e32 v[6:7], v[6:7]
	s_delay_alu instid0(VALU_DEP_1) | instskip(SKIP_1) | instid1(VALU_DEP_2)
	v_fma_f64 v[2:3], 0xc1f00000, v[6:7], v[2:3]
	v_cvt_u32_f64_e32 v7, v[6:7]
	v_cvt_u32_f64_e32 v6, v[2:3]
	global_store_b64 v[4:5], v[6:7], off
.LBB8_2130:
	s_mov_b32 s4, 0
.LBB8_2131:
	s_delay_alu instid0(SALU_CYCLE_1)
	s_and_b32 vcc_lo, exec_lo, s4
	s_cbranch_vccz .LBB8_2146
; %bb.2132:
	v_cmp_lt_i16_e64 s4, s3, 27
	s_delay_alu instid0(VALU_DEP_1)
	s_and_b32 vcc_lo, exec_lo, s4
	s_mov_b32 s4, -1
	s_cbranch_vccnz .LBB8_2138
; %bb.2133:
	v_cvt_u32_f64_e32 v2, v[0:1]
	v_cmp_gt_i16_e64 s4, s3, 27
	s_delay_alu instid0(VALU_DEP_1)
	s_and_b32 vcc_lo, exec_lo, s4
	s_mov_b32 s4, -1
	s_cbranch_vccz .LBB8_2135
; %bb.2134:
	s_mov_b32 s4, 0
	global_store_b32 v[4:5], v2, off
.LBB8_2135:
	s_and_not1_b32 vcc_lo, exec_lo, s4
	s_cbranch_vccnz .LBB8_2137
; %bb.2136:
	global_store_b16 v[4:5], v2, off
.LBB8_2137:
	s_mov_b32 s4, 0
.LBB8_2138:
	s_delay_alu instid0(SALU_CYCLE_1)
	s_and_not1_b32 vcc_lo, exec_lo, s4
	s_cbranch_vccnz .LBB8_2146
; %bb.2139:
	v_cvt_f32_f64_e32 v2, v[0:1]
	v_mov_b32_e32 v6, 0x80
	s_mov_b32 s4, exec_lo
	s_delay_alu instid0(VALU_DEP_2) | instskip(NEXT) | instid1(VALU_DEP_1)
	v_and_b32_e32 v3, 0x7fffffff, v2
	v_cmpx_gt_u32_e32 0x43800000, v3
	s_cbranch_execz .LBB8_2145
; %bb.2140:
	v_cmp_lt_u32_e32 vcc_lo, 0x3bffffff, v3
	s_mov_b32 s5, 0
                                        ; implicit-def: $vgpr3
	s_and_saveexec_b32 s6, vcc_lo
	s_delay_alu instid0(SALU_CYCLE_1)
	s_xor_b32 s6, exec_lo, s6
	s_cbranch_execz .LBB8_2189
; %bb.2141:
	v_bfe_u32 v3, v2, 20, 1
	s_mov_b32 s5, exec_lo
	s_delay_alu instid0(VALU_DEP_1) | instskip(NEXT) | instid1(VALU_DEP_1)
	v_add3_u32 v3, v2, v3, 0x487ffff
	v_lshrrev_b32_e32 v3, 20, v3
	s_or_saveexec_b32 s6, s6
                                        ; implicit-def: $sgpr7
	s_delay_alu instid0(SALU_CYCLE_1)
	s_xor_b32 exec_lo, exec_lo, s6
	s_cbranch_execnz .LBB8_2190
.LBB8_2142:
	s_or_b32 exec_lo, exec_lo, s6
	v_mov_b32_e32 v6, s7
	s_and_saveexec_b32 s6, s5
.LBB8_2143:
	v_lshrrev_b32_e32 v2, 24, v2
	s_delay_alu instid0(VALU_DEP_1)
	v_and_or_b32 v6, 0x80, v2, v3
.LBB8_2144:
	s_or_b32 exec_lo, exec_lo, s6
.LBB8_2145:
	s_delay_alu instid0(SALU_CYCLE_1)
	s_or_b32 exec_lo, exec_lo, s4
	global_store_b8 v[4:5], v6, off
.LBB8_2146:
	s_mov_b32 s4, 0
.LBB8_2147:
	s_delay_alu instid0(SALU_CYCLE_1)
	s_and_b32 vcc_lo, exec_lo, s4
	s_cbranch_vccz .LBB8_2187
; %bb.2148:
	v_cmp_gt_i16_e64 s1, s3, 22
	s_delay_alu instid0(VALU_DEP_1)
	s_and_b32 vcc_lo, exec_lo, s1
	s_mov_b32 s1, -1
	s_cbranch_vccz .LBB8_2180
; %bb.2149:
	v_cmp_lt_i16_e64 s1, s3, 24
	s_delay_alu instid0(VALU_DEP_1)
	s_and_b32 vcc_lo, exec_lo, s1
	s_mov_b32 s1, -1
	s_cbranch_vccnz .LBB8_2169
; %bb.2150:
	v_cmp_gt_i16_e64 s1, s3, 24
	s_delay_alu instid0(VALU_DEP_1)
	s_and_b32 vcc_lo, exec_lo, s1
	s_mov_b32 s1, -1
	s_cbranch_vccz .LBB8_2158
; %bb.2151:
	v_cvt_f32_f64_e32 v2, v[0:1]
	v_mov_b32_e32 v6, 0x80
	s_mov_b32 s1, exec_lo
	s_delay_alu instid0(VALU_DEP_2) | instskip(NEXT) | instid1(VALU_DEP_1)
	v_and_b32_e32 v3, 0x7fffffff, v2
	v_cmpx_gt_u32_e32 0x47800000, v3
	s_cbranch_execz .LBB8_2157
; %bb.2152:
	v_cmp_lt_u32_e32 vcc_lo, 0x37ffffff, v3
	s_mov_b32 s4, 0
                                        ; implicit-def: $vgpr3
	s_and_saveexec_b32 s5, vcc_lo
	s_delay_alu instid0(SALU_CYCLE_1)
	s_xor_b32 s5, exec_lo, s5
	s_cbranch_execz .LBB8_2195
; %bb.2153:
	v_bfe_u32 v3, v2, 21, 1
	s_mov_b32 s4, exec_lo
	s_delay_alu instid0(VALU_DEP_1) | instskip(NEXT) | instid1(VALU_DEP_1)
	v_add3_u32 v3, v2, v3, 0x88fffff
	v_lshrrev_b32_e32 v3, 21, v3
	s_or_saveexec_b32 s5, s5
                                        ; implicit-def: $sgpr6
	s_delay_alu instid0(SALU_CYCLE_1)
	s_xor_b32 exec_lo, exec_lo, s5
	s_cbranch_execnz .LBB8_2196
.LBB8_2154:
	s_or_b32 exec_lo, exec_lo, s5
	v_mov_b32_e32 v6, s6
	s_and_saveexec_b32 s5, s4
.LBB8_2155:
	v_lshrrev_b32_e32 v2, 24, v2
	s_delay_alu instid0(VALU_DEP_1)
	v_and_or_b32 v6, 0x80, v2, v3
.LBB8_2156:
	s_or_b32 exec_lo, exec_lo, s5
.LBB8_2157:
	s_delay_alu instid0(SALU_CYCLE_1)
	s_or_b32 exec_lo, exec_lo, s1
	s_mov_b32 s1, 0
	global_store_b8 v[4:5], v6, off
.LBB8_2158:
	s_and_b32 vcc_lo, exec_lo, s1
	s_cbranch_vccz .LBB8_2168
; %bb.2159:
	v_cvt_f32_f64_e32 v2, v[0:1]
	s_mov_b32 s1, exec_lo
                                        ; implicit-def: $vgpr3
	s_delay_alu instid0(VALU_DEP_1) | instskip(NEXT) | instid1(VALU_DEP_1)
	v_and_b32_e32 v6, 0x7fffffff, v2
	v_cmpx_gt_u32_e32 0x43f00000, v6
	s_xor_b32 s1, exec_lo, s1
	s_cbranch_execz .LBB8_2165
; %bb.2160:
	s_mov_b32 s4, exec_lo
                                        ; implicit-def: $vgpr3
	v_cmpx_lt_u32_e32 0x3c7fffff, v6
	s_xor_b32 s4, exec_lo, s4
; %bb.2161:
	v_bfe_u32 v3, v2, 20, 1
	s_delay_alu instid0(VALU_DEP_1) | instskip(NEXT) | instid1(VALU_DEP_1)
	v_add3_u32 v3, v2, v3, 0x407ffff
	v_and_b32_e32 v6, 0xff00000, v3
	v_lshrrev_b32_e32 v3, 20, v3
	s_delay_alu instid0(VALU_DEP_2) | instskip(NEXT) | instid1(VALU_DEP_2)
	v_cmp_ne_u32_e32 vcc_lo, 0x7f00000, v6
	v_cndmask_b32_e32 v3, 0x7e, v3, vcc_lo
; %bb.2162:
	s_and_not1_saveexec_b32 s4, s4
; %bb.2163:
	v_add_f32_e64 v3, 0x46800000, |v2|
; %bb.2164:
	s_or_b32 exec_lo, exec_lo, s4
                                        ; implicit-def: $vgpr6
.LBB8_2165:
	s_and_not1_saveexec_b32 s1, s1
; %bb.2166:
	v_mov_b32_e32 v3, 0x7f
	v_cmp_lt_u32_e32 vcc_lo, 0x7f800000, v6
	s_delay_alu instid0(VALU_DEP_2)
	v_cndmask_b32_e32 v3, 0x7e, v3, vcc_lo
; %bb.2167:
	s_or_b32 exec_lo, exec_lo, s1
	v_lshrrev_b32_e32 v2, 24, v2
	s_delay_alu instid0(VALU_DEP_1)
	v_and_or_b32 v2, 0x80, v2, v3
	global_store_b8 v[4:5], v2, off
.LBB8_2168:
	s_mov_b32 s1, 0
.LBB8_2169:
	s_delay_alu instid0(SALU_CYCLE_1)
	s_and_not1_b32 vcc_lo, exec_lo, s1
	s_cbranch_vccnz .LBB8_2179
; %bb.2170:
	v_cvt_f32_f64_e32 v2, v[0:1]
	s_mov_b32 s1, exec_lo
                                        ; implicit-def: $vgpr3
	s_delay_alu instid0(VALU_DEP_1) | instskip(NEXT) | instid1(VALU_DEP_1)
	v_and_b32_e32 v6, 0x7fffffff, v2
	v_cmpx_gt_u32_e32 0x47800000, v6
	s_xor_b32 s1, exec_lo, s1
	s_cbranch_execz .LBB8_2176
; %bb.2171:
	s_mov_b32 s4, exec_lo
                                        ; implicit-def: $vgpr3
	v_cmpx_lt_u32_e32 0x387fffff, v6
	s_xor_b32 s4, exec_lo, s4
; %bb.2172:
	v_bfe_u32 v3, v2, 21, 1
	s_delay_alu instid0(VALU_DEP_1) | instskip(NEXT) | instid1(VALU_DEP_1)
	v_add3_u32 v3, v2, v3, 0x80fffff
	v_lshrrev_b32_e32 v3, 21, v3
; %bb.2173:
	s_and_not1_saveexec_b32 s4, s4
; %bb.2174:
	v_add_f32_e64 v3, 0x43000000, |v2|
; %bb.2175:
	s_or_b32 exec_lo, exec_lo, s4
                                        ; implicit-def: $vgpr6
.LBB8_2176:
	s_and_not1_saveexec_b32 s1, s1
; %bb.2177:
	v_mov_b32_e32 v3, 0x7f
	v_cmp_lt_u32_e32 vcc_lo, 0x7f800000, v6
	s_delay_alu instid0(VALU_DEP_2)
	v_cndmask_b32_e32 v3, 0x7c, v3, vcc_lo
; %bb.2178:
	s_or_b32 exec_lo, exec_lo, s1
	v_lshrrev_b32_e32 v2, 24, v2
	s_delay_alu instid0(VALU_DEP_1)
	v_and_or_b32 v2, 0x80, v2, v3
	global_store_b8 v[4:5], v2, off
.LBB8_2179:
	s_mov_b32 s1, 0
.LBB8_2180:
	s_delay_alu instid0(SALU_CYCLE_1)
	s_and_not1_b32 vcc_lo, exec_lo, s1
	s_mov_b32 s1, 0
	s_cbranch_vccnz .LBB8_2187
; %bb.2181:
	v_cmp_gt_i16_e64 s1, s3, 14
	s_delay_alu instid0(VALU_DEP_1)
	s_and_b32 vcc_lo, exec_lo, s1
	s_mov_b32 s1, -1
	s_cbranch_vccz .LBB8_2185
; %bb.2182:
	v_cmp_eq_u16_e64 s0, s3, 15
	s_delay_alu instid0(VALU_DEP_1)
	s_and_b32 vcc_lo, exec_lo, s0
	s_mov_b32 s0, -1
	s_cbranch_vccz .LBB8_2184
; %bb.2183:
	v_cvt_f32_f64_e32 v2, v[0:1]
	s_mov_b32 s0, 0
	s_delay_alu instid0(VALU_DEP_1) | instskip(SKIP_1) | instid1(VALU_DEP_2)
	v_bfe_u32 v3, v2, 16, 1
	v_cmp_o_f32_e32 vcc_lo, v2, v2
	v_add3_u32 v3, v2, v3, 0x7fff
	s_delay_alu instid0(VALU_DEP_1) | instskip(NEXT) | instid1(VALU_DEP_1)
	v_lshrrev_b32_e32 v3, 16, v3
	v_cndmask_b32_e32 v2, 0x7fc0, v3, vcc_lo
	global_store_b16 v[4:5], v2, off
.LBB8_2184:
	s_mov_b32 s1, 0
.LBB8_2185:
	s_delay_alu instid0(SALU_CYCLE_1)
	s_and_b32 vcc_lo, exec_lo, s1
	s_mov_b32 s1, 0
	s_cbranch_vccz .LBB8_2187
; %bb.2186:
	v_cmp_ne_u16_e64 s0, s3, 11
	s_mov_b32 s1, -1
.LBB8_2187:
	s_delay_alu instid0(VALU_DEP_1)
	s_and_b32 vcc_lo, exec_lo, s0
	s_cbranch_vccnz .LBB8_2193
.LBB8_2188:
	s_mov_b32 s0, 0
	s_branch .LBB8_2066
.LBB8_2189:
	s_or_saveexec_b32 s6, s6
                                        ; implicit-def: $sgpr7
	s_delay_alu instid0(SALU_CYCLE_1)
	s_xor_b32 exec_lo, exec_lo, s6
	s_cbranch_execz .LBB8_2142
.LBB8_2190:
	v_add_f32_e64 v3, 0x46000000, |v2|
	s_and_not1_b32 s5, s5, exec_lo
	s_mov_b32 s7, 0
	s_delay_alu instid0(VALU_DEP_1) | instskip(NEXT) | instid1(VALU_DEP_1)
	v_and_b32_e32 v3, 0xff, v3
	v_cmp_ne_u32_e32 vcc_lo, 0, v3
	s_and_b32 s8, vcc_lo, exec_lo
	s_delay_alu instid0(SALU_CYCLE_1)
	s_or_b32 s5, s5, s8
	s_or_b32 exec_lo, exec_lo, s6
	v_mov_b32_e32 v6, s7
	s_and_saveexec_b32 s6, s5
	s_cbranch_execnz .LBB8_2143
	s_branch .LBB8_2144
.LBB8_2191:
	s_trap 2
	s_sendmsg_rtn_b32 s0, sendmsg(MSG_RTN_GET_DOORBELL)
	s_mov_b32 ttmp2, m0
	s_waitcnt lgkmcnt(0)
	s_and_b32 s0, s0, 0x3ff
	s_delay_alu instid0(SALU_CYCLE_1) | instskip(NEXT) | instid1(SALU_CYCLE_1)
	s_bitset1_b32 s0, 10
	s_mov_b32 m0, s0
	s_sendmsg sendmsg(MSG_INTERRUPT)
	s_mov_b32 m0, ttmp2
.LBB8_2192:                             ; =>This Inner Loop Header: Depth=1
	s_sethalt 5
	s_branch .LBB8_2192
.LBB8_2193:
	s_cbranch_execnz .LBB8_2197
; %bb.2194:
	s_mov_b32 s1, 0
	s_or_b32 s2, s2, exec_lo
	s_branch .LBB8_2188
.LBB8_2195:
	s_or_saveexec_b32 s5, s5
                                        ; implicit-def: $sgpr6
	s_delay_alu instid0(SALU_CYCLE_1)
	s_xor_b32 exec_lo, exec_lo, s5
	s_cbranch_execz .LBB8_2154
.LBB8_2196:
	v_add_f32_e64 v3, 0x42800000, |v2|
	s_and_not1_b32 s4, s4, exec_lo
	s_mov_b32 s6, 0
	s_delay_alu instid0(VALU_DEP_1) | instskip(NEXT) | instid1(VALU_DEP_1)
	v_and_b32_e32 v3, 0xff, v3
	v_cmp_ne_u32_e32 vcc_lo, 0, v3
	s_and_b32 s7, vcc_lo, exec_lo
	s_delay_alu instid0(SALU_CYCLE_1)
	s_or_b32 s4, s4, s7
	s_or_b32 exec_lo, exec_lo, s5
	v_mov_b32_e32 v6, s6
	s_and_saveexec_b32 s5, s4
	s_cbranch_execnz .LBB8_2155
	s_branch .LBB8_2156
.LBB8_2197:
	s_trap 2
	s_sendmsg_rtn_b32 s0, sendmsg(MSG_RTN_GET_DOORBELL)
	s_mov_b32 ttmp2, m0
	s_waitcnt lgkmcnt(0)
	s_and_b32 s0, s0, 0x3ff
	s_delay_alu instid0(SALU_CYCLE_1) | instskip(NEXT) | instid1(SALU_CYCLE_1)
	s_bitset1_b32 s0, 10
	s_mov_b32 m0, s0
	s_sendmsg sendmsg(MSG_INTERRUPT)
	s_mov_b32 m0, ttmp2
.LBB8_2198:                             ; =>This Inner Loop Header: Depth=1
	s_sethalt 5
	s_branch .LBB8_2198
	.section	.rodata,"a",@progbits
	.p2align	6, 0x0
	.amdhsa_kernel _ZN2at6native32elementwise_kernel_manual_unrollILi128ELi4EZNS0_15gpu_kernel_implIZZZNS0_12_GLOBAL__N_139_amp_non_finite_check_and_unscale_cuda_ERNS_6TensorES5_RKS4_ENKUlvE_clEvENKUlvE_clEvEUldE_EEvRNS_18TensorIteratorBaseERKT_EUlibE0_EEviT1_
		.amdhsa_group_segment_fixed_size 0
		.amdhsa_private_segment_fixed_size 0
		.amdhsa_kernarg_size 376
		.amdhsa_user_sgpr_count 15
		.amdhsa_user_sgpr_dispatch_ptr 0
		.amdhsa_user_sgpr_queue_ptr 0
		.amdhsa_user_sgpr_kernarg_segment_ptr 1
		.amdhsa_user_sgpr_dispatch_id 0
		.amdhsa_user_sgpr_private_segment_size 0
		.amdhsa_wavefront_size32 1
		.amdhsa_uses_dynamic_stack 0
		.amdhsa_enable_private_segment 0
		.amdhsa_system_sgpr_workgroup_id_x 1
		.amdhsa_system_sgpr_workgroup_id_y 0
		.amdhsa_system_sgpr_workgroup_id_z 0
		.amdhsa_system_sgpr_workgroup_info 0
		.amdhsa_system_vgpr_workitem_id 0
		.amdhsa_next_free_vgpr 27
		.amdhsa_next_free_sgpr 72
		.amdhsa_reserve_vcc 1
		.amdhsa_float_round_mode_32 0
		.amdhsa_float_round_mode_16_64 0
		.amdhsa_float_denorm_mode_32 3
		.amdhsa_float_denorm_mode_16_64 3
		.amdhsa_dx10_clamp 1
		.amdhsa_ieee_mode 1
		.amdhsa_fp16_overflow 0
		.amdhsa_workgroup_processor_mode 1
		.amdhsa_memory_ordered 1
		.amdhsa_forward_progress 0
		.amdhsa_shared_vgpr_count 0
		.amdhsa_exception_fp_ieee_invalid_op 0
		.amdhsa_exception_fp_denorm_src 0
		.amdhsa_exception_fp_ieee_div_zero 0
		.amdhsa_exception_fp_ieee_overflow 0
		.amdhsa_exception_fp_ieee_underflow 0
		.amdhsa_exception_fp_ieee_inexact 0
		.amdhsa_exception_int_div_zero 0
	.end_amdhsa_kernel
	.section	.text._ZN2at6native32elementwise_kernel_manual_unrollILi128ELi4EZNS0_15gpu_kernel_implIZZZNS0_12_GLOBAL__N_139_amp_non_finite_check_and_unscale_cuda_ERNS_6TensorES5_RKS4_ENKUlvE_clEvENKUlvE_clEvEUldE_EEvRNS_18TensorIteratorBaseERKT_EUlibE0_EEviT1_,"axG",@progbits,_ZN2at6native32elementwise_kernel_manual_unrollILi128ELi4EZNS0_15gpu_kernel_implIZZZNS0_12_GLOBAL__N_139_amp_non_finite_check_and_unscale_cuda_ERNS_6TensorES5_RKS4_ENKUlvE_clEvENKUlvE_clEvEUldE_EEvRNS_18TensorIteratorBaseERKT_EUlibE0_EEviT1_,comdat
.Lfunc_end8:
	.size	_ZN2at6native32elementwise_kernel_manual_unrollILi128ELi4EZNS0_15gpu_kernel_implIZZZNS0_12_GLOBAL__N_139_amp_non_finite_check_and_unscale_cuda_ERNS_6TensorES5_RKS4_ENKUlvE_clEvENKUlvE_clEvEUldE_EEvRNS_18TensorIteratorBaseERKT_EUlibE0_EEviT1_, .Lfunc_end8-_ZN2at6native32elementwise_kernel_manual_unrollILi128ELi4EZNS0_15gpu_kernel_implIZZZNS0_12_GLOBAL__N_139_amp_non_finite_check_and_unscale_cuda_ERNS_6TensorES5_RKS4_ENKUlvE_clEvENKUlvE_clEvEUldE_EEvRNS_18TensorIteratorBaseERKT_EUlibE0_EEviT1_
                                        ; -- End function
	.section	.AMDGPU.csdata,"",@progbits
; Kernel info:
; codeLenInByte = 43356
; NumSgprs: 74
; NumVgprs: 27
; ScratchSize: 0
; MemoryBound: 1
; FloatMode: 240
; IeeeMode: 1
; LDSByteSize: 0 bytes/workgroup (compile time only)
; SGPRBlocks: 9
; VGPRBlocks: 3
; NumSGPRsForWavesPerEU: 74
; NumVGPRsForWavesPerEU: 27
; Occupancy: 16
; WaveLimiterHint : 1
; COMPUTE_PGM_RSRC2:SCRATCH_EN: 0
; COMPUTE_PGM_RSRC2:USER_SGPR: 15
; COMPUTE_PGM_RSRC2:TRAP_HANDLER: 0
; COMPUTE_PGM_RSRC2:TGID_X_EN: 1
; COMPUTE_PGM_RSRC2:TGID_Y_EN: 0
; COMPUTE_PGM_RSRC2:TGID_Z_EN: 0
; COMPUTE_PGM_RSRC2:TIDIG_COMP_CNT: 0
	.section	.text._ZN2at6native29vectorized_elementwise_kernelILi16EZZZNS0_12_GLOBAL__N_139_amp_non_finite_check_and_unscale_cuda_ERNS_6TensorES4_RKS3_ENKUlvE_clEvENKUlvE0_clEvEUlfE_St5arrayIPcLm2EEEEviT0_T1_,"axG",@progbits,_ZN2at6native29vectorized_elementwise_kernelILi16EZZZNS0_12_GLOBAL__N_139_amp_non_finite_check_and_unscale_cuda_ERNS_6TensorES4_RKS3_ENKUlvE_clEvENKUlvE0_clEvEUlfE_St5arrayIPcLm2EEEEviT0_T1_,comdat
	.globl	_ZN2at6native29vectorized_elementwise_kernelILi16EZZZNS0_12_GLOBAL__N_139_amp_non_finite_check_and_unscale_cuda_ERNS_6TensorES4_RKS3_ENKUlvE_clEvENKUlvE0_clEvEUlfE_St5arrayIPcLm2EEEEviT0_T1_ ; -- Begin function _ZN2at6native29vectorized_elementwise_kernelILi16EZZZNS0_12_GLOBAL__N_139_amp_non_finite_check_and_unscale_cuda_ERNS_6TensorES4_RKS3_ENKUlvE_clEvENKUlvE0_clEvEUlfE_St5arrayIPcLm2EEEEviT0_T1_
	.p2align	8
	.type	_ZN2at6native29vectorized_elementwise_kernelILi16EZZZNS0_12_GLOBAL__N_139_amp_non_finite_check_and_unscale_cuda_ERNS_6TensorES4_RKS3_ENKUlvE_clEvENKUlvE0_clEvEUlfE_St5arrayIPcLm2EEEEviT0_T1_,@function
_ZN2at6native29vectorized_elementwise_kernelILi16EZZZNS0_12_GLOBAL__N_139_amp_non_finite_check_and_unscale_cuda_ERNS_6TensorES4_RKS3_ENKUlvE_clEvENKUlvE0_clEvEUlfE_St5arrayIPcLm2EEEEviT0_T1_: ; @_ZN2at6native29vectorized_elementwise_kernelILi16EZZZNS0_12_GLOBAL__N_139_amp_non_finite_check_and_unscale_cuda_ERNS_6TensorES4_RKS3_ENKUlvE_clEvENKUlvE0_clEvEUlfE_St5arrayIPcLm2EEEEviT0_T1_
; %bb.0:
	s_clause 0x1
	s_load_b32 s3, s[0:1], 0x0
	s_load_b256 s[4:11], s[0:1], 0x8
	s_lshl_b32 s2, s15, 10
	s_mov_b32 s0, -1
	s_waitcnt lgkmcnt(0)
	s_sub_i32 s12, s3, s2
	s_delay_alu instid0(SALU_CYCLE_1)
	s_cmpk_gt_i32 s12, 0x3ff
	s_cbranch_scc0 .LBB9_10
; %bb.1:
	s_ashr_i32 s3, s2, 31
	v_dual_mov_b32 v6, 0 :: v_dual_lshlrev_b32 v5, 4, v0
	s_lshl_b64 s[0:1], s[2:3], 2
	s_mov_b32 s3, exec_lo
	s_add_u32 s14, s10, s0
	s_addc_u32 s15, s11, s1
	global_load_b128 v[1:4], v5, s[14:15]
	s_waitcnt vmcnt(0)
	v_cmpx_nlg_f32_e64 0x7f800000, |v1|
	s_cbranch_execz .LBB9_3
; %bb.2:
	v_mov_b32_e32 v7, 1.0
	global_store_b32 v6, v7, s[4:5]
.LBB9_3:
	s_or_b32 exec_lo, exec_lo, s3
	global_load_b32 v6, v6, s[6:7]
	s_mov_b32 s3, exec_lo
	s_waitcnt vmcnt(0)
	v_mov_b32_e32 v7, v6
	v_cmpx_nlg_f32_e64 0x7f800000, |v2|
	s_cbranch_execz .LBB9_5
; %bb.4:
	v_dual_mov_b32 v7, 0 :: v_dual_mov_b32 v8, 1.0
	global_store_b32 v7, v8, s[4:5]
	global_load_b32 v7, v7, s[6:7]
.LBB9_5:
	s_or_b32 exec_lo, exec_lo, s3
	s_waitcnt vmcnt(0)
	v_mov_b32_e32 v8, v7
	s_mov_b32 s3, exec_lo
	v_cmpx_nlg_f32_e64 0x7f800000, |v3|
	s_cbranch_execz .LBB9_7
; %bb.6:
	v_dual_mov_b32 v8, 0 :: v_dual_mov_b32 v9, 1.0
	global_store_b32 v8, v9, s[4:5]
	global_load_b32 v8, v8, s[6:7]
.LBB9_7:
	s_or_b32 exec_lo, exec_lo, s3
	s_waitcnt vmcnt(0)
	v_mov_b32_e32 v9, v8
	s_mov_b32 s3, exec_lo
	v_cmpx_nlg_f32_e64 0x7f800000, |v4|
	s_cbranch_execz .LBB9_9
; %bb.8:
	v_dual_mov_b32 v9, 0 :: v_dual_mov_b32 v10, 1.0
	global_store_b32 v9, v10, s[4:5]
	global_load_b32 v9, v9, s[6:7]
.LBB9_9:
	s_or_b32 exec_lo, exec_lo, s3
	v_dual_mul_f32 v10, v3, v8 :: v_dual_mul_f32 v11, v2, v7
	v_cmp_eq_f32_e32 vcc_lo, 1.0, v8
	s_waitcnt vmcnt(0)
	v_dual_mul_f32 v12, v1, v6 :: v_dual_mul_f32 v13, v4, v9
	s_add_u32 s14, s8, s0
	s_addc_u32 s15, s9, s1
	v_cndmask_b32_e32 v3, v10, v3, vcc_lo
	v_cmp_eq_f32_e32 vcc_lo, 1.0, v7
	s_mov_b32 s0, 0
	v_cndmask_b32_e32 v2, v11, v2, vcc_lo
	v_cmp_eq_f32_e32 vcc_lo, 1.0, v6
	v_cndmask_b32_e32 v1, v12, v1, vcc_lo
	v_cmp_eq_f32_e32 vcc_lo, 1.0, v9
	v_cndmask_b32_e32 v4, v13, v4, vcc_lo
	global_store_b128 v5, v[1:4], s[14:15]
.LBB9_10:
	s_and_b32 vcc_lo, exec_lo, s0
	s_cbranch_vccz .LBB9_37
; %bb.11:
	v_cmp_gt_i32_e32 vcc_lo, s12, v0
	v_dual_mov_b32 v8, 0 :: v_dual_mov_b32 v1, v0
	v_or_b32_e32 v5, s2, v0
	v_or_b32_e32 v7, 0x100, v0
	v_mov_b32_e32 v10, 0
	s_and_saveexec_b32 s1, vcc_lo
	s_cbranch_execz .LBB9_13
; %bb.12:
	v_mov_b32_e32 v6, 0
	s_delay_alu instid0(VALU_DEP_1) | instskip(NEXT) | instid1(VALU_DEP_1)
	v_lshlrev_b64 v[1:2], 2, v[5:6]
	v_add_co_u32 v1, s0, s10, v1
	s_delay_alu instid0(VALU_DEP_1)
	v_add_co_ci_u32_e64 v2, s0, s11, v2, s0
	global_load_b32 v10, v[1:2], off
	v_or_b32_e32 v1, 0x100, v0
.LBB9_13:
	s_or_b32 exec_lo, exec_lo, s1
	s_delay_alu instid0(SALU_CYCLE_1) | instskip(NEXT) | instid1(VALU_DEP_1)
	s_mov_b32 s1, exec_lo
	v_cmpx_gt_i32_e64 s12, v1
	s_cbranch_execz .LBB9_15
; %bb.14:
	v_dual_mov_b32 v3, 0 :: v_dual_add_nc_u32 v2, s2, v1
	v_add_nc_u32_e32 v1, 0x100, v1
	s_delay_alu instid0(VALU_DEP_2) | instskip(NEXT) | instid1(VALU_DEP_1)
	v_lshlrev_b64 v[2:3], 2, v[2:3]
	v_add_co_u32 v2, s0, s10, v2
	s_delay_alu instid0(VALU_DEP_1)
	v_add_co_ci_u32_e64 v3, s0, s11, v3, s0
	global_load_b32 v8, v[2:3], off
.LBB9_15:
	s_or_b32 exec_lo, exec_lo, s1
	v_dual_mov_b32 v6, 0 :: v_dual_mov_b32 v9, 0
	s_mov_b32 s1, exec_lo
	v_cmpx_gt_i32_e64 s12, v1
	s_cbranch_execnz .LBB9_19
; %bb.16:
	s_or_b32 exec_lo, exec_lo, s1
	s_delay_alu instid0(SALU_CYCLE_1)
	s_mov_b32 s1, exec_lo
	v_cmpx_gt_i32_e64 s12, v1
	s_cbranch_execnz .LBB9_20
.LBB9_17:
	s_or_b32 exec_lo, exec_lo, s1
                                        ; implicit-def: $vgpr1_vgpr2_vgpr3_vgpr4
	s_and_saveexec_b32 s1, vcc_lo
	s_cbranch_execnz .LBB9_21
.LBB9_18:
	s_or_b32 exec_lo, exec_lo, s1
	s_delay_alu instid0(SALU_CYCLE_1)
	s_mov_b32 s1, exec_lo
	v_cmpx_gt_i32_e64 s12, v7
	s_cbranch_execnz .LBB9_24
	s_branch .LBB9_27
.LBB9_19:
	v_dual_mov_b32 v3, 0 :: v_dual_add_nc_u32 v2, s2, v1
	v_add_nc_u32_e32 v1, 0x100, v1
	s_delay_alu instid0(VALU_DEP_2) | instskip(NEXT) | instid1(VALU_DEP_1)
	v_lshlrev_b64 v[2:3], 2, v[2:3]
	v_add_co_u32 v2, s0, s10, v2
	s_delay_alu instid0(VALU_DEP_1) | instskip(SKIP_2) | instid1(SALU_CYCLE_1)
	v_add_co_ci_u32_e64 v3, s0, s11, v3, s0
	global_load_b32 v9, v[2:3], off
	s_or_b32 exec_lo, exec_lo, s1
	s_mov_b32 s1, exec_lo
	v_cmpx_gt_i32_e64 s12, v1
	s_cbranch_execz .LBB9_17
.LBB9_20:
	v_dual_mov_b32 v2, 0 :: v_dual_add_nc_u32 v1, s2, v1
	s_delay_alu instid0(VALU_DEP_1) | instskip(NEXT) | instid1(VALU_DEP_1)
	v_lshlrev_b64 v[1:2], 2, v[1:2]
	v_add_co_u32 v1, s0, s10, v1
	s_delay_alu instid0(VALU_DEP_1)
	v_add_co_ci_u32_e64 v2, s0, s11, v2, s0
	global_load_b32 v6, v[1:2], off
	s_or_b32 exec_lo, exec_lo, s1
                                        ; implicit-def: $vgpr1_vgpr2_vgpr3_vgpr4
	s_and_saveexec_b32 s1, vcc_lo
	s_cbranch_execz .LBB9_18
.LBB9_21:
	s_mov_b32 s0, exec_lo
	s_waitcnt vmcnt(0)
	v_cmpx_nlg_f32_e64 0x7f800000, |v10|
	s_cbranch_execz .LBB9_23
; %bb.22:
	v_dual_mov_b32 v1, 0 :: v_dual_mov_b32 v2, 1.0
	global_store_b32 v1, v2, s[4:5]
.LBB9_23:
	s_or_b32 exec_lo, exec_lo, s0
	v_mov_b32_e32 v1, 0
	global_load_b32 v1, v1, s[6:7]
	s_waitcnt vmcnt(0)
	v_mul_f32_e32 v2, v10, v1
	v_cmp_eq_f32_e64 s0, 1.0, v1
	s_delay_alu instid0(VALU_DEP_1) | instskip(SKIP_1) | instid1(SALU_CYCLE_1)
	v_cndmask_b32_e64 v1, v2, v10, s0
	s_or_b32 exec_lo, exec_lo, s1
	s_mov_b32 s1, exec_lo
	v_cmpx_gt_i32_e64 s12, v7
	s_cbranch_execz .LBB9_27
.LBB9_24:
	s_mov_b32 s0, exec_lo
	s_waitcnt vmcnt(0)
	v_cmpx_nlg_f32_e64 0x7f800000, |v8|
	s_cbranch_execz .LBB9_26
; %bb.25:
	v_mov_b32_e32 v2, 0
	v_mov_b32_e32 v10, 1.0
	global_store_b32 v2, v10, s[4:5]
.LBB9_26:
	s_or_b32 exec_lo, exec_lo, s0
	v_mov_b32_e32 v2, 0
	global_load_b32 v2, v2, s[6:7]
	s_waitcnt vmcnt(0)
	v_mul_f32_e32 v10, v8, v2
	v_cmp_eq_f32_e64 s0, 1.0, v2
	s_delay_alu instid0(VALU_DEP_1)
	v_cndmask_b32_e64 v2, v10, v8, s0
.LBB9_27:
	s_or_b32 exec_lo, exec_lo, s1
	s_waitcnt vmcnt(0)
	v_or_b32_e32 v8, 0x200, v0
	s_mov_b32 s1, exec_lo
	s_delay_alu instid0(VALU_DEP_1)
	v_cmpx_gt_i32_e64 s12, v8
	s_cbranch_execz .LBB9_31
; %bb.28:
	s_mov_b32 s0, exec_lo
	v_cmpx_nlg_f32_e64 0x7f800000, |v9|
	s_cbranch_execz .LBB9_30
; %bb.29:
	v_dual_mov_b32 v3, 0 :: v_dual_mov_b32 v8, 1.0
	global_store_b32 v3, v8, s[4:5]
.LBB9_30:
	s_or_b32 exec_lo, exec_lo, s0
	v_mov_b32_e32 v3, 0
	global_load_b32 v3, v3, s[6:7]
	s_waitcnt vmcnt(0)
	v_mul_f32_e32 v8, v9, v3
	v_cmp_eq_f32_e64 s0, 1.0, v3
	s_delay_alu instid0(VALU_DEP_1)
	v_cndmask_b32_e64 v3, v8, v9, s0
.LBB9_31:
	s_or_b32 exec_lo, exec_lo, s1
	v_or_b32_e32 v8, 0x300, v0
	s_mov_b32 s1, exec_lo
	s_delay_alu instid0(VALU_DEP_1)
	v_cmpx_gt_i32_e64 s12, v8
	s_cbranch_execnz .LBB9_38
; %bb.32:
	s_or_b32 exec_lo, exec_lo, s1
	s_and_saveexec_b32 s0, vcc_lo
	s_delay_alu instid0(SALU_CYCLE_1)
	s_xor_b32 s0, exec_lo, s0
	s_cbranch_execnz .LBB9_41
.LBB9_33:
	s_or_b32 exec_lo, exec_lo, s0
	s_delay_alu instid0(SALU_CYCLE_1)
	s_mov_b32 s0, exec_lo
	v_cmpx_gt_i32_e64 s12, v0
	s_cbranch_execnz .LBB9_42
.LBB9_34:
	s_or_b32 exec_lo, exec_lo, s0
	s_delay_alu instid0(SALU_CYCLE_1)
	s_mov_b32 s0, exec_lo
	v_cmpx_gt_i32_e64 s12, v0
	s_cbranch_execnz .LBB9_43
.LBB9_35:
	s_or_b32 exec_lo, exec_lo, s0
	s_delay_alu instid0(SALU_CYCLE_1)
	s_mov_b32 s0, exec_lo
	v_cmpx_gt_i32_e64 s12, v0
	s_cbranch_execz .LBB9_37
.LBB9_36:
	v_dual_mov_b32 v1, 0 :: v_dual_add_nc_u32 v0, s2, v0
	s_delay_alu instid0(VALU_DEP_1) | instskip(NEXT) | instid1(VALU_DEP_1)
	v_lshlrev_b64 v[0:1], 2, v[0:1]
	v_add_co_u32 v0, vcc_lo, s8, v0
	s_delay_alu instid0(VALU_DEP_2)
	v_add_co_ci_u32_e32 v1, vcc_lo, s9, v1, vcc_lo
	global_store_b32 v[0:1], v4, off
.LBB9_37:
	s_nop 0
	s_sendmsg sendmsg(MSG_DEALLOC_VGPRS)
	s_endpgm
.LBB9_38:
	s_mov_b32 s0, exec_lo
	v_cmpx_nlg_f32_e64 0x7f800000, |v6|
	s_cbranch_execz .LBB9_40
; %bb.39:
	v_mov_b32_e32 v4, 0
	v_mov_b32_e32 v8, 1.0
	global_store_b32 v4, v8, s[4:5]
.LBB9_40:
	s_or_b32 exec_lo, exec_lo, s0
	v_mov_b32_e32 v4, 0
	global_load_b32 v4, v4, s[6:7]
	s_waitcnt vmcnt(0)
	v_mul_f32_e32 v8, v6, v4
	v_cmp_eq_f32_e64 s0, 1.0, v4
	s_delay_alu instid0(VALU_DEP_1) | instskip(SKIP_2) | instid1(SALU_CYCLE_1)
	v_cndmask_b32_e64 v4, v8, v6, s0
	s_or_b32 exec_lo, exec_lo, s1
	s_and_saveexec_b32 s0, vcc_lo
	s_xor_b32 s0, exec_lo, s0
	s_cbranch_execz .LBB9_33
.LBB9_41:
	v_mov_b32_e32 v6, 0
	v_mov_b32_e32 v0, v7
	s_delay_alu instid0(VALU_DEP_2) | instskip(NEXT) | instid1(VALU_DEP_1)
	v_lshlrev_b64 v[5:6], 2, v[5:6]
	v_add_co_u32 v5, vcc_lo, s8, v5
	s_delay_alu instid0(VALU_DEP_2) | instskip(SKIP_2) | instid1(SALU_CYCLE_1)
	v_add_co_ci_u32_e32 v6, vcc_lo, s9, v6, vcc_lo
	global_store_b32 v[5:6], v1, off
	s_or_b32 exec_lo, exec_lo, s0
	s_mov_b32 s0, exec_lo
	v_cmpx_gt_i32_e64 s12, v0
	s_cbranch_execz .LBB9_34
.LBB9_42:
	v_dual_mov_b32 v6, 0 :: v_dual_add_nc_u32 v5, s2, v0
	v_add_nc_u32_e32 v0, 0x100, v0
	s_delay_alu instid0(VALU_DEP_2) | instskip(NEXT) | instid1(VALU_DEP_1)
	v_lshlrev_b64 v[5:6], 2, v[5:6]
	v_add_co_u32 v5, vcc_lo, s8, v5
	s_delay_alu instid0(VALU_DEP_2) | instskip(SKIP_2) | instid1(SALU_CYCLE_1)
	v_add_co_ci_u32_e32 v6, vcc_lo, s9, v6, vcc_lo
	global_store_b32 v[5:6], v2, off
	s_or_b32 exec_lo, exec_lo, s0
	s_mov_b32 s0, exec_lo
	v_cmpx_gt_i32_e64 s12, v0
	s_cbranch_execz .LBB9_35
.LBB9_43:
	v_dual_mov_b32 v2, 0 :: v_dual_add_nc_u32 v1, s2, v0
	v_add_nc_u32_e32 v0, 0x100, v0
	s_delay_alu instid0(VALU_DEP_2) | instskip(NEXT) | instid1(VALU_DEP_1)
	v_lshlrev_b64 v[1:2], 2, v[1:2]
	v_add_co_u32 v1, vcc_lo, s8, v1
	s_delay_alu instid0(VALU_DEP_2) | instskip(SKIP_2) | instid1(SALU_CYCLE_1)
	v_add_co_ci_u32_e32 v2, vcc_lo, s9, v2, vcc_lo
	global_store_b32 v[1:2], v3, off
	s_or_b32 exec_lo, exec_lo, s0
	s_mov_b32 s0, exec_lo
	v_cmpx_gt_i32_e64 s12, v0
	s_cbranch_execnz .LBB9_36
	s_branch .LBB9_37
	.section	.rodata,"a",@progbits
	.p2align	6, 0x0
	.amdhsa_kernel _ZN2at6native29vectorized_elementwise_kernelILi16EZZZNS0_12_GLOBAL__N_139_amp_non_finite_check_and_unscale_cuda_ERNS_6TensorES4_RKS3_ENKUlvE_clEvENKUlvE0_clEvEUlfE_St5arrayIPcLm2EEEEviT0_T1_
		.amdhsa_group_segment_fixed_size 0
		.amdhsa_private_segment_fixed_size 0
		.amdhsa_kernarg_size 40
		.amdhsa_user_sgpr_count 15
		.amdhsa_user_sgpr_dispatch_ptr 0
		.amdhsa_user_sgpr_queue_ptr 0
		.amdhsa_user_sgpr_kernarg_segment_ptr 1
		.amdhsa_user_sgpr_dispatch_id 0
		.amdhsa_user_sgpr_private_segment_size 0
		.amdhsa_wavefront_size32 1
		.amdhsa_uses_dynamic_stack 0
		.amdhsa_enable_private_segment 0
		.amdhsa_system_sgpr_workgroup_id_x 1
		.amdhsa_system_sgpr_workgroup_id_y 0
		.amdhsa_system_sgpr_workgroup_id_z 0
		.amdhsa_system_sgpr_workgroup_info 0
		.amdhsa_system_vgpr_workitem_id 0
		.amdhsa_next_free_vgpr 14
		.amdhsa_next_free_sgpr 16
		.amdhsa_reserve_vcc 1
		.amdhsa_float_round_mode_32 0
		.amdhsa_float_round_mode_16_64 0
		.amdhsa_float_denorm_mode_32 3
		.amdhsa_float_denorm_mode_16_64 3
		.amdhsa_dx10_clamp 1
		.amdhsa_ieee_mode 1
		.amdhsa_fp16_overflow 0
		.amdhsa_workgroup_processor_mode 1
		.amdhsa_memory_ordered 1
		.amdhsa_forward_progress 0
		.amdhsa_shared_vgpr_count 0
		.amdhsa_exception_fp_ieee_invalid_op 0
		.amdhsa_exception_fp_denorm_src 0
		.amdhsa_exception_fp_ieee_div_zero 0
		.amdhsa_exception_fp_ieee_overflow 0
		.amdhsa_exception_fp_ieee_underflow 0
		.amdhsa_exception_fp_ieee_inexact 0
		.amdhsa_exception_int_div_zero 0
	.end_amdhsa_kernel
	.section	.text._ZN2at6native29vectorized_elementwise_kernelILi16EZZZNS0_12_GLOBAL__N_139_amp_non_finite_check_and_unscale_cuda_ERNS_6TensorES4_RKS3_ENKUlvE_clEvENKUlvE0_clEvEUlfE_St5arrayIPcLm2EEEEviT0_T1_,"axG",@progbits,_ZN2at6native29vectorized_elementwise_kernelILi16EZZZNS0_12_GLOBAL__N_139_amp_non_finite_check_and_unscale_cuda_ERNS_6TensorES4_RKS3_ENKUlvE_clEvENKUlvE0_clEvEUlfE_St5arrayIPcLm2EEEEviT0_T1_,comdat
.Lfunc_end9:
	.size	_ZN2at6native29vectorized_elementwise_kernelILi16EZZZNS0_12_GLOBAL__N_139_amp_non_finite_check_and_unscale_cuda_ERNS_6TensorES4_RKS3_ENKUlvE_clEvENKUlvE0_clEvEUlfE_St5arrayIPcLm2EEEEviT0_T1_, .Lfunc_end9-_ZN2at6native29vectorized_elementwise_kernelILi16EZZZNS0_12_GLOBAL__N_139_amp_non_finite_check_and_unscale_cuda_ERNS_6TensorES4_RKS3_ENKUlvE_clEvENKUlvE0_clEvEUlfE_St5arrayIPcLm2EEEEviT0_T1_
                                        ; -- End function
	.section	.AMDGPU.csdata,"",@progbits
; Kernel info:
; codeLenInByte = 1564
; NumSgprs: 18
; NumVgprs: 14
; ScratchSize: 0
; MemoryBound: 0
; FloatMode: 240
; IeeeMode: 1
; LDSByteSize: 0 bytes/workgroup (compile time only)
; SGPRBlocks: 2
; VGPRBlocks: 1
; NumSGPRsForWavesPerEU: 18
; NumVGPRsForWavesPerEU: 14
; Occupancy: 16
; WaveLimiterHint : 0
; COMPUTE_PGM_RSRC2:SCRATCH_EN: 0
; COMPUTE_PGM_RSRC2:USER_SGPR: 15
; COMPUTE_PGM_RSRC2:TRAP_HANDLER: 0
; COMPUTE_PGM_RSRC2:TGID_X_EN: 1
; COMPUTE_PGM_RSRC2:TGID_Y_EN: 0
; COMPUTE_PGM_RSRC2:TGID_Z_EN: 0
; COMPUTE_PGM_RSRC2:TIDIG_COMP_CNT: 0
	.section	.text._ZN2at6native29vectorized_elementwise_kernelILi8EZZZNS0_12_GLOBAL__N_139_amp_non_finite_check_and_unscale_cuda_ERNS_6TensorES4_RKS3_ENKUlvE_clEvENKUlvE0_clEvEUlfE_St5arrayIPcLm2EEEEviT0_T1_,"axG",@progbits,_ZN2at6native29vectorized_elementwise_kernelILi8EZZZNS0_12_GLOBAL__N_139_amp_non_finite_check_and_unscale_cuda_ERNS_6TensorES4_RKS3_ENKUlvE_clEvENKUlvE0_clEvEUlfE_St5arrayIPcLm2EEEEviT0_T1_,comdat
	.globl	_ZN2at6native29vectorized_elementwise_kernelILi8EZZZNS0_12_GLOBAL__N_139_amp_non_finite_check_and_unscale_cuda_ERNS_6TensorES4_RKS3_ENKUlvE_clEvENKUlvE0_clEvEUlfE_St5arrayIPcLm2EEEEviT0_T1_ ; -- Begin function _ZN2at6native29vectorized_elementwise_kernelILi8EZZZNS0_12_GLOBAL__N_139_amp_non_finite_check_and_unscale_cuda_ERNS_6TensorES4_RKS3_ENKUlvE_clEvENKUlvE0_clEvEUlfE_St5arrayIPcLm2EEEEviT0_T1_
	.p2align	8
	.type	_ZN2at6native29vectorized_elementwise_kernelILi8EZZZNS0_12_GLOBAL__N_139_amp_non_finite_check_and_unscale_cuda_ERNS_6TensorES4_RKS3_ENKUlvE_clEvENKUlvE0_clEvEUlfE_St5arrayIPcLm2EEEEviT0_T1_,@function
_ZN2at6native29vectorized_elementwise_kernelILi8EZZZNS0_12_GLOBAL__N_139_amp_non_finite_check_and_unscale_cuda_ERNS_6TensorES4_RKS3_ENKUlvE_clEvENKUlvE0_clEvEUlfE_St5arrayIPcLm2EEEEviT0_T1_: ; @_ZN2at6native29vectorized_elementwise_kernelILi8EZZZNS0_12_GLOBAL__N_139_amp_non_finite_check_and_unscale_cuda_ERNS_6TensorES4_RKS3_ENKUlvE_clEvENKUlvE0_clEvEUlfE_St5arrayIPcLm2EEEEviT0_T1_
; %bb.0:
	s_clause 0x1
	s_load_b32 s3, s[0:1], 0x0
	s_load_b256 s[4:11], s[0:1], 0x8
	s_lshl_b32 s2, s15, 10
	s_mov_b32 s0, -1
	s_waitcnt lgkmcnt(0)
	s_sub_i32 s12, s3, s2
	s_delay_alu instid0(SALU_CYCLE_1)
	s_cmpk_gt_i32 s12, 0x3ff
	s_cbranch_scc0 .LBB10_10
; %bb.1:
	s_ashr_i32 s3, s2, 31
	v_dual_mov_b32 v6, 0 :: v_dual_lshlrev_b32 v5, 4, v0
	s_lshl_b64 s[0:1], s[2:3], 2
	s_mov_b32 s3, exec_lo
	s_add_u32 s14, s10, s0
	s_addc_u32 s15, s11, s1
	global_load_b128 v[1:4], v5, s[14:15]
	s_waitcnt vmcnt(0)
	v_cmpx_nlg_f32_e64 0x7f800000, |v1|
	s_cbranch_execz .LBB10_3
; %bb.2:
	v_mov_b32_e32 v7, 1.0
	global_store_b32 v6, v7, s[4:5]
.LBB10_3:
	s_or_b32 exec_lo, exec_lo, s3
	global_load_b32 v6, v6, s[6:7]
	s_mov_b32 s3, exec_lo
	s_waitcnt vmcnt(0)
	v_mov_b32_e32 v7, v6
	v_cmpx_nlg_f32_e64 0x7f800000, |v2|
	s_cbranch_execz .LBB10_5
; %bb.4:
	v_dual_mov_b32 v7, 0 :: v_dual_mov_b32 v8, 1.0
	global_store_b32 v7, v8, s[4:5]
	global_load_b32 v7, v7, s[6:7]
.LBB10_5:
	s_or_b32 exec_lo, exec_lo, s3
	s_waitcnt vmcnt(0)
	v_mov_b32_e32 v8, v7
	s_mov_b32 s3, exec_lo
	v_cmpx_nlg_f32_e64 0x7f800000, |v3|
	s_cbranch_execz .LBB10_7
; %bb.6:
	v_dual_mov_b32 v8, 0 :: v_dual_mov_b32 v9, 1.0
	global_store_b32 v8, v9, s[4:5]
	global_load_b32 v8, v8, s[6:7]
.LBB10_7:
	s_or_b32 exec_lo, exec_lo, s3
	s_waitcnt vmcnt(0)
	v_mov_b32_e32 v9, v8
	s_mov_b32 s3, exec_lo
	v_cmpx_nlg_f32_e64 0x7f800000, |v4|
	s_cbranch_execz .LBB10_9
; %bb.8:
	v_dual_mov_b32 v9, 0 :: v_dual_mov_b32 v10, 1.0
	global_store_b32 v9, v10, s[4:5]
	global_load_b32 v9, v9, s[6:7]
.LBB10_9:
	s_or_b32 exec_lo, exec_lo, s3
	v_dual_mul_f32 v10, v3, v8 :: v_dual_mul_f32 v11, v2, v7
	v_cmp_eq_f32_e32 vcc_lo, 1.0, v8
	s_waitcnt vmcnt(0)
	v_dual_mul_f32 v12, v1, v6 :: v_dual_mul_f32 v13, v4, v9
	s_add_u32 s14, s8, s0
	s_addc_u32 s15, s9, s1
	v_cndmask_b32_e32 v3, v10, v3, vcc_lo
	v_cmp_eq_f32_e32 vcc_lo, 1.0, v7
	s_mov_b32 s0, 0
	v_cndmask_b32_e32 v2, v11, v2, vcc_lo
	v_cmp_eq_f32_e32 vcc_lo, 1.0, v6
	v_cndmask_b32_e32 v1, v12, v1, vcc_lo
	v_cmp_eq_f32_e32 vcc_lo, 1.0, v9
	v_cndmask_b32_e32 v4, v13, v4, vcc_lo
	global_store_b128 v5, v[1:4], s[14:15]
.LBB10_10:
	s_and_b32 vcc_lo, exec_lo, s0
	s_cbranch_vccz .LBB10_37
; %bb.11:
	v_cmp_gt_i32_e32 vcc_lo, s12, v0
	v_dual_mov_b32 v8, 0 :: v_dual_mov_b32 v1, v0
	v_or_b32_e32 v5, s2, v0
	v_or_b32_e32 v7, 0x100, v0
	v_mov_b32_e32 v10, 0
	s_and_saveexec_b32 s1, vcc_lo
	s_cbranch_execz .LBB10_13
; %bb.12:
	v_mov_b32_e32 v6, 0
	s_delay_alu instid0(VALU_DEP_1) | instskip(NEXT) | instid1(VALU_DEP_1)
	v_lshlrev_b64 v[1:2], 2, v[5:6]
	v_add_co_u32 v1, s0, s10, v1
	s_delay_alu instid0(VALU_DEP_1)
	v_add_co_ci_u32_e64 v2, s0, s11, v2, s0
	global_load_b32 v10, v[1:2], off
	v_or_b32_e32 v1, 0x100, v0
.LBB10_13:
	s_or_b32 exec_lo, exec_lo, s1
	s_delay_alu instid0(SALU_CYCLE_1) | instskip(NEXT) | instid1(VALU_DEP_1)
	s_mov_b32 s1, exec_lo
	v_cmpx_gt_i32_e64 s12, v1
	s_cbranch_execz .LBB10_15
; %bb.14:
	v_dual_mov_b32 v3, 0 :: v_dual_add_nc_u32 v2, s2, v1
	v_add_nc_u32_e32 v1, 0x100, v1
	s_delay_alu instid0(VALU_DEP_2) | instskip(NEXT) | instid1(VALU_DEP_1)
	v_lshlrev_b64 v[2:3], 2, v[2:3]
	v_add_co_u32 v2, s0, s10, v2
	s_delay_alu instid0(VALU_DEP_1)
	v_add_co_ci_u32_e64 v3, s0, s11, v3, s0
	global_load_b32 v8, v[2:3], off
.LBB10_15:
	s_or_b32 exec_lo, exec_lo, s1
	v_dual_mov_b32 v6, 0 :: v_dual_mov_b32 v9, 0
	s_mov_b32 s1, exec_lo
	v_cmpx_gt_i32_e64 s12, v1
	s_cbranch_execnz .LBB10_19
; %bb.16:
	s_or_b32 exec_lo, exec_lo, s1
	s_delay_alu instid0(SALU_CYCLE_1)
	s_mov_b32 s1, exec_lo
	v_cmpx_gt_i32_e64 s12, v1
	s_cbranch_execnz .LBB10_20
.LBB10_17:
	s_or_b32 exec_lo, exec_lo, s1
                                        ; implicit-def: $vgpr1_vgpr2_vgpr3_vgpr4
	s_and_saveexec_b32 s1, vcc_lo
	s_cbranch_execnz .LBB10_21
.LBB10_18:
	s_or_b32 exec_lo, exec_lo, s1
	s_delay_alu instid0(SALU_CYCLE_1)
	s_mov_b32 s1, exec_lo
	v_cmpx_gt_i32_e64 s12, v7
	s_cbranch_execnz .LBB10_24
	s_branch .LBB10_27
.LBB10_19:
	v_dual_mov_b32 v3, 0 :: v_dual_add_nc_u32 v2, s2, v1
	v_add_nc_u32_e32 v1, 0x100, v1
	s_delay_alu instid0(VALU_DEP_2) | instskip(NEXT) | instid1(VALU_DEP_1)
	v_lshlrev_b64 v[2:3], 2, v[2:3]
	v_add_co_u32 v2, s0, s10, v2
	s_delay_alu instid0(VALU_DEP_1) | instskip(SKIP_2) | instid1(SALU_CYCLE_1)
	v_add_co_ci_u32_e64 v3, s0, s11, v3, s0
	global_load_b32 v9, v[2:3], off
	s_or_b32 exec_lo, exec_lo, s1
	s_mov_b32 s1, exec_lo
	v_cmpx_gt_i32_e64 s12, v1
	s_cbranch_execz .LBB10_17
.LBB10_20:
	v_dual_mov_b32 v2, 0 :: v_dual_add_nc_u32 v1, s2, v1
	s_delay_alu instid0(VALU_DEP_1) | instskip(NEXT) | instid1(VALU_DEP_1)
	v_lshlrev_b64 v[1:2], 2, v[1:2]
	v_add_co_u32 v1, s0, s10, v1
	s_delay_alu instid0(VALU_DEP_1)
	v_add_co_ci_u32_e64 v2, s0, s11, v2, s0
	global_load_b32 v6, v[1:2], off
	s_or_b32 exec_lo, exec_lo, s1
                                        ; implicit-def: $vgpr1_vgpr2_vgpr3_vgpr4
	s_and_saveexec_b32 s1, vcc_lo
	s_cbranch_execz .LBB10_18
.LBB10_21:
	s_mov_b32 s0, exec_lo
	s_waitcnt vmcnt(0)
	v_cmpx_nlg_f32_e64 0x7f800000, |v10|
	s_cbranch_execz .LBB10_23
; %bb.22:
	v_dual_mov_b32 v1, 0 :: v_dual_mov_b32 v2, 1.0
	global_store_b32 v1, v2, s[4:5]
.LBB10_23:
	s_or_b32 exec_lo, exec_lo, s0
	v_mov_b32_e32 v1, 0
	global_load_b32 v1, v1, s[6:7]
	s_waitcnt vmcnt(0)
	v_mul_f32_e32 v2, v10, v1
	v_cmp_eq_f32_e64 s0, 1.0, v1
	s_delay_alu instid0(VALU_DEP_1) | instskip(SKIP_1) | instid1(SALU_CYCLE_1)
	v_cndmask_b32_e64 v1, v2, v10, s0
	s_or_b32 exec_lo, exec_lo, s1
	s_mov_b32 s1, exec_lo
	v_cmpx_gt_i32_e64 s12, v7
	s_cbranch_execz .LBB10_27
.LBB10_24:
	s_mov_b32 s0, exec_lo
	s_waitcnt vmcnt(0)
	v_cmpx_nlg_f32_e64 0x7f800000, |v8|
	s_cbranch_execz .LBB10_26
; %bb.25:
	v_mov_b32_e32 v2, 0
	v_mov_b32_e32 v10, 1.0
	global_store_b32 v2, v10, s[4:5]
.LBB10_26:
	s_or_b32 exec_lo, exec_lo, s0
	v_mov_b32_e32 v2, 0
	global_load_b32 v2, v2, s[6:7]
	s_waitcnt vmcnt(0)
	v_mul_f32_e32 v10, v8, v2
	v_cmp_eq_f32_e64 s0, 1.0, v2
	s_delay_alu instid0(VALU_DEP_1)
	v_cndmask_b32_e64 v2, v10, v8, s0
.LBB10_27:
	s_or_b32 exec_lo, exec_lo, s1
	s_waitcnt vmcnt(0)
	v_or_b32_e32 v8, 0x200, v0
	s_mov_b32 s1, exec_lo
	s_delay_alu instid0(VALU_DEP_1)
	v_cmpx_gt_i32_e64 s12, v8
	s_cbranch_execz .LBB10_31
; %bb.28:
	s_mov_b32 s0, exec_lo
	v_cmpx_nlg_f32_e64 0x7f800000, |v9|
	s_cbranch_execz .LBB10_30
; %bb.29:
	v_dual_mov_b32 v3, 0 :: v_dual_mov_b32 v8, 1.0
	global_store_b32 v3, v8, s[4:5]
.LBB10_30:
	s_or_b32 exec_lo, exec_lo, s0
	v_mov_b32_e32 v3, 0
	global_load_b32 v3, v3, s[6:7]
	s_waitcnt vmcnt(0)
	v_mul_f32_e32 v8, v9, v3
	v_cmp_eq_f32_e64 s0, 1.0, v3
	s_delay_alu instid0(VALU_DEP_1)
	v_cndmask_b32_e64 v3, v8, v9, s0
.LBB10_31:
	s_or_b32 exec_lo, exec_lo, s1
	v_or_b32_e32 v8, 0x300, v0
	s_mov_b32 s1, exec_lo
	s_delay_alu instid0(VALU_DEP_1)
	v_cmpx_gt_i32_e64 s12, v8
	s_cbranch_execnz .LBB10_38
; %bb.32:
	s_or_b32 exec_lo, exec_lo, s1
	s_and_saveexec_b32 s0, vcc_lo
	s_delay_alu instid0(SALU_CYCLE_1)
	s_xor_b32 s0, exec_lo, s0
	s_cbranch_execnz .LBB10_41
.LBB10_33:
	s_or_b32 exec_lo, exec_lo, s0
	s_delay_alu instid0(SALU_CYCLE_1)
	s_mov_b32 s0, exec_lo
	v_cmpx_gt_i32_e64 s12, v0
	s_cbranch_execnz .LBB10_42
.LBB10_34:
	s_or_b32 exec_lo, exec_lo, s0
	s_delay_alu instid0(SALU_CYCLE_1)
	s_mov_b32 s0, exec_lo
	v_cmpx_gt_i32_e64 s12, v0
	s_cbranch_execnz .LBB10_43
.LBB10_35:
	s_or_b32 exec_lo, exec_lo, s0
	s_delay_alu instid0(SALU_CYCLE_1)
	s_mov_b32 s0, exec_lo
	v_cmpx_gt_i32_e64 s12, v0
	s_cbranch_execz .LBB10_37
.LBB10_36:
	v_dual_mov_b32 v1, 0 :: v_dual_add_nc_u32 v0, s2, v0
	s_delay_alu instid0(VALU_DEP_1) | instskip(NEXT) | instid1(VALU_DEP_1)
	v_lshlrev_b64 v[0:1], 2, v[0:1]
	v_add_co_u32 v0, vcc_lo, s8, v0
	s_delay_alu instid0(VALU_DEP_2)
	v_add_co_ci_u32_e32 v1, vcc_lo, s9, v1, vcc_lo
	global_store_b32 v[0:1], v4, off
.LBB10_37:
	s_nop 0
	s_sendmsg sendmsg(MSG_DEALLOC_VGPRS)
	s_endpgm
.LBB10_38:
	s_mov_b32 s0, exec_lo
	v_cmpx_nlg_f32_e64 0x7f800000, |v6|
	s_cbranch_execz .LBB10_40
; %bb.39:
	v_mov_b32_e32 v4, 0
	v_mov_b32_e32 v8, 1.0
	global_store_b32 v4, v8, s[4:5]
.LBB10_40:
	s_or_b32 exec_lo, exec_lo, s0
	v_mov_b32_e32 v4, 0
	global_load_b32 v4, v4, s[6:7]
	s_waitcnt vmcnt(0)
	v_mul_f32_e32 v8, v6, v4
	v_cmp_eq_f32_e64 s0, 1.0, v4
	s_delay_alu instid0(VALU_DEP_1) | instskip(SKIP_2) | instid1(SALU_CYCLE_1)
	v_cndmask_b32_e64 v4, v8, v6, s0
	s_or_b32 exec_lo, exec_lo, s1
	s_and_saveexec_b32 s0, vcc_lo
	s_xor_b32 s0, exec_lo, s0
	s_cbranch_execz .LBB10_33
.LBB10_41:
	v_mov_b32_e32 v6, 0
	v_mov_b32_e32 v0, v7
	s_delay_alu instid0(VALU_DEP_2) | instskip(NEXT) | instid1(VALU_DEP_1)
	v_lshlrev_b64 v[5:6], 2, v[5:6]
	v_add_co_u32 v5, vcc_lo, s8, v5
	s_delay_alu instid0(VALU_DEP_2) | instskip(SKIP_2) | instid1(SALU_CYCLE_1)
	v_add_co_ci_u32_e32 v6, vcc_lo, s9, v6, vcc_lo
	global_store_b32 v[5:6], v1, off
	s_or_b32 exec_lo, exec_lo, s0
	s_mov_b32 s0, exec_lo
	v_cmpx_gt_i32_e64 s12, v0
	s_cbranch_execz .LBB10_34
.LBB10_42:
	v_dual_mov_b32 v6, 0 :: v_dual_add_nc_u32 v5, s2, v0
	v_add_nc_u32_e32 v0, 0x100, v0
	s_delay_alu instid0(VALU_DEP_2) | instskip(NEXT) | instid1(VALU_DEP_1)
	v_lshlrev_b64 v[5:6], 2, v[5:6]
	v_add_co_u32 v5, vcc_lo, s8, v5
	s_delay_alu instid0(VALU_DEP_2) | instskip(SKIP_2) | instid1(SALU_CYCLE_1)
	v_add_co_ci_u32_e32 v6, vcc_lo, s9, v6, vcc_lo
	global_store_b32 v[5:6], v2, off
	s_or_b32 exec_lo, exec_lo, s0
	s_mov_b32 s0, exec_lo
	v_cmpx_gt_i32_e64 s12, v0
	s_cbranch_execz .LBB10_35
.LBB10_43:
	v_dual_mov_b32 v2, 0 :: v_dual_add_nc_u32 v1, s2, v0
	v_add_nc_u32_e32 v0, 0x100, v0
	s_delay_alu instid0(VALU_DEP_2) | instskip(NEXT) | instid1(VALU_DEP_1)
	v_lshlrev_b64 v[1:2], 2, v[1:2]
	v_add_co_u32 v1, vcc_lo, s8, v1
	s_delay_alu instid0(VALU_DEP_2) | instskip(SKIP_2) | instid1(SALU_CYCLE_1)
	v_add_co_ci_u32_e32 v2, vcc_lo, s9, v2, vcc_lo
	global_store_b32 v[1:2], v3, off
	s_or_b32 exec_lo, exec_lo, s0
	s_mov_b32 s0, exec_lo
	v_cmpx_gt_i32_e64 s12, v0
	s_cbranch_execnz .LBB10_36
	s_branch .LBB10_37
	.section	.rodata,"a",@progbits
	.p2align	6, 0x0
	.amdhsa_kernel _ZN2at6native29vectorized_elementwise_kernelILi8EZZZNS0_12_GLOBAL__N_139_amp_non_finite_check_and_unscale_cuda_ERNS_6TensorES4_RKS3_ENKUlvE_clEvENKUlvE0_clEvEUlfE_St5arrayIPcLm2EEEEviT0_T1_
		.amdhsa_group_segment_fixed_size 0
		.amdhsa_private_segment_fixed_size 0
		.amdhsa_kernarg_size 40
		.amdhsa_user_sgpr_count 15
		.amdhsa_user_sgpr_dispatch_ptr 0
		.amdhsa_user_sgpr_queue_ptr 0
		.amdhsa_user_sgpr_kernarg_segment_ptr 1
		.amdhsa_user_sgpr_dispatch_id 0
		.amdhsa_user_sgpr_private_segment_size 0
		.amdhsa_wavefront_size32 1
		.amdhsa_uses_dynamic_stack 0
		.amdhsa_enable_private_segment 0
		.amdhsa_system_sgpr_workgroup_id_x 1
		.amdhsa_system_sgpr_workgroup_id_y 0
		.amdhsa_system_sgpr_workgroup_id_z 0
		.amdhsa_system_sgpr_workgroup_info 0
		.amdhsa_system_vgpr_workitem_id 0
		.amdhsa_next_free_vgpr 14
		.amdhsa_next_free_sgpr 16
		.amdhsa_reserve_vcc 1
		.amdhsa_float_round_mode_32 0
		.amdhsa_float_round_mode_16_64 0
		.amdhsa_float_denorm_mode_32 3
		.amdhsa_float_denorm_mode_16_64 3
		.amdhsa_dx10_clamp 1
		.amdhsa_ieee_mode 1
		.amdhsa_fp16_overflow 0
		.amdhsa_workgroup_processor_mode 1
		.amdhsa_memory_ordered 1
		.amdhsa_forward_progress 0
		.amdhsa_shared_vgpr_count 0
		.amdhsa_exception_fp_ieee_invalid_op 0
		.amdhsa_exception_fp_denorm_src 0
		.amdhsa_exception_fp_ieee_div_zero 0
		.amdhsa_exception_fp_ieee_overflow 0
		.amdhsa_exception_fp_ieee_underflow 0
		.amdhsa_exception_fp_ieee_inexact 0
		.amdhsa_exception_int_div_zero 0
	.end_amdhsa_kernel
	.section	.text._ZN2at6native29vectorized_elementwise_kernelILi8EZZZNS0_12_GLOBAL__N_139_amp_non_finite_check_and_unscale_cuda_ERNS_6TensorES4_RKS3_ENKUlvE_clEvENKUlvE0_clEvEUlfE_St5arrayIPcLm2EEEEviT0_T1_,"axG",@progbits,_ZN2at6native29vectorized_elementwise_kernelILi8EZZZNS0_12_GLOBAL__N_139_amp_non_finite_check_and_unscale_cuda_ERNS_6TensorES4_RKS3_ENKUlvE_clEvENKUlvE0_clEvEUlfE_St5arrayIPcLm2EEEEviT0_T1_,comdat
.Lfunc_end10:
	.size	_ZN2at6native29vectorized_elementwise_kernelILi8EZZZNS0_12_GLOBAL__N_139_amp_non_finite_check_and_unscale_cuda_ERNS_6TensorES4_RKS3_ENKUlvE_clEvENKUlvE0_clEvEUlfE_St5arrayIPcLm2EEEEviT0_T1_, .Lfunc_end10-_ZN2at6native29vectorized_elementwise_kernelILi8EZZZNS0_12_GLOBAL__N_139_amp_non_finite_check_and_unscale_cuda_ERNS_6TensorES4_RKS3_ENKUlvE_clEvENKUlvE0_clEvEUlfE_St5arrayIPcLm2EEEEviT0_T1_
                                        ; -- End function
	.section	.AMDGPU.csdata,"",@progbits
; Kernel info:
; codeLenInByte = 1564
; NumSgprs: 18
; NumVgprs: 14
; ScratchSize: 0
; MemoryBound: 0
; FloatMode: 240
; IeeeMode: 1
; LDSByteSize: 0 bytes/workgroup (compile time only)
; SGPRBlocks: 2
; VGPRBlocks: 1
; NumSGPRsForWavesPerEU: 18
; NumVGPRsForWavesPerEU: 14
; Occupancy: 16
; WaveLimiterHint : 0
; COMPUTE_PGM_RSRC2:SCRATCH_EN: 0
; COMPUTE_PGM_RSRC2:USER_SGPR: 15
; COMPUTE_PGM_RSRC2:TRAP_HANDLER: 0
; COMPUTE_PGM_RSRC2:TGID_X_EN: 1
; COMPUTE_PGM_RSRC2:TGID_Y_EN: 0
; COMPUTE_PGM_RSRC2:TGID_Z_EN: 0
; COMPUTE_PGM_RSRC2:TIDIG_COMP_CNT: 0
	.section	.text._ZN2at6native29vectorized_elementwise_kernelILi4EZZZNS0_12_GLOBAL__N_139_amp_non_finite_check_and_unscale_cuda_ERNS_6TensorES4_RKS3_ENKUlvE_clEvENKUlvE0_clEvEUlfE_St5arrayIPcLm2EEEEviT0_T1_,"axG",@progbits,_ZN2at6native29vectorized_elementwise_kernelILi4EZZZNS0_12_GLOBAL__N_139_amp_non_finite_check_and_unscale_cuda_ERNS_6TensorES4_RKS3_ENKUlvE_clEvENKUlvE0_clEvEUlfE_St5arrayIPcLm2EEEEviT0_T1_,comdat
	.globl	_ZN2at6native29vectorized_elementwise_kernelILi4EZZZNS0_12_GLOBAL__N_139_amp_non_finite_check_and_unscale_cuda_ERNS_6TensorES4_RKS3_ENKUlvE_clEvENKUlvE0_clEvEUlfE_St5arrayIPcLm2EEEEviT0_T1_ ; -- Begin function _ZN2at6native29vectorized_elementwise_kernelILi4EZZZNS0_12_GLOBAL__N_139_amp_non_finite_check_and_unscale_cuda_ERNS_6TensorES4_RKS3_ENKUlvE_clEvENKUlvE0_clEvEUlfE_St5arrayIPcLm2EEEEviT0_T1_
	.p2align	8
	.type	_ZN2at6native29vectorized_elementwise_kernelILi4EZZZNS0_12_GLOBAL__N_139_amp_non_finite_check_and_unscale_cuda_ERNS_6TensorES4_RKS3_ENKUlvE_clEvENKUlvE0_clEvEUlfE_St5arrayIPcLm2EEEEviT0_T1_,@function
_ZN2at6native29vectorized_elementwise_kernelILi4EZZZNS0_12_GLOBAL__N_139_amp_non_finite_check_and_unscale_cuda_ERNS_6TensorES4_RKS3_ENKUlvE_clEvENKUlvE0_clEvEUlfE_St5arrayIPcLm2EEEEviT0_T1_: ; @_ZN2at6native29vectorized_elementwise_kernelILi4EZZZNS0_12_GLOBAL__N_139_amp_non_finite_check_and_unscale_cuda_ERNS_6TensorES4_RKS3_ENKUlvE_clEvENKUlvE0_clEvEUlfE_St5arrayIPcLm2EEEEviT0_T1_
; %bb.0:
	s_clause 0x1
	s_load_b32 s3, s[0:1], 0x0
	s_load_b256 s[4:11], s[0:1], 0x8
	s_lshl_b32 s2, s15, 10
	s_mov_b32 s0, -1
	s_waitcnt lgkmcnt(0)
	s_sub_i32 s12, s3, s2
	s_delay_alu instid0(SALU_CYCLE_1)
	s_cmpk_gt_i32 s12, 0x3ff
	s_cbranch_scc0 .LBB11_10
; %bb.1:
	s_ashr_i32 s3, s2, 31
	v_dual_mov_b32 v6, 0 :: v_dual_lshlrev_b32 v5, 4, v0
	s_lshl_b64 s[0:1], s[2:3], 2
	s_mov_b32 s3, exec_lo
	s_add_u32 s14, s10, s0
	s_addc_u32 s15, s11, s1
	global_load_b128 v[1:4], v5, s[14:15]
	s_waitcnt vmcnt(0)
	v_cmpx_nlg_f32_e64 0x7f800000, |v1|
	s_cbranch_execz .LBB11_3
; %bb.2:
	v_mov_b32_e32 v7, 1.0
	global_store_b32 v6, v7, s[4:5]
.LBB11_3:
	s_or_b32 exec_lo, exec_lo, s3
	global_load_b32 v6, v6, s[6:7]
	s_mov_b32 s3, exec_lo
	s_waitcnt vmcnt(0)
	v_mov_b32_e32 v7, v6
	v_cmpx_nlg_f32_e64 0x7f800000, |v2|
	s_cbranch_execz .LBB11_5
; %bb.4:
	v_dual_mov_b32 v7, 0 :: v_dual_mov_b32 v8, 1.0
	global_store_b32 v7, v8, s[4:5]
	global_load_b32 v7, v7, s[6:7]
.LBB11_5:
	s_or_b32 exec_lo, exec_lo, s3
	s_waitcnt vmcnt(0)
	v_mov_b32_e32 v8, v7
	s_mov_b32 s3, exec_lo
	v_cmpx_nlg_f32_e64 0x7f800000, |v3|
	s_cbranch_execz .LBB11_7
; %bb.6:
	v_dual_mov_b32 v8, 0 :: v_dual_mov_b32 v9, 1.0
	global_store_b32 v8, v9, s[4:5]
	global_load_b32 v8, v8, s[6:7]
.LBB11_7:
	s_or_b32 exec_lo, exec_lo, s3
	s_waitcnt vmcnt(0)
	v_mov_b32_e32 v9, v8
	s_mov_b32 s3, exec_lo
	v_cmpx_nlg_f32_e64 0x7f800000, |v4|
	s_cbranch_execz .LBB11_9
; %bb.8:
	v_dual_mov_b32 v9, 0 :: v_dual_mov_b32 v10, 1.0
	global_store_b32 v9, v10, s[4:5]
	global_load_b32 v9, v9, s[6:7]
.LBB11_9:
	s_or_b32 exec_lo, exec_lo, s3
	v_dual_mul_f32 v10, v3, v8 :: v_dual_mul_f32 v11, v2, v7
	v_cmp_eq_f32_e32 vcc_lo, 1.0, v8
	s_waitcnt vmcnt(0)
	v_dual_mul_f32 v12, v1, v6 :: v_dual_mul_f32 v13, v4, v9
	s_add_u32 s14, s8, s0
	s_addc_u32 s15, s9, s1
	v_cndmask_b32_e32 v3, v10, v3, vcc_lo
	v_cmp_eq_f32_e32 vcc_lo, 1.0, v7
	s_mov_b32 s0, 0
	v_cndmask_b32_e32 v2, v11, v2, vcc_lo
	v_cmp_eq_f32_e32 vcc_lo, 1.0, v6
	v_cndmask_b32_e32 v1, v12, v1, vcc_lo
	v_cmp_eq_f32_e32 vcc_lo, 1.0, v9
	v_cndmask_b32_e32 v4, v13, v4, vcc_lo
	global_store_b128 v5, v[1:4], s[14:15]
.LBB11_10:
	s_and_b32 vcc_lo, exec_lo, s0
	s_cbranch_vccz .LBB11_37
; %bb.11:
	v_cmp_gt_i32_e32 vcc_lo, s12, v0
	v_dual_mov_b32 v8, 0 :: v_dual_mov_b32 v1, v0
	v_or_b32_e32 v5, s2, v0
	v_or_b32_e32 v7, 0x100, v0
	v_mov_b32_e32 v10, 0
	s_and_saveexec_b32 s1, vcc_lo
	s_cbranch_execz .LBB11_13
; %bb.12:
	v_mov_b32_e32 v6, 0
	s_delay_alu instid0(VALU_DEP_1) | instskip(NEXT) | instid1(VALU_DEP_1)
	v_lshlrev_b64 v[1:2], 2, v[5:6]
	v_add_co_u32 v1, s0, s10, v1
	s_delay_alu instid0(VALU_DEP_1)
	v_add_co_ci_u32_e64 v2, s0, s11, v2, s0
	global_load_b32 v10, v[1:2], off
	v_or_b32_e32 v1, 0x100, v0
.LBB11_13:
	s_or_b32 exec_lo, exec_lo, s1
	s_delay_alu instid0(SALU_CYCLE_1) | instskip(NEXT) | instid1(VALU_DEP_1)
	s_mov_b32 s1, exec_lo
	v_cmpx_gt_i32_e64 s12, v1
	s_cbranch_execz .LBB11_15
; %bb.14:
	v_dual_mov_b32 v3, 0 :: v_dual_add_nc_u32 v2, s2, v1
	v_add_nc_u32_e32 v1, 0x100, v1
	s_delay_alu instid0(VALU_DEP_2) | instskip(NEXT) | instid1(VALU_DEP_1)
	v_lshlrev_b64 v[2:3], 2, v[2:3]
	v_add_co_u32 v2, s0, s10, v2
	s_delay_alu instid0(VALU_DEP_1)
	v_add_co_ci_u32_e64 v3, s0, s11, v3, s0
	global_load_b32 v8, v[2:3], off
.LBB11_15:
	s_or_b32 exec_lo, exec_lo, s1
	v_dual_mov_b32 v6, 0 :: v_dual_mov_b32 v9, 0
	s_mov_b32 s1, exec_lo
	v_cmpx_gt_i32_e64 s12, v1
	s_cbranch_execnz .LBB11_19
; %bb.16:
	s_or_b32 exec_lo, exec_lo, s1
	s_delay_alu instid0(SALU_CYCLE_1)
	s_mov_b32 s1, exec_lo
	v_cmpx_gt_i32_e64 s12, v1
	s_cbranch_execnz .LBB11_20
.LBB11_17:
	s_or_b32 exec_lo, exec_lo, s1
                                        ; implicit-def: $vgpr1_vgpr2_vgpr3_vgpr4
	s_and_saveexec_b32 s1, vcc_lo
	s_cbranch_execnz .LBB11_21
.LBB11_18:
	s_or_b32 exec_lo, exec_lo, s1
	s_delay_alu instid0(SALU_CYCLE_1)
	s_mov_b32 s1, exec_lo
	v_cmpx_gt_i32_e64 s12, v7
	s_cbranch_execnz .LBB11_24
	s_branch .LBB11_27
.LBB11_19:
	v_dual_mov_b32 v3, 0 :: v_dual_add_nc_u32 v2, s2, v1
	v_add_nc_u32_e32 v1, 0x100, v1
	s_delay_alu instid0(VALU_DEP_2) | instskip(NEXT) | instid1(VALU_DEP_1)
	v_lshlrev_b64 v[2:3], 2, v[2:3]
	v_add_co_u32 v2, s0, s10, v2
	s_delay_alu instid0(VALU_DEP_1) | instskip(SKIP_2) | instid1(SALU_CYCLE_1)
	v_add_co_ci_u32_e64 v3, s0, s11, v3, s0
	global_load_b32 v9, v[2:3], off
	s_or_b32 exec_lo, exec_lo, s1
	s_mov_b32 s1, exec_lo
	v_cmpx_gt_i32_e64 s12, v1
	s_cbranch_execz .LBB11_17
.LBB11_20:
	v_dual_mov_b32 v2, 0 :: v_dual_add_nc_u32 v1, s2, v1
	s_delay_alu instid0(VALU_DEP_1) | instskip(NEXT) | instid1(VALU_DEP_1)
	v_lshlrev_b64 v[1:2], 2, v[1:2]
	v_add_co_u32 v1, s0, s10, v1
	s_delay_alu instid0(VALU_DEP_1)
	v_add_co_ci_u32_e64 v2, s0, s11, v2, s0
	global_load_b32 v6, v[1:2], off
	s_or_b32 exec_lo, exec_lo, s1
                                        ; implicit-def: $vgpr1_vgpr2_vgpr3_vgpr4
	s_and_saveexec_b32 s1, vcc_lo
	s_cbranch_execz .LBB11_18
.LBB11_21:
	s_mov_b32 s0, exec_lo
	s_waitcnt vmcnt(0)
	v_cmpx_nlg_f32_e64 0x7f800000, |v10|
	s_cbranch_execz .LBB11_23
; %bb.22:
	v_dual_mov_b32 v1, 0 :: v_dual_mov_b32 v2, 1.0
	global_store_b32 v1, v2, s[4:5]
.LBB11_23:
	s_or_b32 exec_lo, exec_lo, s0
	v_mov_b32_e32 v1, 0
	global_load_b32 v1, v1, s[6:7]
	s_waitcnt vmcnt(0)
	v_mul_f32_e32 v2, v10, v1
	v_cmp_eq_f32_e64 s0, 1.0, v1
	s_delay_alu instid0(VALU_DEP_1) | instskip(SKIP_1) | instid1(SALU_CYCLE_1)
	v_cndmask_b32_e64 v1, v2, v10, s0
	s_or_b32 exec_lo, exec_lo, s1
	s_mov_b32 s1, exec_lo
	v_cmpx_gt_i32_e64 s12, v7
	s_cbranch_execz .LBB11_27
.LBB11_24:
	s_mov_b32 s0, exec_lo
	s_waitcnt vmcnt(0)
	v_cmpx_nlg_f32_e64 0x7f800000, |v8|
	s_cbranch_execz .LBB11_26
; %bb.25:
	v_mov_b32_e32 v2, 0
	v_mov_b32_e32 v10, 1.0
	global_store_b32 v2, v10, s[4:5]
.LBB11_26:
	s_or_b32 exec_lo, exec_lo, s0
	v_mov_b32_e32 v2, 0
	global_load_b32 v2, v2, s[6:7]
	s_waitcnt vmcnt(0)
	v_mul_f32_e32 v10, v8, v2
	v_cmp_eq_f32_e64 s0, 1.0, v2
	s_delay_alu instid0(VALU_DEP_1)
	v_cndmask_b32_e64 v2, v10, v8, s0
.LBB11_27:
	s_or_b32 exec_lo, exec_lo, s1
	s_waitcnt vmcnt(0)
	v_or_b32_e32 v8, 0x200, v0
	s_mov_b32 s1, exec_lo
	s_delay_alu instid0(VALU_DEP_1)
	v_cmpx_gt_i32_e64 s12, v8
	s_cbranch_execz .LBB11_31
; %bb.28:
	s_mov_b32 s0, exec_lo
	v_cmpx_nlg_f32_e64 0x7f800000, |v9|
	s_cbranch_execz .LBB11_30
; %bb.29:
	v_dual_mov_b32 v3, 0 :: v_dual_mov_b32 v8, 1.0
	global_store_b32 v3, v8, s[4:5]
.LBB11_30:
	s_or_b32 exec_lo, exec_lo, s0
	v_mov_b32_e32 v3, 0
	global_load_b32 v3, v3, s[6:7]
	s_waitcnt vmcnt(0)
	v_mul_f32_e32 v8, v9, v3
	v_cmp_eq_f32_e64 s0, 1.0, v3
	s_delay_alu instid0(VALU_DEP_1)
	v_cndmask_b32_e64 v3, v8, v9, s0
.LBB11_31:
	s_or_b32 exec_lo, exec_lo, s1
	v_or_b32_e32 v8, 0x300, v0
	s_mov_b32 s1, exec_lo
	s_delay_alu instid0(VALU_DEP_1)
	v_cmpx_gt_i32_e64 s12, v8
	s_cbranch_execnz .LBB11_38
; %bb.32:
	s_or_b32 exec_lo, exec_lo, s1
	s_and_saveexec_b32 s0, vcc_lo
	s_delay_alu instid0(SALU_CYCLE_1)
	s_xor_b32 s0, exec_lo, s0
	s_cbranch_execnz .LBB11_41
.LBB11_33:
	s_or_b32 exec_lo, exec_lo, s0
	s_delay_alu instid0(SALU_CYCLE_1)
	s_mov_b32 s0, exec_lo
	v_cmpx_gt_i32_e64 s12, v0
	s_cbranch_execnz .LBB11_42
.LBB11_34:
	s_or_b32 exec_lo, exec_lo, s0
	s_delay_alu instid0(SALU_CYCLE_1)
	s_mov_b32 s0, exec_lo
	v_cmpx_gt_i32_e64 s12, v0
	s_cbranch_execnz .LBB11_43
.LBB11_35:
	s_or_b32 exec_lo, exec_lo, s0
	s_delay_alu instid0(SALU_CYCLE_1)
	s_mov_b32 s0, exec_lo
	v_cmpx_gt_i32_e64 s12, v0
	s_cbranch_execz .LBB11_37
.LBB11_36:
	v_dual_mov_b32 v1, 0 :: v_dual_add_nc_u32 v0, s2, v0
	s_delay_alu instid0(VALU_DEP_1) | instskip(NEXT) | instid1(VALU_DEP_1)
	v_lshlrev_b64 v[0:1], 2, v[0:1]
	v_add_co_u32 v0, vcc_lo, s8, v0
	s_delay_alu instid0(VALU_DEP_2)
	v_add_co_ci_u32_e32 v1, vcc_lo, s9, v1, vcc_lo
	global_store_b32 v[0:1], v4, off
.LBB11_37:
	s_nop 0
	s_sendmsg sendmsg(MSG_DEALLOC_VGPRS)
	s_endpgm
.LBB11_38:
	s_mov_b32 s0, exec_lo
	v_cmpx_nlg_f32_e64 0x7f800000, |v6|
	s_cbranch_execz .LBB11_40
; %bb.39:
	v_mov_b32_e32 v4, 0
	v_mov_b32_e32 v8, 1.0
	global_store_b32 v4, v8, s[4:5]
.LBB11_40:
	s_or_b32 exec_lo, exec_lo, s0
	v_mov_b32_e32 v4, 0
	global_load_b32 v4, v4, s[6:7]
	s_waitcnt vmcnt(0)
	v_mul_f32_e32 v8, v6, v4
	v_cmp_eq_f32_e64 s0, 1.0, v4
	s_delay_alu instid0(VALU_DEP_1) | instskip(SKIP_2) | instid1(SALU_CYCLE_1)
	v_cndmask_b32_e64 v4, v8, v6, s0
	s_or_b32 exec_lo, exec_lo, s1
	s_and_saveexec_b32 s0, vcc_lo
	s_xor_b32 s0, exec_lo, s0
	s_cbranch_execz .LBB11_33
.LBB11_41:
	v_mov_b32_e32 v6, 0
	v_mov_b32_e32 v0, v7
	s_delay_alu instid0(VALU_DEP_2) | instskip(NEXT) | instid1(VALU_DEP_1)
	v_lshlrev_b64 v[5:6], 2, v[5:6]
	v_add_co_u32 v5, vcc_lo, s8, v5
	s_delay_alu instid0(VALU_DEP_2) | instskip(SKIP_2) | instid1(SALU_CYCLE_1)
	v_add_co_ci_u32_e32 v6, vcc_lo, s9, v6, vcc_lo
	global_store_b32 v[5:6], v1, off
	s_or_b32 exec_lo, exec_lo, s0
	s_mov_b32 s0, exec_lo
	v_cmpx_gt_i32_e64 s12, v0
	s_cbranch_execz .LBB11_34
.LBB11_42:
	v_dual_mov_b32 v6, 0 :: v_dual_add_nc_u32 v5, s2, v0
	v_add_nc_u32_e32 v0, 0x100, v0
	s_delay_alu instid0(VALU_DEP_2) | instskip(NEXT) | instid1(VALU_DEP_1)
	v_lshlrev_b64 v[5:6], 2, v[5:6]
	v_add_co_u32 v5, vcc_lo, s8, v5
	s_delay_alu instid0(VALU_DEP_2) | instskip(SKIP_2) | instid1(SALU_CYCLE_1)
	v_add_co_ci_u32_e32 v6, vcc_lo, s9, v6, vcc_lo
	global_store_b32 v[5:6], v2, off
	s_or_b32 exec_lo, exec_lo, s0
	s_mov_b32 s0, exec_lo
	v_cmpx_gt_i32_e64 s12, v0
	s_cbranch_execz .LBB11_35
.LBB11_43:
	v_dual_mov_b32 v2, 0 :: v_dual_add_nc_u32 v1, s2, v0
	v_add_nc_u32_e32 v0, 0x100, v0
	s_delay_alu instid0(VALU_DEP_2) | instskip(NEXT) | instid1(VALU_DEP_1)
	v_lshlrev_b64 v[1:2], 2, v[1:2]
	v_add_co_u32 v1, vcc_lo, s8, v1
	s_delay_alu instid0(VALU_DEP_2) | instskip(SKIP_2) | instid1(SALU_CYCLE_1)
	v_add_co_ci_u32_e32 v2, vcc_lo, s9, v2, vcc_lo
	global_store_b32 v[1:2], v3, off
	s_or_b32 exec_lo, exec_lo, s0
	s_mov_b32 s0, exec_lo
	v_cmpx_gt_i32_e64 s12, v0
	s_cbranch_execnz .LBB11_36
	s_branch .LBB11_37
	.section	.rodata,"a",@progbits
	.p2align	6, 0x0
	.amdhsa_kernel _ZN2at6native29vectorized_elementwise_kernelILi4EZZZNS0_12_GLOBAL__N_139_amp_non_finite_check_and_unscale_cuda_ERNS_6TensorES4_RKS3_ENKUlvE_clEvENKUlvE0_clEvEUlfE_St5arrayIPcLm2EEEEviT0_T1_
		.amdhsa_group_segment_fixed_size 0
		.amdhsa_private_segment_fixed_size 0
		.amdhsa_kernarg_size 40
		.amdhsa_user_sgpr_count 15
		.amdhsa_user_sgpr_dispatch_ptr 0
		.amdhsa_user_sgpr_queue_ptr 0
		.amdhsa_user_sgpr_kernarg_segment_ptr 1
		.amdhsa_user_sgpr_dispatch_id 0
		.amdhsa_user_sgpr_private_segment_size 0
		.amdhsa_wavefront_size32 1
		.amdhsa_uses_dynamic_stack 0
		.amdhsa_enable_private_segment 0
		.amdhsa_system_sgpr_workgroup_id_x 1
		.amdhsa_system_sgpr_workgroup_id_y 0
		.amdhsa_system_sgpr_workgroup_id_z 0
		.amdhsa_system_sgpr_workgroup_info 0
		.amdhsa_system_vgpr_workitem_id 0
		.amdhsa_next_free_vgpr 14
		.amdhsa_next_free_sgpr 16
		.amdhsa_reserve_vcc 1
		.amdhsa_float_round_mode_32 0
		.amdhsa_float_round_mode_16_64 0
		.amdhsa_float_denorm_mode_32 3
		.amdhsa_float_denorm_mode_16_64 3
		.amdhsa_dx10_clamp 1
		.amdhsa_ieee_mode 1
		.amdhsa_fp16_overflow 0
		.amdhsa_workgroup_processor_mode 1
		.amdhsa_memory_ordered 1
		.amdhsa_forward_progress 0
		.amdhsa_shared_vgpr_count 0
		.amdhsa_exception_fp_ieee_invalid_op 0
		.amdhsa_exception_fp_denorm_src 0
		.amdhsa_exception_fp_ieee_div_zero 0
		.amdhsa_exception_fp_ieee_overflow 0
		.amdhsa_exception_fp_ieee_underflow 0
		.amdhsa_exception_fp_ieee_inexact 0
		.amdhsa_exception_int_div_zero 0
	.end_amdhsa_kernel
	.section	.text._ZN2at6native29vectorized_elementwise_kernelILi4EZZZNS0_12_GLOBAL__N_139_amp_non_finite_check_and_unscale_cuda_ERNS_6TensorES4_RKS3_ENKUlvE_clEvENKUlvE0_clEvEUlfE_St5arrayIPcLm2EEEEviT0_T1_,"axG",@progbits,_ZN2at6native29vectorized_elementwise_kernelILi4EZZZNS0_12_GLOBAL__N_139_amp_non_finite_check_and_unscale_cuda_ERNS_6TensorES4_RKS3_ENKUlvE_clEvENKUlvE0_clEvEUlfE_St5arrayIPcLm2EEEEviT0_T1_,comdat
.Lfunc_end11:
	.size	_ZN2at6native29vectorized_elementwise_kernelILi4EZZZNS0_12_GLOBAL__N_139_amp_non_finite_check_and_unscale_cuda_ERNS_6TensorES4_RKS3_ENKUlvE_clEvENKUlvE0_clEvEUlfE_St5arrayIPcLm2EEEEviT0_T1_, .Lfunc_end11-_ZN2at6native29vectorized_elementwise_kernelILi4EZZZNS0_12_GLOBAL__N_139_amp_non_finite_check_and_unscale_cuda_ERNS_6TensorES4_RKS3_ENKUlvE_clEvENKUlvE0_clEvEUlfE_St5arrayIPcLm2EEEEviT0_T1_
                                        ; -- End function
	.section	.AMDGPU.csdata,"",@progbits
; Kernel info:
; codeLenInByte = 1564
; NumSgprs: 18
; NumVgprs: 14
; ScratchSize: 0
; MemoryBound: 0
; FloatMode: 240
; IeeeMode: 1
; LDSByteSize: 0 bytes/workgroup (compile time only)
; SGPRBlocks: 2
; VGPRBlocks: 1
; NumSGPRsForWavesPerEU: 18
; NumVGPRsForWavesPerEU: 14
; Occupancy: 16
; WaveLimiterHint : 0
; COMPUTE_PGM_RSRC2:SCRATCH_EN: 0
; COMPUTE_PGM_RSRC2:USER_SGPR: 15
; COMPUTE_PGM_RSRC2:TRAP_HANDLER: 0
; COMPUTE_PGM_RSRC2:TGID_X_EN: 1
; COMPUTE_PGM_RSRC2:TGID_Y_EN: 0
; COMPUTE_PGM_RSRC2:TGID_Z_EN: 0
; COMPUTE_PGM_RSRC2:TIDIG_COMP_CNT: 0
	.section	.text._ZN2at6native29vectorized_elementwise_kernelILi2EZZZNS0_12_GLOBAL__N_139_amp_non_finite_check_and_unscale_cuda_ERNS_6TensorES4_RKS3_ENKUlvE_clEvENKUlvE0_clEvEUlfE_St5arrayIPcLm2EEEEviT0_T1_,"axG",@progbits,_ZN2at6native29vectorized_elementwise_kernelILi2EZZZNS0_12_GLOBAL__N_139_amp_non_finite_check_and_unscale_cuda_ERNS_6TensorES4_RKS3_ENKUlvE_clEvENKUlvE0_clEvEUlfE_St5arrayIPcLm2EEEEviT0_T1_,comdat
	.globl	_ZN2at6native29vectorized_elementwise_kernelILi2EZZZNS0_12_GLOBAL__N_139_amp_non_finite_check_and_unscale_cuda_ERNS_6TensorES4_RKS3_ENKUlvE_clEvENKUlvE0_clEvEUlfE_St5arrayIPcLm2EEEEviT0_T1_ ; -- Begin function _ZN2at6native29vectorized_elementwise_kernelILi2EZZZNS0_12_GLOBAL__N_139_amp_non_finite_check_and_unscale_cuda_ERNS_6TensorES4_RKS3_ENKUlvE_clEvENKUlvE0_clEvEUlfE_St5arrayIPcLm2EEEEviT0_T1_
	.p2align	8
	.type	_ZN2at6native29vectorized_elementwise_kernelILi2EZZZNS0_12_GLOBAL__N_139_amp_non_finite_check_and_unscale_cuda_ERNS_6TensorES4_RKS3_ENKUlvE_clEvENKUlvE0_clEvEUlfE_St5arrayIPcLm2EEEEviT0_T1_,@function
_ZN2at6native29vectorized_elementwise_kernelILi2EZZZNS0_12_GLOBAL__N_139_amp_non_finite_check_and_unscale_cuda_ERNS_6TensorES4_RKS3_ENKUlvE_clEvENKUlvE0_clEvEUlfE_St5arrayIPcLm2EEEEviT0_T1_: ; @_ZN2at6native29vectorized_elementwise_kernelILi2EZZZNS0_12_GLOBAL__N_139_amp_non_finite_check_and_unscale_cuda_ERNS_6TensorES4_RKS3_ENKUlvE_clEvENKUlvE0_clEvEUlfE_St5arrayIPcLm2EEEEviT0_T1_
; %bb.0:
	s_clause 0x1
	s_load_b32 s3, s[0:1], 0x0
	s_load_b256 s[4:11], s[0:1], 0x8
	s_lshl_b32 s2, s15, 10
	s_mov_b32 s0, -1
	s_waitcnt lgkmcnt(0)
	s_sub_i32 s12, s3, s2
	s_delay_alu instid0(SALU_CYCLE_1)
	s_cmpk_gt_i32 s12, 0x3ff
	s_cbranch_scc0 .LBB12_10
; %bb.1:
	s_ashr_i32 s3, s2, 31
	v_dual_mov_b32 v6, 0 :: v_dual_lshlrev_b32 v5, 3, v0
	s_lshl_b64 s[0:1], s[2:3], 2
	s_mov_b32 s3, exec_lo
	s_add_u32 s14, s10, s0
	s_addc_u32 s15, s11, s1
	s_clause 0x1
	global_load_b64 v[3:4], v5, s[14:15]
	global_load_b64 v[1:2], v5, s[14:15] offset:2048
	s_waitcnt vmcnt(1)
	v_cmpx_nlg_f32_e64 0x7f800000, |v3|
	s_cbranch_execz .LBB12_3
; %bb.2:
	v_mov_b32_e32 v7, 1.0
	global_store_b32 v6, v7, s[4:5]
.LBB12_3:
	s_or_b32 exec_lo, exec_lo, s3
	global_load_b32 v6, v6, s[6:7]
	s_mov_b32 s3, exec_lo
	s_waitcnt vmcnt(0)
	v_mov_b32_e32 v7, v6
	v_cmpx_nlg_f32_e64 0x7f800000, |v4|
	s_cbranch_execz .LBB12_5
; %bb.4:
	v_dual_mov_b32 v7, 0 :: v_dual_mov_b32 v8, 1.0
	global_store_b32 v7, v8, s[4:5]
	global_load_b32 v7, v7, s[6:7]
.LBB12_5:
	s_or_b32 exec_lo, exec_lo, s3
	s_waitcnt vmcnt(0)
	v_mov_b32_e32 v8, v7
	s_mov_b32 s3, exec_lo
	v_cmpx_nlg_f32_e64 0x7f800000, |v1|
	s_cbranch_execz .LBB12_7
; %bb.6:
	v_dual_mov_b32 v8, 0 :: v_dual_mov_b32 v9, 1.0
	global_store_b32 v8, v9, s[4:5]
	global_load_b32 v8, v8, s[6:7]
.LBB12_7:
	s_or_b32 exec_lo, exec_lo, s3
	s_waitcnt vmcnt(0)
	v_mov_b32_e32 v9, v8
	s_mov_b32 s3, exec_lo
	v_cmpx_nlg_f32_e64 0x7f800000, |v2|
	s_cbranch_execz .LBB12_9
; %bb.8:
	v_dual_mov_b32 v9, 0 :: v_dual_mov_b32 v10, 1.0
	global_store_b32 v9, v10, s[4:5]
	global_load_b32 v9, v9, s[6:7]
.LBB12_9:
	s_or_b32 exec_lo, exec_lo, s3
	v_dual_mul_f32 v10, v3, v6 :: v_dual_mul_f32 v11, v4, v7
	v_cmp_eq_f32_e32 vcc_lo, 1.0, v6
	s_waitcnt vmcnt(0)
	v_dual_mul_f32 v12, v1, v8 :: v_dual_mul_f32 v13, v2, v9
	s_add_u32 s14, s8, s0
	s_addc_u32 s15, s9, s1
	v_cndmask_b32_e32 v3, v10, v3, vcc_lo
	v_cmp_eq_f32_e32 vcc_lo, 1.0, v7
	s_mov_b32 s0, 0
	v_cndmask_b32_e32 v4, v11, v4, vcc_lo
	v_cmp_eq_f32_e32 vcc_lo, 1.0, v8
	v_cndmask_b32_e32 v1, v12, v1, vcc_lo
	v_cmp_eq_f32_e32 vcc_lo, 1.0, v9
	v_cndmask_b32_e32 v2, v13, v2, vcc_lo
	s_clause 0x1
	global_store_b64 v5, v[3:4], s[14:15]
	global_store_b64 v5, v[1:2], s[14:15] offset:2048
.LBB12_10:
	s_and_b32 vcc_lo, exec_lo, s0
	s_cbranch_vccz .LBB12_37
; %bb.11:
	v_cmp_gt_i32_e32 vcc_lo, s12, v0
	v_dual_mov_b32 v8, 0 :: v_dual_mov_b32 v1, v0
	v_or_b32_e32 v5, s2, v0
	v_or_b32_e32 v7, 0x100, v0
	v_mov_b32_e32 v10, 0
	s_and_saveexec_b32 s1, vcc_lo
	s_cbranch_execz .LBB12_13
; %bb.12:
	v_mov_b32_e32 v6, 0
	s_delay_alu instid0(VALU_DEP_1) | instskip(NEXT) | instid1(VALU_DEP_1)
	v_lshlrev_b64 v[1:2], 2, v[5:6]
	v_add_co_u32 v1, s0, s10, v1
	s_delay_alu instid0(VALU_DEP_1)
	v_add_co_ci_u32_e64 v2, s0, s11, v2, s0
	global_load_b32 v10, v[1:2], off
	v_or_b32_e32 v1, 0x100, v0
.LBB12_13:
	s_or_b32 exec_lo, exec_lo, s1
	s_delay_alu instid0(SALU_CYCLE_1) | instskip(NEXT) | instid1(VALU_DEP_1)
	s_mov_b32 s1, exec_lo
	v_cmpx_gt_i32_e64 s12, v1
	s_cbranch_execz .LBB12_15
; %bb.14:
	v_dual_mov_b32 v3, 0 :: v_dual_add_nc_u32 v2, s2, v1
	v_add_nc_u32_e32 v1, 0x100, v1
	s_delay_alu instid0(VALU_DEP_2) | instskip(NEXT) | instid1(VALU_DEP_1)
	v_lshlrev_b64 v[2:3], 2, v[2:3]
	v_add_co_u32 v2, s0, s10, v2
	s_delay_alu instid0(VALU_DEP_1)
	v_add_co_ci_u32_e64 v3, s0, s11, v3, s0
	global_load_b32 v8, v[2:3], off
.LBB12_15:
	s_or_b32 exec_lo, exec_lo, s1
	v_dual_mov_b32 v6, 0 :: v_dual_mov_b32 v9, 0
	s_mov_b32 s1, exec_lo
	v_cmpx_gt_i32_e64 s12, v1
	s_cbranch_execnz .LBB12_19
; %bb.16:
	s_or_b32 exec_lo, exec_lo, s1
	s_delay_alu instid0(SALU_CYCLE_1)
	s_mov_b32 s1, exec_lo
	v_cmpx_gt_i32_e64 s12, v1
	s_cbranch_execnz .LBB12_20
.LBB12_17:
	s_or_b32 exec_lo, exec_lo, s1
                                        ; implicit-def: $vgpr1_vgpr2_vgpr3_vgpr4
	s_and_saveexec_b32 s1, vcc_lo
	s_cbranch_execnz .LBB12_21
.LBB12_18:
	s_or_b32 exec_lo, exec_lo, s1
	s_delay_alu instid0(SALU_CYCLE_1)
	s_mov_b32 s1, exec_lo
	v_cmpx_gt_i32_e64 s12, v7
	s_cbranch_execnz .LBB12_24
	s_branch .LBB12_27
.LBB12_19:
	v_dual_mov_b32 v3, 0 :: v_dual_add_nc_u32 v2, s2, v1
	v_add_nc_u32_e32 v1, 0x100, v1
	s_delay_alu instid0(VALU_DEP_2) | instskip(NEXT) | instid1(VALU_DEP_1)
	v_lshlrev_b64 v[2:3], 2, v[2:3]
	v_add_co_u32 v2, s0, s10, v2
	s_delay_alu instid0(VALU_DEP_1) | instskip(SKIP_2) | instid1(SALU_CYCLE_1)
	v_add_co_ci_u32_e64 v3, s0, s11, v3, s0
	global_load_b32 v9, v[2:3], off
	s_or_b32 exec_lo, exec_lo, s1
	s_mov_b32 s1, exec_lo
	v_cmpx_gt_i32_e64 s12, v1
	s_cbranch_execz .LBB12_17
.LBB12_20:
	v_dual_mov_b32 v2, 0 :: v_dual_add_nc_u32 v1, s2, v1
	s_delay_alu instid0(VALU_DEP_1) | instskip(NEXT) | instid1(VALU_DEP_1)
	v_lshlrev_b64 v[1:2], 2, v[1:2]
	v_add_co_u32 v1, s0, s10, v1
	s_delay_alu instid0(VALU_DEP_1)
	v_add_co_ci_u32_e64 v2, s0, s11, v2, s0
	global_load_b32 v6, v[1:2], off
	s_or_b32 exec_lo, exec_lo, s1
                                        ; implicit-def: $vgpr1_vgpr2_vgpr3_vgpr4
	s_and_saveexec_b32 s1, vcc_lo
	s_cbranch_execz .LBB12_18
.LBB12_21:
	s_mov_b32 s0, exec_lo
	s_waitcnt vmcnt(0)
	v_cmpx_nlg_f32_e64 0x7f800000, |v10|
	s_cbranch_execz .LBB12_23
; %bb.22:
	v_dual_mov_b32 v1, 0 :: v_dual_mov_b32 v2, 1.0
	global_store_b32 v1, v2, s[4:5]
.LBB12_23:
	s_or_b32 exec_lo, exec_lo, s0
	v_mov_b32_e32 v1, 0
	global_load_b32 v1, v1, s[6:7]
	s_waitcnt vmcnt(0)
	v_mul_f32_e32 v2, v10, v1
	v_cmp_eq_f32_e64 s0, 1.0, v1
	s_delay_alu instid0(VALU_DEP_1) | instskip(SKIP_1) | instid1(SALU_CYCLE_1)
	v_cndmask_b32_e64 v1, v2, v10, s0
	s_or_b32 exec_lo, exec_lo, s1
	s_mov_b32 s1, exec_lo
	v_cmpx_gt_i32_e64 s12, v7
	s_cbranch_execz .LBB12_27
.LBB12_24:
	s_mov_b32 s0, exec_lo
	s_waitcnt vmcnt(0)
	v_cmpx_nlg_f32_e64 0x7f800000, |v8|
	s_cbranch_execz .LBB12_26
; %bb.25:
	v_mov_b32_e32 v2, 0
	v_mov_b32_e32 v10, 1.0
	global_store_b32 v2, v10, s[4:5]
.LBB12_26:
	s_or_b32 exec_lo, exec_lo, s0
	v_mov_b32_e32 v2, 0
	global_load_b32 v2, v2, s[6:7]
	s_waitcnt vmcnt(0)
	v_mul_f32_e32 v10, v8, v2
	v_cmp_eq_f32_e64 s0, 1.0, v2
	s_delay_alu instid0(VALU_DEP_1)
	v_cndmask_b32_e64 v2, v10, v8, s0
.LBB12_27:
	s_or_b32 exec_lo, exec_lo, s1
	s_waitcnt vmcnt(0)
	v_or_b32_e32 v8, 0x200, v0
	s_mov_b32 s1, exec_lo
	s_delay_alu instid0(VALU_DEP_1)
	v_cmpx_gt_i32_e64 s12, v8
	s_cbranch_execz .LBB12_31
; %bb.28:
	s_mov_b32 s0, exec_lo
	v_cmpx_nlg_f32_e64 0x7f800000, |v9|
	s_cbranch_execz .LBB12_30
; %bb.29:
	v_dual_mov_b32 v3, 0 :: v_dual_mov_b32 v8, 1.0
	global_store_b32 v3, v8, s[4:5]
.LBB12_30:
	s_or_b32 exec_lo, exec_lo, s0
	v_mov_b32_e32 v3, 0
	global_load_b32 v3, v3, s[6:7]
	s_waitcnt vmcnt(0)
	v_mul_f32_e32 v8, v9, v3
	v_cmp_eq_f32_e64 s0, 1.0, v3
	s_delay_alu instid0(VALU_DEP_1)
	v_cndmask_b32_e64 v3, v8, v9, s0
.LBB12_31:
	s_or_b32 exec_lo, exec_lo, s1
	v_or_b32_e32 v8, 0x300, v0
	s_mov_b32 s1, exec_lo
	s_delay_alu instid0(VALU_DEP_1)
	v_cmpx_gt_i32_e64 s12, v8
	s_cbranch_execnz .LBB12_38
; %bb.32:
	s_or_b32 exec_lo, exec_lo, s1
	s_and_saveexec_b32 s0, vcc_lo
	s_delay_alu instid0(SALU_CYCLE_1)
	s_xor_b32 s0, exec_lo, s0
	s_cbranch_execnz .LBB12_41
.LBB12_33:
	s_or_b32 exec_lo, exec_lo, s0
	s_delay_alu instid0(SALU_CYCLE_1)
	s_mov_b32 s0, exec_lo
	v_cmpx_gt_i32_e64 s12, v0
	s_cbranch_execnz .LBB12_42
.LBB12_34:
	s_or_b32 exec_lo, exec_lo, s0
	s_delay_alu instid0(SALU_CYCLE_1)
	s_mov_b32 s0, exec_lo
	v_cmpx_gt_i32_e64 s12, v0
	s_cbranch_execnz .LBB12_43
.LBB12_35:
	s_or_b32 exec_lo, exec_lo, s0
	s_delay_alu instid0(SALU_CYCLE_1)
	s_mov_b32 s0, exec_lo
	v_cmpx_gt_i32_e64 s12, v0
	s_cbranch_execz .LBB12_37
.LBB12_36:
	v_dual_mov_b32 v1, 0 :: v_dual_add_nc_u32 v0, s2, v0
	s_delay_alu instid0(VALU_DEP_1) | instskip(NEXT) | instid1(VALU_DEP_1)
	v_lshlrev_b64 v[0:1], 2, v[0:1]
	v_add_co_u32 v0, vcc_lo, s8, v0
	s_delay_alu instid0(VALU_DEP_2)
	v_add_co_ci_u32_e32 v1, vcc_lo, s9, v1, vcc_lo
	global_store_b32 v[0:1], v4, off
.LBB12_37:
	s_nop 0
	s_sendmsg sendmsg(MSG_DEALLOC_VGPRS)
	s_endpgm
.LBB12_38:
	s_mov_b32 s0, exec_lo
	v_cmpx_nlg_f32_e64 0x7f800000, |v6|
	s_cbranch_execz .LBB12_40
; %bb.39:
	v_mov_b32_e32 v4, 0
	v_mov_b32_e32 v8, 1.0
	global_store_b32 v4, v8, s[4:5]
.LBB12_40:
	s_or_b32 exec_lo, exec_lo, s0
	v_mov_b32_e32 v4, 0
	global_load_b32 v4, v4, s[6:7]
	s_waitcnt vmcnt(0)
	v_mul_f32_e32 v8, v6, v4
	v_cmp_eq_f32_e64 s0, 1.0, v4
	s_delay_alu instid0(VALU_DEP_1) | instskip(SKIP_2) | instid1(SALU_CYCLE_1)
	v_cndmask_b32_e64 v4, v8, v6, s0
	s_or_b32 exec_lo, exec_lo, s1
	s_and_saveexec_b32 s0, vcc_lo
	s_xor_b32 s0, exec_lo, s0
	s_cbranch_execz .LBB12_33
.LBB12_41:
	v_mov_b32_e32 v6, 0
	v_mov_b32_e32 v0, v7
	s_delay_alu instid0(VALU_DEP_2) | instskip(NEXT) | instid1(VALU_DEP_1)
	v_lshlrev_b64 v[5:6], 2, v[5:6]
	v_add_co_u32 v5, vcc_lo, s8, v5
	s_delay_alu instid0(VALU_DEP_2) | instskip(SKIP_2) | instid1(SALU_CYCLE_1)
	v_add_co_ci_u32_e32 v6, vcc_lo, s9, v6, vcc_lo
	global_store_b32 v[5:6], v1, off
	s_or_b32 exec_lo, exec_lo, s0
	s_mov_b32 s0, exec_lo
	v_cmpx_gt_i32_e64 s12, v0
	s_cbranch_execz .LBB12_34
.LBB12_42:
	v_dual_mov_b32 v6, 0 :: v_dual_add_nc_u32 v5, s2, v0
	v_add_nc_u32_e32 v0, 0x100, v0
	s_delay_alu instid0(VALU_DEP_2) | instskip(NEXT) | instid1(VALU_DEP_1)
	v_lshlrev_b64 v[5:6], 2, v[5:6]
	v_add_co_u32 v5, vcc_lo, s8, v5
	s_delay_alu instid0(VALU_DEP_2) | instskip(SKIP_2) | instid1(SALU_CYCLE_1)
	v_add_co_ci_u32_e32 v6, vcc_lo, s9, v6, vcc_lo
	global_store_b32 v[5:6], v2, off
	s_or_b32 exec_lo, exec_lo, s0
	s_mov_b32 s0, exec_lo
	v_cmpx_gt_i32_e64 s12, v0
	s_cbranch_execz .LBB12_35
.LBB12_43:
	v_dual_mov_b32 v2, 0 :: v_dual_add_nc_u32 v1, s2, v0
	v_add_nc_u32_e32 v0, 0x100, v0
	s_delay_alu instid0(VALU_DEP_2) | instskip(NEXT) | instid1(VALU_DEP_1)
	v_lshlrev_b64 v[1:2], 2, v[1:2]
	v_add_co_u32 v1, vcc_lo, s8, v1
	s_delay_alu instid0(VALU_DEP_2) | instskip(SKIP_2) | instid1(SALU_CYCLE_1)
	v_add_co_ci_u32_e32 v2, vcc_lo, s9, v2, vcc_lo
	global_store_b32 v[1:2], v3, off
	s_or_b32 exec_lo, exec_lo, s0
	s_mov_b32 s0, exec_lo
	v_cmpx_gt_i32_e64 s12, v0
	s_cbranch_execnz .LBB12_36
	s_branch .LBB12_37
	.section	.rodata,"a",@progbits
	.p2align	6, 0x0
	.amdhsa_kernel _ZN2at6native29vectorized_elementwise_kernelILi2EZZZNS0_12_GLOBAL__N_139_amp_non_finite_check_and_unscale_cuda_ERNS_6TensorES4_RKS3_ENKUlvE_clEvENKUlvE0_clEvEUlfE_St5arrayIPcLm2EEEEviT0_T1_
		.amdhsa_group_segment_fixed_size 0
		.amdhsa_private_segment_fixed_size 0
		.amdhsa_kernarg_size 40
		.amdhsa_user_sgpr_count 15
		.amdhsa_user_sgpr_dispatch_ptr 0
		.amdhsa_user_sgpr_queue_ptr 0
		.amdhsa_user_sgpr_kernarg_segment_ptr 1
		.amdhsa_user_sgpr_dispatch_id 0
		.amdhsa_user_sgpr_private_segment_size 0
		.amdhsa_wavefront_size32 1
		.amdhsa_uses_dynamic_stack 0
		.amdhsa_enable_private_segment 0
		.amdhsa_system_sgpr_workgroup_id_x 1
		.amdhsa_system_sgpr_workgroup_id_y 0
		.amdhsa_system_sgpr_workgroup_id_z 0
		.amdhsa_system_sgpr_workgroup_info 0
		.amdhsa_system_vgpr_workitem_id 0
		.amdhsa_next_free_vgpr 14
		.amdhsa_next_free_sgpr 16
		.amdhsa_reserve_vcc 1
		.amdhsa_float_round_mode_32 0
		.amdhsa_float_round_mode_16_64 0
		.amdhsa_float_denorm_mode_32 3
		.amdhsa_float_denorm_mode_16_64 3
		.amdhsa_dx10_clamp 1
		.amdhsa_ieee_mode 1
		.amdhsa_fp16_overflow 0
		.amdhsa_workgroup_processor_mode 1
		.amdhsa_memory_ordered 1
		.amdhsa_forward_progress 0
		.amdhsa_shared_vgpr_count 0
		.amdhsa_exception_fp_ieee_invalid_op 0
		.amdhsa_exception_fp_denorm_src 0
		.amdhsa_exception_fp_ieee_div_zero 0
		.amdhsa_exception_fp_ieee_overflow 0
		.amdhsa_exception_fp_ieee_underflow 0
		.amdhsa_exception_fp_ieee_inexact 0
		.amdhsa_exception_int_div_zero 0
	.end_amdhsa_kernel
	.section	.text._ZN2at6native29vectorized_elementwise_kernelILi2EZZZNS0_12_GLOBAL__N_139_amp_non_finite_check_and_unscale_cuda_ERNS_6TensorES4_RKS3_ENKUlvE_clEvENKUlvE0_clEvEUlfE_St5arrayIPcLm2EEEEviT0_T1_,"axG",@progbits,_ZN2at6native29vectorized_elementwise_kernelILi2EZZZNS0_12_GLOBAL__N_139_amp_non_finite_check_and_unscale_cuda_ERNS_6TensorES4_RKS3_ENKUlvE_clEvENKUlvE0_clEvEUlfE_St5arrayIPcLm2EEEEviT0_T1_,comdat
.Lfunc_end12:
	.size	_ZN2at6native29vectorized_elementwise_kernelILi2EZZZNS0_12_GLOBAL__N_139_amp_non_finite_check_and_unscale_cuda_ERNS_6TensorES4_RKS3_ENKUlvE_clEvENKUlvE0_clEvEUlfE_St5arrayIPcLm2EEEEviT0_T1_, .Lfunc_end12-_ZN2at6native29vectorized_elementwise_kernelILi2EZZZNS0_12_GLOBAL__N_139_amp_non_finite_check_and_unscale_cuda_ERNS_6TensorES4_RKS3_ENKUlvE_clEvENKUlvE0_clEvEUlfE_St5arrayIPcLm2EEEEviT0_T1_
                                        ; -- End function
	.section	.AMDGPU.csdata,"",@progbits
; Kernel info:
; codeLenInByte = 1588
; NumSgprs: 18
; NumVgprs: 14
; ScratchSize: 0
; MemoryBound: 0
; FloatMode: 240
; IeeeMode: 1
; LDSByteSize: 0 bytes/workgroup (compile time only)
; SGPRBlocks: 2
; VGPRBlocks: 1
; NumSGPRsForWavesPerEU: 18
; NumVGPRsForWavesPerEU: 14
; Occupancy: 16
; WaveLimiterHint : 1
; COMPUTE_PGM_RSRC2:SCRATCH_EN: 0
; COMPUTE_PGM_RSRC2:USER_SGPR: 15
; COMPUTE_PGM_RSRC2:TRAP_HANDLER: 0
; COMPUTE_PGM_RSRC2:TGID_X_EN: 1
; COMPUTE_PGM_RSRC2:TGID_Y_EN: 0
; COMPUTE_PGM_RSRC2:TGID_Z_EN: 0
; COMPUTE_PGM_RSRC2:TIDIG_COMP_CNT: 0
	.section	.text._ZN2at6native27unrolled_elementwise_kernelIZZZNS0_12_GLOBAL__N_139_amp_non_finite_check_and_unscale_cuda_ERNS_6TensorES4_RKS3_ENKUlvE_clEvENKUlvE0_clEvEUlfE_St5arrayIPcLm2EELi4E23TrivialOffsetCalculatorILi1EjESE_NS0_6memory15LoadWithoutCastENSF_16StoreWithoutCastEEEviT_T0_T2_T3_T4_T5_,"axG",@progbits,_ZN2at6native27unrolled_elementwise_kernelIZZZNS0_12_GLOBAL__N_139_amp_non_finite_check_and_unscale_cuda_ERNS_6TensorES4_RKS3_ENKUlvE_clEvENKUlvE0_clEvEUlfE_St5arrayIPcLm2EELi4E23TrivialOffsetCalculatorILi1EjESE_NS0_6memory15LoadWithoutCastENSF_16StoreWithoutCastEEEviT_T0_T2_T3_T4_T5_,comdat
	.globl	_ZN2at6native27unrolled_elementwise_kernelIZZZNS0_12_GLOBAL__N_139_amp_non_finite_check_and_unscale_cuda_ERNS_6TensorES4_RKS3_ENKUlvE_clEvENKUlvE0_clEvEUlfE_St5arrayIPcLm2EELi4E23TrivialOffsetCalculatorILi1EjESE_NS0_6memory15LoadWithoutCastENSF_16StoreWithoutCastEEEviT_T0_T2_T3_T4_T5_ ; -- Begin function _ZN2at6native27unrolled_elementwise_kernelIZZZNS0_12_GLOBAL__N_139_amp_non_finite_check_and_unscale_cuda_ERNS_6TensorES4_RKS3_ENKUlvE_clEvENKUlvE0_clEvEUlfE_St5arrayIPcLm2EELi4E23TrivialOffsetCalculatorILi1EjESE_NS0_6memory15LoadWithoutCastENSF_16StoreWithoutCastEEEviT_T0_T2_T3_T4_T5_
	.p2align	8
	.type	_ZN2at6native27unrolled_elementwise_kernelIZZZNS0_12_GLOBAL__N_139_amp_non_finite_check_and_unscale_cuda_ERNS_6TensorES4_RKS3_ENKUlvE_clEvENKUlvE0_clEvEUlfE_St5arrayIPcLm2EELi4E23TrivialOffsetCalculatorILi1EjESE_NS0_6memory15LoadWithoutCastENSF_16StoreWithoutCastEEEviT_T0_T2_T3_T4_T5_,@function
_ZN2at6native27unrolled_elementwise_kernelIZZZNS0_12_GLOBAL__N_139_amp_non_finite_check_and_unscale_cuda_ERNS_6TensorES4_RKS3_ENKUlvE_clEvENKUlvE0_clEvEUlfE_St5arrayIPcLm2EELi4E23TrivialOffsetCalculatorILi1EjESE_NS0_6memory15LoadWithoutCastENSF_16StoreWithoutCastEEEviT_T0_T2_T3_T4_T5_: ; @_ZN2at6native27unrolled_elementwise_kernelIZZZNS0_12_GLOBAL__N_139_amp_non_finite_check_and_unscale_cuda_ERNS_6TensorES4_RKS3_ENKUlvE_clEvENKUlvE0_clEvEUlfE_St5arrayIPcLm2EELi4E23TrivialOffsetCalculatorILi1EjESE_NS0_6memory15LoadWithoutCastENSF_16StoreWithoutCastEEEviT_T0_T2_T3_T4_T5_
; %bb.0:
	s_clause 0x1
	s_load_b32 s2, s[0:1], 0x0
	s_load_b256 s[4:11], s[0:1], 0x8
	s_lshl_b32 s1, s15, 10
	v_dual_mov_b32 v8, 0 :: v_dual_mov_b32 v1, v0
	v_mov_b32_e32 v10, 0
	v_or_b32_e32 v5, s1, v0
	v_or_b32_e32 v7, 0x100, v0
	s_waitcnt lgkmcnt(0)
	s_sub_i32 s2, s2, s1
	s_delay_alu instid0(SALU_CYCLE_1)
	v_cmp_gt_i32_e32 vcc_lo, s2, v0
	s_and_saveexec_b32 s3, vcc_lo
	s_cbranch_execz .LBB13_2
; %bb.1:
	v_mov_b32_e32 v6, 0
	s_delay_alu instid0(VALU_DEP_1) | instskip(NEXT) | instid1(VALU_DEP_1)
	v_lshlrev_b64 v[1:2], 2, v[5:6]
	v_add_co_u32 v1, s0, s10, v1
	s_delay_alu instid0(VALU_DEP_1)
	v_add_co_ci_u32_e64 v2, s0, s11, v2, s0
	global_load_b32 v10, v[1:2], off
	v_or_b32_e32 v1, 0x100, v0
.LBB13_2:
	s_or_b32 exec_lo, exec_lo, s3
	s_delay_alu instid0(SALU_CYCLE_1) | instskip(NEXT) | instid1(VALU_DEP_1)
	s_mov_b32 s3, exec_lo
	v_cmpx_gt_i32_e64 s2, v1
	s_cbranch_execz .LBB13_4
; %bb.3:
	v_dual_mov_b32 v3, 0 :: v_dual_add_nc_u32 v2, s1, v1
	v_add_nc_u32_e32 v1, 0x100, v1
	s_delay_alu instid0(VALU_DEP_2) | instskip(NEXT) | instid1(VALU_DEP_1)
	v_lshlrev_b64 v[2:3], 2, v[2:3]
	v_add_co_u32 v2, s0, s10, v2
	s_delay_alu instid0(VALU_DEP_1)
	v_add_co_ci_u32_e64 v3, s0, s11, v3, s0
	global_load_b32 v8, v[2:3], off
.LBB13_4:
	s_or_b32 exec_lo, exec_lo, s3
	v_dual_mov_b32 v6, 0 :: v_dual_mov_b32 v9, 0
	s_mov_b32 s3, exec_lo
	v_cmpx_gt_i32_e64 s2, v1
	s_cbranch_execnz .LBB13_8
; %bb.5:
	s_or_b32 exec_lo, exec_lo, s3
	s_delay_alu instid0(SALU_CYCLE_1)
	s_mov_b32 s3, exec_lo
	v_cmpx_gt_i32_e64 s2, v1
	s_cbranch_execnz .LBB13_9
.LBB13_6:
	s_or_b32 exec_lo, exec_lo, s3
                                        ; implicit-def: $vgpr1_vgpr2_vgpr3_vgpr4
	s_and_saveexec_b32 s3, vcc_lo
	s_cbranch_execnz .LBB13_10
.LBB13_7:
	s_or_b32 exec_lo, exec_lo, s3
	s_delay_alu instid0(SALU_CYCLE_1)
	s_mov_b32 s3, exec_lo
	v_cmpx_gt_i32_e64 s2, v7
	s_cbranch_execnz .LBB13_13
	s_branch .LBB13_16
.LBB13_8:
	v_dual_mov_b32 v3, 0 :: v_dual_add_nc_u32 v2, s1, v1
	v_add_nc_u32_e32 v1, 0x100, v1
	s_delay_alu instid0(VALU_DEP_2) | instskip(NEXT) | instid1(VALU_DEP_1)
	v_lshlrev_b64 v[2:3], 2, v[2:3]
	v_add_co_u32 v2, s0, s10, v2
	s_delay_alu instid0(VALU_DEP_1) | instskip(SKIP_2) | instid1(SALU_CYCLE_1)
	v_add_co_ci_u32_e64 v3, s0, s11, v3, s0
	global_load_b32 v9, v[2:3], off
	s_or_b32 exec_lo, exec_lo, s3
	s_mov_b32 s3, exec_lo
	v_cmpx_gt_i32_e64 s2, v1
	s_cbranch_execz .LBB13_6
.LBB13_9:
	v_dual_mov_b32 v2, 0 :: v_dual_add_nc_u32 v1, s1, v1
	s_delay_alu instid0(VALU_DEP_1) | instskip(NEXT) | instid1(VALU_DEP_1)
	v_lshlrev_b64 v[1:2], 2, v[1:2]
	v_add_co_u32 v1, s0, s10, v1
	s_delay_alu instid0(VALU_DEP_1)
	v_add_co_ci_u32_e64 v2, s0, s11, v2, s0
	global_load_b32 v6, v[1:2], off
	s_or_b32 exec_lo, exec_lo, s3
                                        ; implicit-def: $vgpr1_vgpr2_vgpr3_vgpr4
	s_and_saveexec_b32 s3, vcc_lo
	s_cbranch_execz .LBB13_7
.LBB13_10:
	s_mov_b32 s0, exec_lo
	s_waitcnt vmcnt(0)
	v_cmpx_nlg_f32_e64 0x7f800000, |v10|
	s_cbranch_execz .LBB13_12
; %bb.11:
	v_dual_mov_b32 v1, 0 :: v_dual_mov_b32 v2, 1.0
	global_store_b32 v1, v2, s[4:5]
.LBB13_12:
	s_or_b32 exec_lo, exec_lo, s0
	v_mov_b32_e32 v1, 0
	global_load_b32 v1, v1, s[6:7]
	s_waitcnt vmcnt(0)
	v_mul_f32_e32 v2, v10, v1
	v_cmp_eq_f32_e64 s0, 1.0, v1
	s_delay_alu instid0(VALU_DEP_1) | instskip(SKIP_1) | instid1(SALU_CYCLE_1)
	v_cndmask_b32_e64 v1, v2, v10, s0
	s_or_b32 exec_lo, exec_lo, s3
	s_mov_b32 s3, exec_lo
	v_cmpx_gt_i32_e64 s2, v7
	s_cbranch_execz .LBB13_16
.LBB13_13:
	s_mov_b32 s0, exec_lo
	s_waitcnt vmcnt(0)
	v_cmpx_nlg_f32_e64 0x7f800000, |v8|
	s_cbranch_execz .LBB13_15
; %bb.14:
	v_mov_b32_e32 v2, 0
	v_mov_b32_e32 v10, 1.0
	global_store_b32 v2, v10, s[4:5]
.LBB13_15:
	s_or_b32 exec_lo, exec_lo, s0
	v_mov_b32_e32 v2, 0
	global_load_b32 v2, v2, s[6:7]
	s_waitcnt vmcnt(0)
	v_mul_f32_e32 v10, v8, v2
	v_cmp_eq_f32_e64 s0, 1.0, v2
	s_delay_alu instid0(VALU_DEP_1)
	v_cndmask_b32_e64 v2, v10, v8, s0
.LBB13_16:
	s_or_b32 exec_lo, exec_lo, s3
	s_waitcnt vmcnt(0)
	v_or_b32_e32 v8, 0x200, v0
	s_mov_b32 s3, exec_lo
	s_delay_alu instid0(VALU_DEP_1)
	v_cmpx_gt_i32_e64 s2, v8
	s_cbranch_execz .LBB13_20
; %bb.17:
	s_mov_b32 s0, exec_lo
	v_cmpx_nlg_f32_e64 0x7f800000, |v9|
	s_cbranch_execz .LBB13_19
; %bb.18:
	v_dual_mov_b32 v3, 0 :: v_dual_mov_b32 v8, 1.0
	global_store_b32 v3, v8, s[4:5]
.LBB13_19:
	s_or_b32 exec_lo, exec_lo, s0
	v_mov_b32_e32 v3, 0
	global_load_b32 v3, v3, s[6:7]
	s_waitcnt vmcnt(0)
	v_mul_f32_e32 v8, v9, v3
	v_cmp_eq_f32_e64 s0, 1.0, v3
	s_delay_alu instid0(VALU_DEP_1)
	v_cndmask_b32_e64 v3, v8, v9, s0
.LBB13_20:
	s_or_b32 exec_lo, exec_lo, s3
	v_or_b32_e32 v8, 0x300, v0
	s_mov_b32 s3, exec_lo
	s_delay_alu instid0(VALU_DEP_1)
	v_cmpx_gt_i32_e64 s2, v8
	s_cbranch_execnz .LBB13_26
; %bb.21:
	s_or_b32 exec_lo, exec_lo, s3
	s_and_saveexec_b32 s0, vcc_lo
	s_delay_alu instid0(SALU_CYCLE_1)
	s_xor_b32 s0, exec_lo, s0
	s_cbranch_execnz .LBB13_29
.LBB13_22:
	s_or_b32 exec_lo, exec_lo, s0
	s_delay_alu instid0(SALU_CYCLE_1)
	s_mov_b32 s0, exec_lo
	v_cmpx_gt_i32_e64 s2, v0
	s_cbranch_execnz .LBB13_30
.LBB13_23:
	s_or_b32 exec_lo, exec_lo, s0
	s_delay_alu instid0(SALU_CYCLE_1)
	s_mov_b32 s0, exec_lo
	v_cmpx_gt_i32_e64 s2, v0
	s_cbranch_execnz .LBB13_31
.LBB13_24:
	s_or_b32 exec_lo, exec_lo, s0
	s_delay_alu instid0(SALU_CYCLE_1)
	s_mov_b32 s0, exec_lo
	v_cmpx_gt_i32_e64 s2, v0
	s_cbranch_execnz .LBB13_32
.LBB13_25:
	s_nop 0
	s_sendmsg sendmsg(MSG_DEALLOC_VGPRS)
	s_endpgm
.LBB13_26:
	s_mov_b32 s0, exec_lo
	v_cmpx_nlg_f32_e64 0x7f800000, |v6|
	s_cbranch_execz .LBB13_28
; %bb.27:
	v_mov_b32_e32 v4, 0
	v_mov_b32_e32 v8, 1.0
	global_store_b32 v4, v8, s[4:5]
.LBB13_28:
	s_or_b32 exec_lo, exec_lo, s0
	v_mov_b32_e32 v4, 0
	global_load_b32 v4, v4, s[6:7]
	s_waitcnt vmcnt(0)
	v_mul_f32_e32 v8, v6, v4
	v_cmp_eq_f32_e64 s0, 1.0, v4
	s_delay_alu instid0(VALU_DEP_1) | instskip(SKIP_2) | instid1(SALU_CYCLE_1)
	v_cndmask_b32_e64 v4, v8, v6, s0
	s_or_b32 exec_lo, exec_lo, s3
	s_and_saveexec_b32 s0, vcc_lo
	s_xor_b32 s0, exec_lo, s0
	s_cbranch_execz .LBB13_22
.LBB13_29:
	v_mov_b32_e32 v6, 0
	v_mov_b32_e32 v0, v7
	s_delay_alu instid0(VALU_DEP_2) | instskip(NEXT) | instid1(VALU_DEP_1)
	v_lshlrev_b64 v[5:6], 2, v[5:6]
	v_add_co_u32 v5, vcc_lo, s8, v5
	s_delay_alu instid0(VALU_DEP_2) | instskip(SKIP_2) | instid1(SALU_CYCLE_1)
	v_add_co_ci_u32_e32 v6, vcc_lo, s9, v6, vcc_lo
	global_store_b32 v[5:6], v1, off
	s_or_b32 exec_lo, exec_lo, s0
	s_mov_b32 s0, exec_lo
	v_cmpx_gt_i32_e64 s2, v0
	s_cbranch_execz .LBB13_23
.LBB13_30:
	v_dual_mov_b32 v6, 0 :: v_dual_add_nc_u32 v5, s1, v0
	v_add_nc_u32_e32 v0, 0x100, v0
	s_delay_alu instid0(VALU_DEP_2) | instskip(NEXT) | instid1(VALU_DEP_1)
	v_lshlrev_b64 v[5:6], 2, v[5:6]
	v_add_co_u32 v5, vcc_lo, s8, v5
	s_delay_alu instid0(VALU_DEP_2) | instskip(SKIP_2) | instid1(SALU_CYCLE_1)
	v_add_co_ci_u32_e32 v6, vcc_lo, s9, v6, vcc_lo
	global_store_b32 v[5:6], v2, off
	s_or_b32 exec_lo, exec_lo, s0
	s_mov_b32 s0, exec_lo
	v_cmpx_gt_i32_e64 s2, v0
	s_cbranch_execz .LBB13_24
.LBB13_31:
	v_dual_mov_b32 v2, 0 :: v_dual_add_nc_u32 v1, s1, v0
	v_add_nc_u32_e32 v0, 0x100, v0
	s_delay_alu instid0(VALU_DEP_2) | instskip(NEXT) | instid1(VALU_DEP_1)
	v_lshlrev_b64 v[1:2], 2, v[1:2]
	v_add_co_u32 v1, vcc_lo, s8, v1
	s_delay_alu instid0(VALU_DEP_2) | instskip(SKIP_2) | instid1(SALU_CYCLE_1)
	v_add_co_ci_u32_e32 v2, vcc_lo, s9, v2, vcc_lo
	global_store_b32 v[1:2], v3, off
	s_or_b32 exec_lo, exec_lo, s0
	s_mov_b32 s0, exec_lo
	v_cmpx_gt_i32_e64 s2, v0
	s_cbranch_execz .LBB13_25
.LBB13_32:
	v_dual_mov_b32 v1, 0 :: v_dual_add_nc_u32 v0, s1, v0
	s_delay_alu instid0(VALU_DEP_1) | instskip(NEXT) | instid1(VALU_DEP_1)
	v_lshlrev_b64 v[0:1], 2, v[0:1]
	v_add_co_u32 v0, vcc_lo, s8, v0
	s_delay_alu instid0(VALU_DEP_2)
	v_add_co_ci_u32_e32 v1, vcc_lo, s9, v1, vcc_lo
	global_store_b32 v[0:1], v4, off
	s_nop 0
	s_sendmsg sendmsg(MSG_DEALLOC_VGPRS)
	s_endpgm
	.section	.rodata,"a",@progbits
	.p2align	6, 0x0
	.amdhsa_kernel _ZN2at6native27unrolled_elementwise_kernelIZZZNS0_12_GLOBAL__N_139_amp_non_finite_check_and_unscale_cuda_ERNS_6TensorES4_RKS3_ENKUlvE_clEvENKUlvE0_clEvEUlfE_St5arrayIPcLm2EELi4E23TrivialOffsetCalculatorILi1EjESE_NS0_6memory15LoadWithoutCastENSF_16StoreWithoutCastEEEviT_T0_T2_T3_T4_T5_
		.amdhsa_group_segment_fixed_size 0
		.amdhsa_private_segment_fixed_size 0
		.amdhsa_kernarg_size 44
		.amdhsa_user_sgpr_count 15
		.amdhsa_user_sgpr_dispatch_ptr 0
		.amdhsa_user_sgpr_queue_ptr 0
		.amdhsa_user_sgpr_kernarg_segment_ptr 1
		.amdhsa_user_sgpr_dispatch_id 0
		.amdhsa_user_sgpr_private_segment_size 0
		.amdhsa_wavefront_size32 1
		.amdhsa_uses_dynamic_stack 0
		.amdhsa_enable_private_segment 0
		.amdhsa_system_sgpr_workgroup_id_x 1
		.amdhsa_system_sgpr_workgroup_id_y 0
		.amdhsa_system_sgpr_workgroup_id_z 0
		.amdhsa_system_sgpr_workgroup_info 0
		.amdhsa_system_vgpr_workitem_id 0
		.amdhsa_next_free_vgpr 11
		.amdhsa_next_free_sgpr 16
		.amdhsa_reserve_vcc 1
		.amdhsa_float_round_mode_32 0
		.amdhsa_float_round_mode_16_64 0
		.amdhsa_float_denorm_mode_32 3
		.amdhsa_float_denorm_mode_16_64 3
		.amdhsa_dx10_clamp 1
		.amdhsa_ieee_mode 1
		.amdhsa_fp16_overflow 0
		.amdhsa_workgroup_processor_mode 1
		.amdhsa_memory_ordered 1
		.amdhsa_forward_progress 0
		.amdhsa_shared_vgpr_count 0
		.amdhsa_exception_fp_ieee_invalid_op 0
		.amdhsa_exception_fp_denorm_src 0
		.amdhsa_exception_fp_ieee_div_zero 0
		.amdhsa_exception_fp_ieee_overflow 0
		.amdhsa_exception_fp_ieee_underflow 0
		.amdhsa_exception_fp_ieee_inexact 0
		.amdhsa_exception_int_div_zero 0
	.end_amdhsa_kernel
	.section	.text._ZN2at6native27unrolled_elementwise_kernelIZZZNS0_12_GLOBAL__N_139_amp_non_finite_check_and_unscale_cuda_ERNS_6TensorES4_RKS3_ENKUlvE_clEvENKUlvE0_clEvEUlfE_St5arrayIPcLm2EELi4E23TrivialOffsetCalculatorILi1EjESE_NS0_6memory15LoadWithoutCastENSF_16StoreWithoutCastEEEviT_T0_T2_T3_T4_T5_,"axG",@progbits,_ZN2at6native27unrolled_elementwise_kernelIZZZNS0_12_GLOBAL__N_139_amp_non_finite_check_and_unscale_cuda_ERNS_6TensorES4_RKS3_ENKUlvE_clEvENKUlvE0_clEvEUlfE_St5arrayIPcLm2EELi4E23TrivialOffsetCalculatorILi1EjESE_NS0_6memory15LoadWithoutCastENSF_16StoreWithoutCastEEEviT_T0_T2_T3_T4_T5_,comdat
.Lfunc_end13:
	.size	_ZN2at6native27unrolled_elementwise_kernelIZZZNS0_12_GLOBAL__N_139_amp_non_finite_check_and_unscale_cuda_ERNS_6TensorES4_RKS3_ENKUlvE_clEvENKUlvE0_clEvEUlfE_St5arrayIPcLm2EELi4E23TrivialOffsetCalculatorILi1EjESE_NS0_6memory15LoadWithoutCastENSF_16StoreWithoutCastEEEviT_T0_T2_T3_T4_T5_, .Lfunc_end13-_ZN2at6native27unrolled_elementwise_kernelIZZZNS0_12_GLOBAL__N_139_amp_non_finite_check_and_unscale_cuda_ERNS_6TensorES4_RKS3_ENKUlvE_clEvENKUlvE0_clEvEUlfE_St5arrayIPcLm2EELi4E23TrivialOffsetCalculatorILi1EjESE_NS0_6memory15LoadWithoutCastENSF_16StoreWithoutCastEEEviT_T0_T2_T3_T4_T5_
                                        ; -- End function
	.section	.AMDGPU.csdata,"",@progbits
; Kernel info:
; codeLenInByte = 1232
; NumSgprs: 18
; NumVgprs: 11
; ScratchSize: 0
; MemoryBound: 0
; FloatMode: 240
; IeeeMode: 1
; LDSByteSize: 0 bytes/workgroup (compile time only)
; SGPRBlocks: 2
; VGPRBlocks: 1
; NumSGPRsForWavesPerEU: 18
; NumVGPRsForWavesPerEU: 11
; Occupancy: 16
; WaveLimiterHint : 0
; COMPUTE_PGM_RSRC2:SCRATCH_EN: 0
; COMPUTE_PGM_RSRC2:USER_SGPR: 15
; COMPUTE_PGM_RSRC2:TRAP_HANDLER: 0
; COMPUTE_PGM_RSRC2:TGID_X_EN: 1
; COMPUTE_PGM_RSRC2:TGID_Y_EN: 0
; COMPUTE_PGM_RSRC2:TGID_Z_EN: 0
; COMPUTE_PGM_RSRC2:TIDIG_COMP_CNT: 0
	.section	.text._ZN2at6native32elementwise_kernel_manual_unrollILi128ELi4EZNS0_22gpu_kernel_impl_nocastIZZZNS0_12_GLOBAL__N_139_amp_non_finite_check_and_unscale_cuda_ERNS_6TensorES5_RKS4_ENKUlvE_clEvENKUlvE0_clEvEUlfE_EEvRNS_18TensorIteratorBaseERKT_EUlibE_EEviT1_,"axG",@progbits,_ZN2at6native32elementwise_kernel_manual_unrollILi128ELi4EZNS0_22gpu_kernel_impl_nocastIZZZNS0_12_GLOBAL__N_139_amp_non_finite_check_and_unscale_cuda_ERNS_6TensorES5_RKS4_ENKUlvE_clEvENKUlvE0_clEvEUlfE_EEvRNS_18TensorIteratorBaseERKT_EUlibE_EEviT1_,comdat
	.globl	_ZN2at6native32elementwise_kernel_manual_unrollILi128ELi4EZNS0_22gpu_kernel_impl_nocastIZZZNS0_12_GLOBAL__N_139_amp_non_finite_check_and_unscale_cuda_ERNS_6TensorES5_RKS4_ENKUlvE_clEvENKUlvE0_clEvEUlfE_EEvRNS_18TensorIteratorBaseERKT_EUlibE_EEviT1_ ; -- Begin function _ZN2at6native32elementwise_kernel_manual_unrollILi128ELi4EZNS0_22gpu_kernel_impl_nocastIZZZNS0_12_GLOBAL__N_139_amp_non_finite_check_and_unscale_cuda_ERNS_6TensorES5_RKS4_ENKUlvE_clEvENKUlvE0_clEvEUlfE_EEvRNS_18TensorIteratorBaseERKT_EUlibE_EEviT1_
	.p2align	8
	.type	_ZN2at6native32elementwise_kernel_manual_unrollILi128ELi4EZNS0_22gpu_kernel_impl_nocastIZZZNS0_12_GLOBAL__N_139_amp_non_finite_check_and_unscale_cuda_ERNS_6TensorES5_RKS4_ENKUlvE_clEvENKUlvE0_clEvEUlfE_EEvRNS_18TensorIteratorBaseERKT_EUlibE_EEviT1_,@function
_ZN2at6native32elementwise_kernel_manual_unrollILi128ELi4EZNS0_22gpu_kernel_impl_nocastIZZZNS0_12_GLOBAL__N_139_amp_non_finite_check_and_unscale_cuda_ERNS_6TensorES5_RKS4_ENKUlvE_clEvENKUlvE0_clEvEUlfE_EEvRNS_18TensorIteratorBaseERKT_EUlibE_EEviT1_: ; @_ZN2at6native32elementwise_kernel_manual_unrollILi128ELi4EZNS0_22gpu_kernel_impl_nocastIZZZNS0_12_GLOBAL__N_139_amp_non_finite_check_and_unscale_cuda_ERNS_6TensorES5_RKS4_ENKUlvE_clEvENKUlvE0_clEvEUlfE_EEvRNS_18TensorIteratorBaseERKT_EUlibE_EEviT1_
; %bb.0:
	s_clause 0x1
	s_load_b32 s26, s[0:1], 0x8
	s_load_b32 s31, s[0:1], 0x0
	v_lshl_or_b32 v4, s15, 9, v0
	s_or_b32 s0, s0, 8
	s_mov_b32 s2, exec_lo
	s_delay_alu instid0(VALU_DEP_1) | instskip(SKIP_2) | instid1(SALU_CYCLE_1)
	v_or_b32_e32 v8, 0x180, v4
	s_waitcnt lgkmcnt(0)
	s_add_i32 s27, s26, -1
	s_cmp_gt_u32 s27, 1
	s_cselect_b32 s28, -1, 0
	v_cmpx_le_i32_e64 s31, v8
	s_xor_b32 s29, exec_lo, s2
	s_cbranch_execz .LBB14_7
; %bb.1:
	s_clause 0x3
	s_load_b128 s[16:19], s[0:1], 0x4
	s_load_b64 s[2:3], s[0:1], 0x14
	s_load_b128 s[12:15], s[0:1], 0xc4
	s_load_b256 s[4:11], s[0:1], 0x148
	s_cmp_lg_u32 s26, 0
	s_mov_b32 s35, exec_lo
	s_cselect_b32 s34, -1, 0
	s_add_u32 s20, s0, 0xc4
	s_addc_u32 s21, s1, 0
	s_min_u32 s33, s27, 15
	s_cmp_gt_u32 s26, 1
	s_cselect_b32 s30, -1, 0
	v_cmpx_gt_i32_e64 s31, v4
	s_cbranch_execz .LBB14_14
; %bb.2:
	s_and_not1_b32 vcc_lo, exec_lo, s28
	s_cbranch_vccnz .LBB14_21
; %bb.3:
	v_dual_mov_b32 v0, 0 :: v_dual_mov_b32 v1, 0
	s_and_not1_b32 vcc_lo, exec_lo, s34
	s_mov_b32 s36, 0
	s_cbranch_vccnz .LBB14_81
; %bb.4:
	v_mov_b32_e32 v0, 0
	s_add_i32 s38, s33, 1
	s_cmp_eq_u32 s27, 2
	s_mov_b32 s37, 0
	s_cbranch_scc1 .LBB14_77
; %bb.5:
	v_dual_mov_b32 v1, 0 :: v_dual_mov_b32 v0, 0
	v_mov_b32_e32 v2, v4
	s_and_b32 s37, s38, 28
	s_mov_b32 s39, 0
	s_mov_b64 s[22:23], s[20:21]
	s_mov_b64 s[24:25], s[0:1]
.LBB14_6:                               ; =>This Inner Loop Header: Depth=1
	s_clause 0x1
	s_load_b256 s[40:47], s[24:25], 0x4
	s_load_b128 s[56:59], s[24:25], 0x24
	s_load_b256 s[48:55], s[22:23], 0x0
	s_add_u32 s24, s24, 48
	s_addc_u32 s25, s25, 0
	s_add_i32 s39, s39, 4
	s_add_u32 s22, s22, 32
	s_addc_u32 s23, s23, 0
	s_cmp_lg_u32 s37, s39
	s_waitcnt lgkmcnt(0)
	v_mul_hi_u32 v3, s41, v2
	s_delay_alu instid0(VALU_DEP_1) | instskip(NEXT) | instid1(VALU_DEP_1)
	v_add_nc_u32_e32 v3, v2, v3
	v_lshrrev_b32_e32 v3, s42, v3
	s_delay_alu instid0(VALU_DEP_1) | instskip(SKIP_1) | instid1(VALU_DEP_2)
	v_mul_hi_u32 v5, s44, v3
	v_mul_lo_u32 v7, v3, s40
	v_add_nc_u32_e32 v5, v3, v5
	s_delay_alu instid0(VALU_DEP_2) | instskip(NEXT) | instid1(VALU_DEP_2)
	v_sub_nc_u32_e32 v2, v2, v7
	v_lshrrev_b32_e32 v5, s45, v5
	s_delay_alu instid0(VALU_DEP_2) | instskip(SKIP_1) | instid1(VALU_DEP_3)
	v_mul_lo_u32 v7, v2, s48
	v_mul_lo_u32 v9, v2, s49
	v_mul_hi_u32 v6, s47, v5
	s_delay_alu instid0(VALU_DEP_1) | instskip(NEXT) | instid1(VALU_DEP_1)
	v_add_nc_u32_e32 v6, v5, v6
	v_lshrrev_b32_e32 v6, s56, v6
	s_delay_alu instid0(VALU_DEP_1) | instskip(SKIP_1) | instid1(VALU_DEP_2)
	v_mul_hi_u32 v8, s58, v6
	v_mul_lo_u32 v10, v6, s46
	v_add_nc_u32_e32 v2, v6, v8
	v_mul_lo_u32 v8, v5, s43
	s_delay_alu instid0(VALU_DEP_3) | instskip(NEXT) | instid1(VALU_DEP_3)
	v_sub_nc_u32_e32 v5, v5, v10
	v_lshrrev_b32_e32 v2, s59, v2
	s_delay_alu instid0(VALU_DEP_2) | instskip(SKIP_2) | instid1(VALU_DEP_4)
	v_mul_lo_u32 v10, v5, s52
	v_mul_lo_u32 v5, v5, s53
	v_sub_nc_u32_e32 v3, v3, v8
	v_mul_lo_u32 v11, v2, s57
	s_delay_alu instid0(VALU_DEP_2) | instskip(SKIP_1) | instid1(VALU_DEP_3)
	v_mul_lo_u32 v8, v3, s50
	v_mul_lo_u32 v3, v3, s51
	v_sub_nc_u32_e32 v6, v6, v11
	s_delay_alu instid0(VALU_DEP_3) | instskip(NEXT) | instid1(VALU_DEP_2)
	v_add3_u32 v0, v7, v0, v8
	v_mul_lo_u32 v11, v6, s54
	v_mul_lo_u32 v6, v6, s55
	v_add3_u32 v1, v9, v1, v3
	s_delay_alu instid0(VALU_DEP_3) | instskip(NEXT) | instid1(VALU_DEP_2)
	v_add3_u32 v0, v10, v0, v11
	v_add3_u32 v1, v5, v1, v6
	s_cbranch_scc1 .LBB14_6
	s_branch .LBB14_78
.LBB14_7:
	s_and_not1_saveexec_b32 s2, s29
	s_cbranch_execz .LBB14_106
.LBB14_8:
	v_cndmask_b32_e64 v6, 0, 1, s28
	s_and_not1_b32 vcc_lo, exec_lo, s28
	s_cbranch_vccnz .LBB14_20
; %bb.9:
	v_dual_mov_b32 v0, 0 :: v_dual_mov_b32 v1, 0
	s_cmp_lg_u32 s26, 0
	s_mov_b32 s6, 0
	s_cbranch_scc0 .LBB14_26
; %bb.10:
	s_min_u32 s7, s27, 15
	v_mov_b32_e32 v0, 0
	s_add_i32 s7, s7, 1
	s_cmp_eq_u32 s27, 2
	s_mov_b32 s8, 0
	s_cbranch_scc1 .LBB14_23
; %bb.11:
	v_dual_mov_b32 v1, 0 :: v_dual_mov_b32 v0, 0
	v_mov_b32_e32 v2, v4
	s_add_u32 s2, s0, 0xc4
	s_addc_u32 s3, s1, 0
	s_and_b32 s8, s7, 28
	s_mov_b32 s9, 0
	s_mov_b64 s[4:5], s[0:1]
.LBB14_12:                              ; =>This Inner Loop Header: Depth=1
	s_clause 0x1
	s_load_b256 s[12:19], s[4:5], 0x4
	s_load_b128 s[20:23], s[4:5], 0x24
	s_load_b256 s[36:43], s[2:3], 0x0
	s_add_u32 s4, s4, 48
	s_addc_u32 s5, s5, 0
	s_add_i32 s9, s9, 4
	s_add_u32 s2, s2, 32
	s_addc_u32 s3, s3, 0
	s_cmp_lg_u32 s8, s9
	s_waitcnt lgkmcnt(0)
	v_mul_hi_u32 v3, s13, v2
	s_delay_alu instid0(VALU_DEP_1) | instskip(NEXT) | instid1(VALU_DEP_1)
	v_add_nc_u32_e32 v3, v2, v3
	v_lshrrev_b32_e32 v3, s14, v3
	s_delay_alu instid0(VALU_DEP_1) | instskip(SKIP_1) | instid1(VALU_DEP_2)
	v_mul_hi_u32 v5, s16, v3
	v_mul_lo_u32 v9, v3, s12
	v_add_nc_u32_e32 v5, v3, v5
	s_delay_alu instid0(VALU_DEP_2) | instskip(NEXT) | instid1(VALU_DEP_2)
	v_sub_nc_u32_e32 v2, v2, v9
	v_lshrrev_b32_e32 v5, s17, v5
	s_delay_alu instid0(VALU_DEP_2) | instskip(SKIP_1) | instid1(VALU_DEP_3)
	v_mul_lo_u32 v9, v2, s36
	v_mul_lo_u32 v11, v2, s37
	v_mul_hi_u32 v7, s19, v5
	s_delay_alu instid0(VALU_DEP_1) | instskip(NEXT) | instid1(VALU_DEP_1)
	v_add_nc_u32_e32 v7, v5, v7
	v_lshrrev_b32_e32 v7, s20, v7
	s_delay_alu instid0(VALU_DEP_1) | instskip(SKIP_1) | instid1(VALU_DEP_2)
	v_mul_hi_u32 v10, s22, v7
	v_mul_lo_u32 v12, v7, s18
	v_add_nc_u32_e32 v2, v7, v10
	v_mul_lo_u32 v10, v5, s15
	s_delay_alu instid0(VALU_DEP_3) | instskip(NEXT) | instid1(VALU_DEP_3)
	v_sub_nc_u32_e32 v5, v5, v12
	v_lshrrev_b32_e32 v2, s23, v2
	s_delay_alu instid0(VALU_DEP_2) | instskip(SKIP_2) | instid1(VALU_DEP_4)
	v_mul_lo_u32 v12, v5, s40
	v_mul_lo_u32 v5, v5, s41
	v_sub_nc_u32_e32 v3, v3, v10
	v_mul_lo_u32 v13, v2, s21
	s_delay_alu instid0(VALU_DEP_2) | instskip(SKIP_1) | instid1(VALU_DEP_3)
	v_mul_lo_u32 v10, v3, s38
	v_mul_lo_u32 v3, v3, s39
	v_sub_nc_u32_e32 v7, v7, v13
	s_delay_alu instid0(VALU_DEP_3) | instskip(NEXT) | instid1(VALU_DEP_2)
	v_add3_u32 v0, v9, v0, v10
	v_mul_lo_u32 v13, v7, s42
	v_mul_lo_u32 v7, v7, s43
	v_add3_u32 v1, v11, v1, v3
	s_delay_alu instid0(VALU_DEP_3) | instskip(NEXT) | instid1(VALU_DEP_2)
	v_add3_u32 v0, v12, v0, v13
	v_add3_u32 v1, v5, v1, v7
	s_cbranch_scc1 .LBB14_12
; %bb.13:
	s_and_b32 s7, s7, 3
	s_delay_alu instid0(SALU_CYCLE_1)
	s_cmp_eq_u32 s7, 0
	s_cbranch_scc0 .LBB14_24
	s_branch .LBB14_26
.LBB14_14:
	s_or_b32 exec_lo, exec_lo, s35
	s_delay_alu instid0(SALU_CYCLE_1)
	s_mov_b32 s35, exec_lo
	v_cmpx_gt_i32_e64 s31, v4
	s_cbranch_execz .LBB14_87
.LBB14_15:
	s_and_not1_b32 vcc_lo, exec_lo, s28
	s_cbranch_vccnz .LBB14_22
; %bb.16:
	v_dual_mov_b32 v0, 0 :: v_dual_mov_b32 v1, 0
	s_and_not1_b32 vcc_lo, exec_lo, s34
	s_mov_b32 s36, 0
	s_cbranch_vccnz .LBB14_98
; %bb.17:
	v_mov_b32_e32 v0, 0
	s_add_i32 s38, s33, 1
	s_cmp_eq_u32 s27, 2
	s_mov_b32 s37, 0
	s_cbranch_scc1 .LBB14_94
; %bb.18:
	v_dual_mov_b32 v1, 0 :: v_dual_mov_b32 v0, 0
	v_mov_b32_e32 v2, v4
	s_and_b32 s37, s38, 28
	s_mov_b32 s39, 0
	s_mov_b64 s[22:23], s[20:21]
	s_mov_b64 s[24:25], s[0:1]
.LBB14_19:                              ; =>This Inner Loop Header: Depth=1
	s_clause 0x1
	s_load_b256 s[40:47], s[24:25], 0x4
	s_load_b128 s[56:59], s[24:25], 0x24
	s_load_b256 s[48:55], s[22:23], 0x0
	s_add_u32 s24, s24, 48
	s_addc_u32 s25, s25, 0
	s_add_i32 s39, s39, 4
	s_add_u32 s22, s22, 32
	s_addc_u32 s23, s23, 0
	s_cmp_eq_u32 s37, s39
	s_waitcnt lgkmcnt(0)
	v_mul_hi_u32 v3, s41, v2
	s_delay_alu instid0(VALU_DEP_1) | instskip(NEXT) | instid1(VALU_DEP_1)
	v_add_nc_u32_e32 v3, v2, v3
	v_lshrrev_b32_e32 v3, s42, v3
	s_delay_alu instid0(VALU_DEP_1) | instskip(SKIP_1) | instid1(VALU_DEP_2)
	v_mul_hi_u32 v5, s44, v3
	v_mul_lo_u32 v7, v3, s40
	v_add_nc_u32_e32 v5, v3, v5
	s_delay_alu instid0(VALU_DEP_2) | instskip(NEXT) | instid1(VALU_DEP_2)
	v_sub_nc_u32_e32 v2, v2, v7
	v_lshrrev_b32_e32 v5, s45, v5
	s_delay_alu instid0(VALU_DEP_2) | instskip(SKIP_1) | instid1(VALU_DEP_3)
	v_mul_lo_u32 v7, v2, s48
	v_mul_lo_u32 v9, v2, s49
	v_mul_hi_u32 v6, s47, v5
	s_delay_alu instid0(VALU_DEP_1) | instskip(NEXT) | instid1(VALU_DEP_1)
	v_add_nc_u32_e32 v6, v5, v6
	v_lshrrev_b32_e32 v6, s56, v6
	s_delay_alu instid0(VALU_DEP_1) | instskip(SKIP_1) | instid1(VALU_DEP_2)
	v_mul_hi_u32 v8, s58, v6
	v_mul_lo_u32 v10, v6, s46
	v_add_nc_u32_e32 v2, v6, v8
	v_mul_lo_u32 v8, v5, s43
	s_delay_alu instid0(VALU_DEP_3) | instskip(NEXT) | instid1(VALU_DEP_3)
	v_sub_nc_u32_e32 v5, v5, v10
	v_lshrrev_b32_e32 v2, s59, v2
	s_delay_alu instid0(VALU_DEP_2) | instskip(SKIP_2) | instid1(VALU_DEP_4)
	v_mul_lo_u32 v10, v5, s52
	v_mul_lo_u32 v5, v5, s53
	v_sub_nc_u32_e32 v3, v3, v8
	v_mul_lo_u32 v11, v2, s57
	s_delay_alu instid0(VALU_DEP_2) | instskip(SKIP_1) | instid1(VALU_DEP_3)
	v_mul_lo_u32 v8, v3, s50
	v_mul_lo_u32 v3, v3, s51
	v_sub_nc_u32_e32 v6, v6, v11
	s_delay_alu instid0(VALU_DEP_3) | instskip(NEXT) | instid1(VALU_DEP_2)
	v_add3_u32 v0, v7, v0, v8
	v_mul_lo_u32 v11, v6, s54
	v_mul_lo_u32 v6, v6, s55
	v_add3_u32 v1, v9, v1, v3
	s_delay_alu instid0(VALU_DEP_3) | instskip(NEXT) | instid1(VALU_DEP_2)
	v_add3_u32 v0, v10, v0, v11
	v_add3_u32 v1, v5, v1, v6
	s_cbranch_scc0 .LBB14_19
	s_branch .LBB14_95
.LBB14_20:
	s_mov_b32 s6, -1
                                        ; implicit-def: $vgpr0
                                        ; implicit-def: $vgpr1
	s_branch .LBB14_26
.LBB14_21:
	s_mov_b32 s36, -1
                                        ; implicit-def: $vgpr0
                                        ; implicit-def: $vgpr1
	s_branch .LBB14_81
.LBB14_22:
	s_mov_b32 s36, -1
                                        ; implicit-def: $vgpr0
                                        ; implicit-def: $vgpr1
	s_branch .LBB14_98
.LBB14_23:
	v_dual_mov_b32 v2, v4 :: v_dual_mov_b32 v1, 0
	s_and_b32 s7, s7, 3
	s_delay_alu instid0(SALU_CYCLE_1)
	s_cmp_eq_u32 s7, 0
	s_cbranch_scc1 .LBB14_26
.LBB14_24:
	s_lshl_b32 s2, s8, 3
	s_mul_i32 s4, s8, 12
	s_add_u32 s2, s2, s0
	s_addc_u32 s3, 0, s1
	s_add_u32 s2, s2, 0xc4
	s_addc_u32 s3, s3, 0
	;; [unrolled: 2-line block ×3, first 2 shown]
	.p2align	6
.LBB14_25:                              ; =>This Inner Loop Header: Depth=1
	s_clause 0x1
	s_load_b64 s[8:9], s[4:5], 0x4
	s_load_b32 s12, s[4:5], 0xc
	s_load_b64 s[10:11], s[2:3], 0x0
	s_add_u32 s4, s4, 12
	s_addc_u32 s5, s5, 0
	s_add_u32 s2, s2, 8
	s_addc_u32 s3, s3, 0
	s_add_i32 s7, s7, -1
	s_delay_alu instid0(SALU_CYCLE_1) | instskip(SKIP_2) | instid1(VALU_DEP_1)
	s_cmp_lg_u32 s7, 0
	s_waitcnt lgkmcnt(0)
	v_mul_hi_u32 v3, s9, v2
	v_add_nc_u32_e32 v3, v2, v3
	s_delay_alu instid0(VALU_DEP_1) | instskip(NEXT) | instid1(VALU_DEP_1)
	v_lshrrev_b32_e32 v3, s12, v3
	v_mul_lo_u32 v5, v3, s8
	s_delay_alu instid0(VALU_DEP_1) | instskip(NEXT) | instid1(VALU_DEP_1)
	v_sub_nc_u32_e32 v2, v2, v5
	v_mad_u64_u32 v[9:10], null, v2, s10, v[0:1]
	v_mad_u64_u32 v[10:11], null, v2, s11, v[1:2]
	v_mov_b32_e32 v2, v3
	s_delay_alu instid0(VALU_DEP_2)
	v_dual_mov_b32 v0, v9 :: v_dual_mov_b32 v1, v10
	s_cbranch_scc1 .LBB14_25
.LBB14_26:
	s_and_not1_b32 vcc_lo, exec_lo, s6
	s_cbranch_vccnz .LBB14_29
; %bb.27:
	s_clause 0x1
	s_load_b128 s[4:7], s[0:1], 0x4
	s_load_b64 s[2:3], s[0:1], 0xc4
	s_cmp_lt_u32 s26, 2
	s_waitcnt lgkmcnt(0)
	v_mul_hi_u32 v0, s5, v4
	s_delay_alu instid0(VALU_DEP_1) | instskip(NEXT) | instid1(VALU_DEP_1)
	v_add_nc_u32_e32 v0, v4, v0
	v_lshrrev_b32_e32 v2, s6, v0
	s_delay_alu instid0(VALU_DEP_1) | instskip(NEXT) | instid1(VALU_DEP_1)
	v_mul_lo_u32 v0, v2, s4
	v_sub_nc_u32_e32 v1, v4, v0
	s_delay_alu instid0(VALU_DEP_1)
	v_mul_lo_u32 v0, v1, s2
	v_mul_lo_u32 v1, v1, s3
	s_cbranch_scc1 .LBB14_29
; %bb.28:
	s_clause 0x1
	s_load_b128 s[4:7], s[0:1], 0x10
	s_load_b64 s[2:3], s[0:1], 0xcc
	s_waitcnt lgkmcnt(0)
	v_mul_hi_u32 v3, s5, v2
	s_delay_alu instid0(VALU_DEP_1) | instskip(NEXT) | instid1(VALU_DEP_1)
	v_add_nc_u32_e32 v3, v2, v3
	v_lshrrev_b32_e32 v3, s6, v3
	s_delay_alu instid0(VALU_DEP_1) | instskip(NEXT) | instid1(VALU_DEP_1)
	v_mul_lo_u32 v3, v3, s4
	v_sub_nc_u32_e32 v5, v2, v3
	s_delay_alu instid0(VALU_DEP_1) | instskip(NEXT) | instid1(VALU_DEP_1)
	v_mad_u64_u32 v[2:3], null, v5, s2, v[0:1]
	v_mad_u64_u32 v[9:10], null, v5, s3, v[1:2]
	s_delay_alu instid0(VALU_DEP_1)
	v_dual_mov_b32 v0, v2 :: v_dual_mov_b32 v1, v9
.LBB14_29:
	v_cmp_ne_u32_e32 vcc_lo, 1, v6
	v_add_nc_u32_e32 v5, 0x80, v4
	s_cbranch_vccnz .LBB14_35
; %bb.30:
	v_dual_mov_b32 v2, 0 :: v_dual_mov_b32 v3, 0
	s_cmp_lg_u32 s26, 0
	s_mov_b32 s6, 0
	s_cbranch_scc0 .LBB14_39
; %bb.31:
	s_min_u32 s7, s27, 15
	v_mov_b32_e32 v2, 0
	s_add_i32 s7, s7, 1
	s_cmp_eq_u32 s27, 2
	s_mov_b32 s8, 0
	s_cbranch_scc1 .LBB14_36
; %bb.32:
	v_dual_mov_b32 v3, 0 :: v_dual_mov_b32 v2, 0
	v_mov_b32_e32 v7, v5
	s_add_u32 s2, s0, 0xc4
	s_addc_u32 s3, s1, 0
	s_and_b32 s8, s7, 28
	s_mov_b32 s9, 0
	s_mov_b64 s[4:5], s[0:1]
.LBB14_33:                              ; =>This Inner Loop Header: Depth=1
	s_clause 0x1
	s_load_b256 s[12:19], s[4:5], 0x4
	s_load_b128 s[20:23], s[4:5], 0x24
	s_load_b256 s[36:43], s[2:3], 0x0
	s_add_u32 s4, s4, 48
	s_addc_u32 s5, s5, 0
	s_add_i32 s9, s9, 4
	s_add_u32 s2, s2, 32
	s_addc_u32 s3, s3, 0
	s_cmp_lg_u32 s8, s9
	s_waitcnt lgkmcnt(0)
	v_mul_hi_u32 v9, s13, v7
	s_delay_alu instid0(VALU_DEP_1) | instskip(NEXT) | instid1(VALU_DEP_1)
	v_add_nc_u32_e32 v9, v7, v9
	v_lshrrev_b32_e32 v9, s14, v9
	s_delay_alu instid0(VALU_DEP_1) | instskip(SKIP_1) | instid1(VALU_DEP_2)
	v_mul_hi_u32 v10, s16, v9
	v_mul_lo_u32 v12, v9, s12
	v_add_nc_u32_e32 v10, v9, v10
	s_delay_alu instid0(VALU_DEP_2) | instskip(NEXT) | instid1(VALU_DEP_2)
	v_sub_nc_u32_e32 v7, v7, v12
	v_lshrrev_b32_e32 v10, s17, v10
	s_delay_alu instid0(VALU_DEP_2) | instskip(SKIP_1) | instid1(VALU_DEP_3)
	v_mul_lo_u32 v12, v7, s36
	v_mul_lo_u32 v14, v7, s37
	v_mul_hi_u32 v11, s19, v10
	s_delay_alu instid0(VALU_DEP_1) | instskip(NEXT) | instid1(VALU_DEP_1)
	v_add_nc_u32_e32 v11, v10, v11
	v_lshrrev_b32_e32 v11, s20, v11
	s_delay_alu instid0(VALU_DEP_1) | instskip(SKIP_1) | instid1(VALU_DEP_2)
	v_mul_hi_u32 v13, s22, v11
	v_mul_lo_u32 v15, v11, s18
	v_add_nc_u32_e32 v7, v11, v13
	v_mul_lo_u32 v13, v10, s15
	s_delay_alu instid0(VALU_DEP_3) | instskip(NEXT) | instid1(VALU_DEP_3)
	v_sub_nc_u32_e32 v10, v10, v15
	v_lshrrev_b32_e32 v7, s23, v7
	s_delay_alu instid0(VALU_DEP_2) | instskip(SKIP_2) | instid1(VALU_DEP_4)
	v_mul_lo_u32 v15, v10, s40
	v_mul_lo_u32 v10, v10, s41
	v_sub_nc_u32_e32 v9, v9, v13
	v_mul_lo_u32 v16, v7, s21
	s_delay_alu instid0(VALU_DEP_2) | instskip(SKIP_1) | instid1(VALU_DEP_3)
	v_mul_lo_u32 v13, v9, s38
	v_mul_lo_u32 v9, v9, s39
	v_sub_nc_u32_e32 v11, v11, v16
	s_delay_alu instid0(VALU_DEP_3) | instskip(NEXT) | instid1(VALU_DEP_2)
	v_add3_u32 v2, v12, v2, v13
	v_mul_lo_u32 v16, v11, s42
	v_mul_lo_u32 v11, v11, s43
	v_add3_u32 v3, v14, v3, v9
	s_delay_alu instid0(VALU_DEP_3) | instskip(NEXT) | instid1(VALU_DEP_2)
	v_add3_u32 v2, v15, v2, v16
	v_add3_u32 v3, v10, v3, v11
	s_cbranch_scc1 .LBB14_33
; %bb.34:
	s_and_b32 s7, s7, 3
	s_delay_alu instid0(SALU_CYCLE_1)
	s_cmp_eq_u32 s7, 0
	s_cbranch_scc0 .LBB14_37
	s_branch .LBB14_39
.LBB14_35:
	s_mov_b32 s6, -1
                                        ; implicit-def: $vgpr2
                                        ; implicit-def: $vgpr3
	s_branch .LBB14_39
.LBB14_36:
	v_mov_b32_e32 v7, v5
	v_mov_b32_e32 v3, 0
	s_and_b32 s7, s7, 3
	s_delay_alu instid0(SALU_CYCLE_1)
	s_cmp_eq_u32 s7, 0
	s_cbranch_scc1 .LBB14_39
.LBB14_37:
	s_lshl_b32 s2, s8, 3
	s_mul_i32 s4, s8, 12
	s_add_u32 s2, s2, s0
	s_addc_u32 s3, 0, s1
	s_add_u32 s2, s2, 0xc4
	s_addc_u32 s3, s3, 0
	;; [unrolled: 2-line block ×3, first 2 shown]
	.p2align	6
.LBB14_38:                              ; =>This Inner Loop Header: Depth=1
	s_clause 0x1
	s_load_b64 s[8:9], s[4:5], 0x4
	s_load_b32 s12, s[4:5], 0xc
	s_load_b64 s[10:11], s[2:3], 0x0
	s_add_u32 s4, s4, 12
	s_addc_u32 s5, s5, 0
	s_add_u32 s2, s2, 8
	s_addc_u32 s3, s3, 0
	s_add_i32 s7, s7, -1
	s_delay_alu instid0(SALU_CYCLE_1) | instskip(SKIP_2) | instid1(VALU_DEP_1)
	s_cmp_lg_u32 s7, 0
	s_waitcnt lgkmcnt(0)
	v_mul_hi_u32 v9, s9, v7
	v_add_nc_u32_e32 v9, v7, v9
	s_delay_alu instid0(VALU_DEP_1) | instskip(NEXT) | instid1(VALU_DEP_1)
	v_lshrrev_b32_e32 v12, s12, v9
	v_mul_lo_u32 v9, v12, s8
	s_delay_alu instid0(VALU_DEP_1) | instskip(NEXT) | instid1(VALU_DEP_1)
	v_sub_nc_u32_e32 v7, v7, v9
	v_mad_u64_u32 v[9:10], null, v7, s10, v[2:3]
	v_mad_u64_u32 v[10:11], null, v7, s11, v[3:4]
	s_delay_alu instid0(VALU_DEP_2) | instskip(NEXT) | instid1(VALU_DEP_2)
	v_dual_mov_b32 v7, v12 :: v_dual_mov_b32 v2, v9
	v_mov_b32_e32 v3, v10
	s_cbranch_scc1 .LBB14_38
.LBB14_39:
	s_and_not1_b32 vcc_lo, exec_lo, s6
	s_cbranch_vccnz .LBB14_42
; %bb.40:
	s_clause 0x1
	s_load_b128 s[4:7], s[0:1], 0x4
	s_load_b64 s[2:3], s[0:1], 0xc4
	s_cmp_lt_u32 s26, 2
	s_waitcnt lgkmcnt(0)
	v_mul_hi_u32 v2, s5, v5
	s_delay_alu instid0(VALU_DEP_1) | instskip(NEXT) | instid1(VALU_DEP_1)
	v_add_nc_u32_e32 v2, v5, v2
	v_lshrrev_b32_e32 v7, s6, v2
	s_delay_alu instid0(VALU_DEP_1) | instskip(NEXT) | instid1(VALU_DEP_1)
	v_mul_lo_u32 v2, v7, s4
	v_sub_nc_u32_e32 v3, v5, v2
	s_delay_alu instid0(VALU_DEP_1)
	v_mul_lo_u32 v2, v3, s2
	v_mul_lo_u32 v3, v3, s3
	s_cbranch_scc1 .LBB14_42
; %bb.41:
	s_clause 0x1
	s_load_b128 s[4:7], s[0:1], 0x10
	s_load_b64 s[2:3], s[0:1], 0xcc
	s_waitcnt lgkmcnt(0)
	v_mul_hi_u32 v5, s5, v7
	s_delay_alu instid0(VALU_DEP_1) | instskip(NEXT) | instid1(VALU_DEP_1)
	v_add_nc_u32_e32 v5, v7, v5
	v_lshrrev_b32_e32 v5, s6, v5
	s_delay_alu instid0(VALU_DEP_1) | instskip(NEXT) | instid1(VALU_DEP_1)
	v_mul_lo_u32 v5, v5, s4
	v_sub_nc_u32_e32 v5, v7, v5
	s_delay_alu instid0(VALU_DEP_1) | instskip(SKIP_1) | instid1(VALU_DEP_1)
	v_mad_u64_u32 v[9:10], null, v5, s2, v[2:3]
	v_mad_u64_u32 v[10:11], null, v5, s3, v[3:4]
	v_dual_mov_b32 v2, v9 :: v_dual_mov_b32 v3, v10
.LBB14_42:
	v_cmp_ne_u32_e32 vcc_lo, 1, v6
	v_add_nc_u32_e32 v7, 0x100, v4
	s_cbranch_vccnz .LBB14_48
; %bb.43:
	v_dual_mov_b32 v4, 0 :: v_dual_mov_b32 v5, 0
	s_cmp_lg_u32 s26, 0
	s_mov_b32 s6, 0
	s_cbranch_scc0 .LBB14_52
; %bb.44:
	s_min_u32 s7, s27, 15
	v_mov_b32_e32 v4, 0
	s_add_i32 s7, s7, 1
	s_cmp_eq_u32 s27, 2
	s_mov_b32 s8, 0
	s_cbranch_scc1 .LBB14_49
; %bb.45:
	v_dual_mov_b32 v5, 0 :: v_dual_mov_b32 v4, 0
	v_mov_b32_e32 v9, v7
	s_add_u32 s2, s0, 0xc4
	s_addc_u32 s3, s1, 0
	s_and_b32 s8, s7, 28
	s_mov_b32 s9, 0
	s_mov_b64 s[4:5], s[0:1]
.LBB14_46:                              ; =>This Inner Loop Header: Depth=1
	s_clause 0x1
	s_load_b256 s[12:19], s[4:5], 0x4
	s_load_b128 s[20:23], s[4:5], 0x24
	s_load_b256 s[36:43], s[2:3], 0x0
	s_add_u32 s4, s4, 48
	s_addc_u32 s5, s5, 0
	s_add_i32 s9, s9, 4
	s_add_u32 s2, s2, 32
	s_addc_u32 s3, s3, 0
	s_cmp_lg_u32 s8, s9
	s_waitcnt lgkmcnt(0)
	v_mul_hi_u32 v10, s13, v9
	s_delay_alu instid0(VALU_DEP_1) | instskip(NEXT) | instid1(VALU_DEP_1)
	v_add_nc_u32_e32 v10, v9, v10
	v_lshrrev_b32_e32 v10, s14, v10
	s_delay_alu instid0(VALU_DEP_1) | instskip(SKIP_1) | instid1(VALU_DEP_2)
	v_mul_hi_u32 v11, s16, v10
	v_mul_lo_u32 v13, v10, s12
	v_add_nc_u32_e32 v11, v10, v11
	s_delay_alu instid0(VALU_DEP_2) | instskip(NEXT) | instid1(VALU_DEP_2)
	v_sub_nc_u32_e32 v9, v9, v13
	v_lshrrev_b32_e32 v11, s17, v11
	s_delay_alu instid0(VALU_DEP_2) | instskip(SKIP_1) | instid1(VALU_DEP_3)
	v_mul_lo_u32 v13, v9, s36
	v_mul_lo_u32 v15, v9, s37
	v_mul_hi_u32 v12, s19, v11
	s_delay_alu instid0(VALU_DEP_1) | instskip(NEXT) | instid1(VALU_DEP_1)
	v_add_nc_u32_e32 v12, v11, v12
	v_lshrrev_b32_e32 v12, s20, v12
	s_delay_alu instid0(VALU_DEP_1) | instskip(SKIP_1) | instid1(VALU_DEP_2)
	v_mul_hi_u32 v14, s22, v12
	v_mul_lo_u32 v16, v12, s18
	v_add_nc_u32_e32 v9, v12, v14
	v_mul_lo_u32 v14, v11, s15
	s_delay_alu instid0(VALU_DEP_3) | instskip(NEXT) | instid1(VALU_DEP_3)
	v_sub_nc_u32_e32 v11, v11, v16
	v_lshrrev_b32_e32 v9, s23, v9
	s_delay_alu instid0(VALU_DEP_2) | instskip(SKIP_2) | instid1(VALU_DEP_4)
	v_mul_lo_u32 v16, v11, s40
	v_mul_lo_u32 v11, v11, s41
	v_sub_nc_u32_e32 v10, v10, v14
	v_mul_lo_u32 v17, v9, s21
	s_delay_alu instid0(VALU_DEP_2) | instskip(SKIP_1) | instid1(VALU_DEP_3)
	v_mul_lo_u32 v14, v10, s38
	v_mul_lo_u32 v10, v10, s39
	v_sub_nc_u32_e32 v12, v12, v17
	s_delay_alu instid0(VALU_DEP_3) | instskip(NEXT) | instid1(VALU_DEP_2)
	v_add3_u32 v4, v13, v4, v14
	v_mul_lo_u32 v17, v12, s42
	v_mul_lo_u32 v12, v12, s43
	v_add3_u32 v5, v15, v5, v10
	s_delay_alu instid0(VALU_DEP_3) | instskip(NEXT) | instid1(VALU_DEP_2)
	v_add3_u32 v4, v16, v4, v17
	v_add3_u32 v5, v11, v5, v12
	s_cbranch_scc1 .LBB14_46
; %bb.47:
	s_and_b32 s7, s7, 3
	s_delay_alu instid0(SALU_CYCLE_1)
	s_cmp_eq_u32 s7, 0
	s_cbranch_scc0 .LBB14_50
	s_branch .LBB14_52
.LBB14_48:
	s_mov_b32 s6, -1
                                        ; implicit-def: $vgpr4
                                        ; implicit-def: $vgpr5
	s_branch .LBB14_52
.LBB14_49:
	v_mov_b32_e32 v9, v7
	v_mov_b32_e32 v5, 0
	s_and_b32 s7, s7, 3
	s_delay_alu instid0(SALU_CYCLE_1)
	s_cmp_eq_u32 s7, 0
	s_cbranch_scc1 .LBB14_52
.LBB14_50:
	s_lshl_b32 s2, s8, 3
	s_mul_i32 s4, s8, 12
	s_add_u32 s2, s2, s0
	s_addc_u32 s3, 0, s1
	s_add_u32 s2, s2, 0xc4
	s_addc_u32 s3, s3, 0
	;; [unrolled: 2-line block ×3, first 2 shown]
	.p2align	6
.LBB14_51:                              ; =>This Inner Loop Header: Depth=1
	s_clause 0x1
	s_load_b64 s[8:9], s[4:5], 0x4
	s_load_b32 s12, s[4:5], 0xc
	s_load_b64 s[10:11], s[2:3], 0x0
	s_add_u32 s4, s4, 12
	s_addc_u32 s5, s5, 0
	s_add_u32 s2, s2, 8
	s_addc_u32 s3, s3, 0
	s_add_i32 s7, s7, -1
	s_delay_alu instid0(SALU_CYCLE_1) | instskip(SKIP_2) | instid1(VALU_DEP_1)
	s_cmp_lg_u32 s7, 0
	s_waitcnt lgkmcnt(0)
	v_mul_hi_u32 v10, s9, v9
	v_add_nc_u32_e32 v10, v9, v10
	s_delay_alu instid0(VALU_DEP_1) | instskip(NEXT) | instid1(VALU_DEP_1)
	v_lshrrev_b32_e32 v13, s12, v10
	v_mul_lo_u32 v10, v13, s8
	s_delay_alu instid0(VALU_DEP_1) | instskip(NEXT) | instid1(VALU_DEP_1)
	v_sub_nc_u32_e32 v9, v9, v10
	v_mad_u64_u32 v[10:11], null, v9, s10, v[4:5]
	v_mad_u64_u32 v[11:12], null, v9, s11, v[5:6]
	s_delay_alu instid0(VALU_DEP_2) | instskip(NEXT) | instid1(VALU_DEP_2)
	v_dual_mov_b32 v9, v13 :: v_dual_mov_b32 v4, v10
	v_mov_b32_e32 v5, v11
	s_cbranch_scc1 .LBB14_51
.LBB14_52:
	s_and_not1_b32 vcc_lo, exec_lo, s6
	s_cbranch_vccnz .LBB14_55
; %bb.53:
	s_clause 0x1
	s_load_b128 s[4:7], s[0:1], 0x4
	s_load_b64 s[2:3], s[0:1], 0xc4
	s_cmp_lt_u32 s26, 2
	s_waitcnt lgkmcnt(0)
	v_mul_hi_u32 v4, s5, v7
	s_delay_alu instid0(VALU_DEP_1) | instskip(NEXT) | instid1(VALU_DEP_1)
	v_add_nc_u32_e32 v4, v7, v4
	v_lshrrev_b32_e32 v9, s6, v4
	s_delay_alu instid0(VALU_DEP_1) | instskip(NEXT) | instid1(VALU_DEP_1)
	v_mul_lo_u32 v4, v9, s4
	v_sub_nc_u32_e32 v5, v7, v4
	s_delay_alu instid0(VALU_DEP_1)
	v_mul_lo_u32 v4, v5, s2
	v_mul_lo_u32 v5, v5, s3
	s_cbranch_scc1 .LBB14_55
; %bb.54:
	s_clause 0x1
	s_load_b128 s[4:7], s[0:1], 0x10
	s_load_b64 s[2:3], s[0:1], 0xcc
	s_waitcnt lgkmcnt(0)
	v_mul_hi_u32 v7, s5, v9
	s_delay_alu instid0(VALU_DEP_1) | instskip(NEXT) | instid1(VALU_DEP_1)
	v_add_nc_u32_e32 v7, v9, v7
	v_lshrrev_b32_e32 v7, s6, v7
	s_delay_alu instid0(VALU_DEP_1) | instskip(NEXT) | instid1(VALU_DEP_1)
	v_mul_lo_u32 v7, v7, s4
	v_sub_nc_u32_e32 v7, v9, v7
	s_delay_alu instid0(VALU_DEP_1) | instskip(SKIP_1) | instid1(VALU_DEP_1)
	v_mad_u64_u32 v[9:10], null, v7, s2, v[4:5]
	v_mad_u64_u32 v[10:11], null, v7, s3, v[5:6]
	v_dual_mov_b32 v4, v9 :: v_dual_mov_b32 v5, v10
.LBB14_55:
	v_cmp_ne_u32_e32 vcc_lo, 1, v6
	s_cbranch_vccnz .LBB14_61
; %bb.56:
	v_dual_mov_b32 v6, 0 :: v_dual_mov_b32 v7, 0
	s_cmp_lg_u32 s26, 0
	s_mov_b32 s6, 0
	s_cbranch_scc0 .LBB14_65
; %bb.57:
	s_min_u32 s7, s27, 15
	v_mov_b32_e32 v6, 0
	s_add_i32 s7, s7, 1
	s_cmp_eq_u32 s27, 2
	s_mov_b32 s8, 0
	s_cbranch_scc1 .LBB14_62
; %bb.58:
	v_dual_mov_b32 v7, 0 :: v_dual_mov_b32 v6, 0
	v_mov_b32_e32 v9, v8
	s_add_u32 s2, s0, 0xc4
	s_addc_u32 s3, s1, 0
	s_and_b32 s8, s7, 28
	s_mov_b32 s9, 0
	s_mov_b64 s[4:5], s[0:1]
.LBB14_59:                              ; =>This Inner Loop Header: Depth=1
	s_clause 0x1
	s_load_b256 s[12:19], s[4:5], 0x4
	s_load_b128 s[20:23], s[4:5], 0x24
	s_load_b256 s[36:43], s[2:3], 0x0
	s_add_u32 s4, s4, 48
	s_addc_u32 s5, s5, 0
	s_add_i32 s9, s9, 4
	s_add_u32 s2, s2, 32
	s_addc_u32 s3, s3, 0
	s_cmp_lg_u32 s8, s9
	s_waitcnt lgkmcnt(0)
	v_mul_hi_u32 v10, s13, v9
	s_delay_alu instid0(VALU_DEP_1) | instskip(NEXT) | instid1(VALU_DEP_1)
	v_add_nc_u32_e32 v10, v9, v10
	v_lshrrev_b32_e32 v10, s14, v10
	s_delay_alu instid0(VALU_DEP_1) | instskip(SKIP_1) | instid1(VALU_DEP_2)
	v_mul_hi_u32 v11, s16, v10
	v_mul_lo_u32 v13, v10, s12
	v_add_nc_u32_e32 v11, v10, v11
	s_delay_alu instid0(VALU_DEP_2) | instskip(NEXT) | instid1(VALU_DEP_2)
	v_sub_nc_u32_e32 v9, v9, v13
	v_lshrrev_b32_e32 v11, s17, v11
	s_delay_alu instid0(VALU_DEP_2) | instskip(SKIP_1) | instid1(VALU_DEP_3)
	v_mul_lo_u32 v13, v9, s36
	v_mul_lo_u32 v15, v9, s37
	v_mul_hi_u32 v12, s19, v11
	s_delay_alu instid0(VALU_DEP_1) | instskip(NEXT) | instid1(VALU_DEP_1)
	v_add_nc_u32_e32 v12, v11, v12
	v_lshrrev_b32_e32 v12, s20, v12
	s_delay_alu instid0(VALU_DEP_1) | instskip(SKIP_1) | instid1(VALU_DEP_2)
	v_mul_hi_u32 v14, s22, v12
	v_mul_lo_u32 v16, v12, s18
	v_add_nc_u32_e32 v9, v12, v14
	v_mul_lo_u32 v14, v11, s15
	s_delay_alu instid0(VALU_DEP_3) | instskip(NEXT) | instid1(VALU_DEP_3)
	v_sub_nc_u32_e32 v11, v11, v16
	v_lshrrev_b32_e32 v9, s23, v9
	s_delay_alu instid0(VALU_DEP_2) | instskip(SKIP_2) | instid1(VALU_DEP_4)
	v_mul_lo_u32 v16, v11, s40
	v_mul_lo_u32 v11, v11, s41
	v_sub_nc_u32_e32 v10, v10, v14
	v_mul_lo_u32 v17, v9, s21
	s_delay_alu instid0(VALU_DEP_2) | instskip(SKIP_1) | instid1(VALU_DEP_3)
	v_mul_lo_u32 v14, v10, s38
	v_mul_lo_u32 v10, v10, s39
	v_sub_nc_u32_e32 v12, v12, v17
	s_delay_alu instid0(VALU_DEP_3) | instskip(NEXT) | instid1(VALU_DEP_2)
	v_add3_u32 v6, v13, v6, v14
	v_mul_lo_u32 v17, v12, s42
	v_mul_lo_u32 v12, v12, s43
	v_add3_u32 v7, v15, v7, v10
	s_delay_alu instid0(VALU_DEP_3) | instskip(NEXT) | instid1(VALU_DEP_2)
	v_add3_u32 v6, v16, v6, v17
	v_add3_u32 v7, v11, v7, v12
	s_cbranch_scc1 .LBB14_59
; %bb.60:
	s_and_b32 s7, s7, 3
	s_delay_alu instid0(SALU_CYCLE_1)
	s_cmp_eq_u32 s7, 0
	s_cbranch_scc0 .LBB14_63
	s_branch .LBB14_65
.LBB14_61:
	s_mov_b32 s6, -1
                                        ; implicit-def: $vgpr6
                                        ; implicit-def: $vgpr7
	s_branch .LBB14_65
.LBB14_62:
	v_mov_b32_e32 v9, v8
	v_mov_b32_e32 v7, 0
	s_and_b32 s7, s7, 3
	s_delay_alu instid0(SALU_CYCLE_1)
	s_cmp_eq_u32 s7, 0
	s_cbranch_scc1 .LBB14_65
.LBB14_63:
	s_lshl_b32 s2, s8, 3
	s_mul_i32 s4, s8, 12
	s_add_u32 s2, s2, s0
	s_addc_u32 s3, 0, s1
	s_add_u32 s2, s2, 0xc4
	s_addc_u32 s3, s3, 0
	s_add_u32 s4, s0, s4
	s_addc_u32 s5, 0, s1
	.p2align	6
.LBB14_64:                              ; =>This Inner Loop Header: Depth=1
	s_clause 0x1
	s_load_b64 s[8:9], s[4:5], 0x4
	s_load_b32 s12, s[4:5], 0xc
	s_load_b64 s[10:11], s[2:3], 0x0
	s_add_u32 s4, s4, 12
	s_addc_u32 s5, s5, 0
	s_add_u32 s2, s2, 8
	s_addc_u32 s3, s3, 0
	s_add_i32 s7, s7, -1
	s_delay_alu instid0(SALU_CYCLE_1) | instskip(SKIP_2) | instid1(VALU_DEP_1)
	s_cmp_lg_u32 s7, 0
	s_waitcnt lgkmcnt(0)
	v_mul_hi_u32 v10, s9, v9
	v_add_nc_u32_e32 v10, v9, v10
	s_delay_alu instid0(VALU_DEP_1) | instskip(NEXT) | instid1(VALU_DEP_1)
	v_lshrrev_b32_e32 v13, s12, v10
	v_mul_lo_u32 v10, v13, s8
	s_delay_alu instid0(VALU_DEP_1) | instskip(NEXT) | instid1(VALU_DEP_1)
	v_sub_nc_u32_e32 v9, v9, v10
	v_mad_u64_u32 v[10:11], null, v9, s10, v[6:7]
	v_mad_u64_u32 v[11:12], null, v9, s11, v[7:8]
	s_delay_alu instid0(VALU_DEP_2) | instskip(NEXT) | instid1(VALU_DEP_2)
	v_dual_mov_b32 v9, v13 :: v_dual_mov_b32 v6, v10
	v_mov_b32_e32 v7, v11
	s_cbranch_scc1 .LBB14_64
.LBB14_65:
	s_and_not1_b32 vcc_lo, exec_lo, s6
	s_cbranch_vccnz .LBB14_68
; %bb.66:
	s_clause 0x1
	s_load_b128 s[4:7], s[0:1], 0x4
	s_load_b64 s[2:3], s[0:1], 0xc4
	s_cmp_lt_u32 s26, 2
	s_waitcnt lgkmcnt(0)
	v_mul_hi_u32 v6, s5, v8
	s_delay_alu instid0(VALU_DEP_1) | instskip(NEXT) | instid1(VALU_DEP_1)
	v_add_nc_u32_e32 v6, v8, v6
	v_lshrrev_b32_e32 v9, s6, v6
	s_delay_alu instid0(VALU_DEP_1) | instskip(NEXT) | instid1(VALU_DEP_1)
	v_mul_lo_u32 v6, v9, s4
	v_sub_nc_u32_e32 v7, v8, v6
	s_delay_alu instid0(VALU_DEP_1)
	v_mul_lo_u32 v6, v7, s2
	v_mul_lo_u32 v7, v7, s3
	s_cbranch_scc1 .LBB14_68
; %bb.67:
	s_clause 0x1
	s_load_b128 s[4:7], s[0:1], 0x10
	s_load_b64 s[2:3], s[0:1], 0xcc
	s_waitcnt lgkmcnt(0)
	v_mul_hi_u32 v8, s5, v9
	s_delay_alu instid0(VALU_DEP_1) | instskip(NEXT) | instid1(VALU_DEP_1)
	v_add_nc_u32_e32 v8, v9, v8
	v_lshrrev_b32_e32 v8, s6, v8
	s_delay_alu instid0(VALU_DEP_1) | instskip(NEXT) | instid1(VALU_DEP_1)
	v_mul_lo_u32 v8, v8, s4
	v_sub_nc_u32_e32 v11, v9, v8
	s_delay_alu instid0(VALU_DEP_1) | instskip(NEXT) | instid1(VALU_DEP_1)
	v_mad_u64_u32 v[8:9], null, v11, s2, v[6:7]
	v_mad_u64_u32 v[9:10], null, v11, s3, v[7:8]
	s_delay_alu instid0(VALU_DEP_1)
	v_dual_mov_b32 v6, v8 :: v_dual_mov_b32 v7, v9
.LBB14_68:
	s_clause 0x1
	s_load_b128 s[4:7], s[0:1], 0x148
	s_load_b64 s[2:3], s[0:1], 0x160
	s_mov_b32 s8, exec_lo
	s_waitcnt lgkmcnt(0)
	global_load_b32 v1, v1, s[6:7]
	s_waitcnt vmcnt(0)
	v_cmpx_nlg_f32_e64 0x7f800000, |v1|
	s_cbranch_execz .LBB14_70
; %bb.69:
	s_load_b64 s[10:11], s[0:1], 0x158
	v_dual_mov_b32 v8, 0 :: v_dual_mov_b32 v9, 1.0
	s_waitcnt lgkmcnt(0)
	global_store_b32 v8, v9, s[10:11]
.LBB14_70:
	s_or_b32 exec_lo, exec_lo, s8
	v_mov_b32_e32 v10, 0
	s_mov_b32 s8, exec_lo
	global_load_b32 v3, v3, s[6:7]
	global_load_b32 v8, v10, s[2:3]
	s_waitcnt vmcnt(0)
	v_mov_b32_e32 v9, v8
	v_cmpx_nlg_f32_e64 0x7f800000, |v3|
	s_cbranch_execz .LBB14_72
; %bb.71:
	s_load_b64 s[10:11], s[0:1], 0x158
	v_mov_b32_e32 v9, 1.0
	s_waitcnt lgkmcnt(0)
	global_store_b32 v10, v9, s[10:11]
	global_load_b32 v9, v10, s[2:3]
.LBB14_72:
	s_or_b32 exec_lo, exec_lo, s8
	global_load_b32 v5, v5, s[6:7]
	s_waitcnt vmcnt(1)
	v_mov_b32_e32 v10, v9
	s_mov_b32 s8, exec_lo
	s_waitcnt vmcnt(0)
	v_cmpx_nlg_f32_e64 0x7f800000, |v5|
	s_cbranch_execz .LBB14_74
; %bb.73:
	s_load_b64 s[10:11], s[0:1], 0x158
	v_dual_mov_b32 v10, 0 :: v_dual_mov_b32 v11, 1.0
	s_waitcnt lgkmcnt(0)
	global_store_b32 v10, v11, s[10:11]
	global_load_b32 v10, v10, s[2:3]
.LBB14_74:
	s_or_b32 exec_lo, exec_lo, s8
	global_load_b32 v7, v7, s[6:7]
	s_waitcnt vmcnt(1)
	v_mov_b32_e32 v11, v10
	s_mov_b32 s6, exec_lo
	s_waitcnt vmcnt(0)
	v_cmpx_nlg_f32_e64 0x7f800000, |v7|
	s_cbranch_execz .LBB14_76
; %bb.75:
	s_load_b64 s[0:1], s[0:1], 0x158
	v_dual_mov_b32 v11, 0 :: v_dual_mov_b32 v12, 1.0
	s_waitcnt lgkmcnt(0)
	global_store_b32 v11, v12, s[0:1]
	global_load_b32 v11, v11, s[2:3]
.LBB14_76:
	s_or_b32 exec_lo, exec_lo, s6
	v_dual_mul_f32 v12, v5, v10 :: v_dual_mul_f32 v13, v3, v9
	v_cmp_eq_f32_e32 vcc_lo, 1.0, v10
	s_waitcnt vmcnt(0)
	v_dual_mul_f32 v14, v1, v8 :: v_dual_mul_f32 v15, v7, v11
	s_delay_alu instid0(VALU_DEP_3) | instskip(SKIP_1) | instid1(VALU_DEP_3)
	v_cndmask_b32_e32 v5, v12, v5, vcc_lo
	v_cmp_eq_f32_e32 vcc_lo, 1.0, v8
	v_cndmask_b32_e32 v1, v14, v1, vcc_lo
	v_cmp_eq_f32_e32 vcc_lo, 1.0, v9
	;; [unrolled: 2-line block ×3, first 2 shown]
	v_cndmask_b32_e32 v7, v15, v7, vcc_lo
	s_clause 0x3
	global_store_b32 v0, v1, s[4:5]
	global_store_b32 v2, v3, s[4:5]
	;; [unrolled: 1-line block ×4, first 2 shown]
	s_nop 0
	s_sendmsg sendmsg(MSG_DEALLOC_VGPRS)
	s_endpgm
.LBB14_77:
	v_dual_mov_b32 v2, v4 :: v_dual_mov_b32 v1, 0
.LBB14_78:
	s_and_b32 s38, s38, 3
	s_delay_alu instid0(SALU_CYCLE_1)
	s_cmp_eq_u32 s38, 0
	s_cbranch_scc1 .LBB14_81
; %bb.79:
	s_lshl_b32 s22, s37, 3
	s_mul_i32 s24, s37, 12
	s_add_u32 s22, s22, s0
	s_addc_u32 s23, s1, 0
	s_add_u32 s22, s22, 0xc4
	s_addc_u32 s23, s23, 0
	;; [unrolled: 2-line block ×3, first 2 shown]
	.p2align	6
.LBB14_80:                              ; =>This Inner Loop Header: Depth=1
	s_clause 0x1
	s_load_b64 s[40:41], s[24:25], 0x4
	s_load_b32 s37, s[24:25], 0xc
	s_load_b64 s[42:43], s[22:23], 0x0
	s_add_u32 s24, s24, 12
	s_addc_u32 s25, s25, 0
	s_add_u32 s22, s22, 8
	s_addc_u32 s23, s23, 0
	s_add_i32 s38, s38, -1
	s_delay_alu instid0(SALU_CYCLE_1) | instskip(SKIP_2) | instid1(VALU_DEP_1)
	s_cmp_lg_u32 s38, 0
	s_waitcnt lgkmcnt(0)
	v_mul_hi_u32 v3, s41, v2
	v_add_nc_u32_e32 v3, v2, v3
	s_delay_alu instid0(VALU_DEP_1) | instskip(NEXT) | instid1(VALU_DEP_1)
	v_lshrrev_b32_e32 v3, s37, v3
	v_mul_lo_u32 v5, v3, s40
	s_delay_alu instid0(VALU_DEP_1) | instskip(NEXT) | instid1(VALU_DEP_1)
	v_sub_nc_u32_e32 v2, v2, v5
	v_mad_u64_u32 v[5:6], null, v2, s42, v[0:1]
	v_mad_u64_u32 v[6:7], null, v2, s43, v[1:2]
	v_mov_b32_e32 v2, v3
	s_delay_alu instid0(VALU_DEP_2)
	v_dual_mov_b32 v0, v5 :: v_dual_mov_b32 v1, v6
	s_cbranch_scc1 .LBB14_80
.LBB14_81:
	s_and_not1_b32 vcc_lo, exec_lo, s36
	s_cbranch_vccnz .LBB14_84
; %bb.82:
	s_waitcnt lgkmcnt(0)
	v_mul_hi_u32 v0, s17, v4
	s_and_not1_b32 vcc_lo, exec_lo, s30
	s_delay_alu instid0(VALU_DEP_1) | instskip(NEXT) | instid1(VALU_DEP_1)
	v_add_nc_u32_e32 v0, v4, v0
	v_lshrrev_b32_e32 v2, s18, v0
	s_delay_alu instid0(VALU_DEP_1) | instskip(NEXT) | instid1(VALU_DEP_1)
	v_mul_lo_u32 v0, v2, s16
	v_sub_nc_u32_e32 v1, v4, v0
	s_delay_alu instid0(VALU_DEP_1)
	v_mul_lo_u32 v0, v1, s12
	v_mul_lo_u32 v1, v1, s13
	s_cbranch_vccnz .LBB14_84
; %bb.83:
	v_mul_hi_u32 v3, s2, v2
	s_delay_alu instid0(VALU_DEP_1) | instskip(NEXT) | instid1(VALU_DEP_1)
	v_add_nc_u32_e32 v3, v2, v3
	v_lshrrev_b32_e32 v3, s3, v3
	s_delay_alu instid0(VALU_DEP_1) | instskip(NEXT) | instid1(VALU_DEP_1)
	v_mul_lo_u32 v3, v3, s19
	v_sub_nc_u32_e32 v7, v2, v3
	s_delay_alu instid0(VALU_DEP_1) | instskip(NEXT) | instid1(VALU_DEP_1)
	v_mad_u64_u32 v[2:3], null, v7, s14, v[0:1]
	v_mad_u64_u32 v[5:6], null, v7, s15, v[1:2]
	s_delay_alu instid0(VALU_DEP_1)
	v_dual_mov_b32 v0, v2 :: v_dual_mov_b32 v1, v5
.LBB14_84:
	s_waitcnt lgkmcnt(0)
	global_load_b32 v1, v1, s[6:7]
	s_mov_b32 s22, exec_lo
	s_waitcnt vmcnt(0)
	v_cmpx_nlg_f32_e64 0x7f800000, |v1|
	s_cbranch_execz .LBB14_86
; %bb.85:
	v_dual_mov_b32 v2, 0 :: v_dual_mov_b32 v3, 1.0
	global_store_b32 v2, v3, s[8:9]
.LBB14_86:
	s_or_b32 exec_lo, exec_lo, s22
	v_mov_b32_e32 v2, 0
	v_add_nc_u32_e32 v4, 0x80, v4
	global_load_b32 v2, v2, s[10:11]
	s_waitcnt vmcnt(0)
	v_mul_f32_e32 v3, v1, v2
	v_cmp_eq_f32_e32 vcc_lo, 1.0, v2
	s_delay_alu instid0(VALU_DEP_2) | instskip(SKIP_2) | instid1(SALU_CYCLE_1)
	v_cndmask_b32_e32 v1, v3, v1, vcc_lo
	global_store_b32 v0, v1, s[4:5]
	s_or_b32 exec_lo, exec_lo, s35
	s_mov_b32 s35, exec_lo
	v_cmpx_gt_i32_e64 s31, v4
	s_cbranch_execnz .LBB14_15
.LBB14_87:
	s_or_b32 exec_lo, exec_lo, s35
	s_delay_alu instid0(SALU_CYCLE_1)
	s_mov_b32 s35, exec_lo
	v_cmpx_gt_i32_e64 s31, v4
	s_cbranch_execz .LBB14_104
.LBB14_88:
	s_and_not1_b32 vcc_lo, exec_lo, s28
	s_cbranch_vccnz .LBB14_93
; %bb.89:
	v_dual_mov_b32 v0, 0 :: v_dual_mov_b32 v1, 0
	s_and_not1_b32 vcc_lo, exec_lo, s34
	s_mov_b32 s36, 0
	s_cbranch_vccnz .LBB14_111
; %bb.90:
	v_mov_b32_e32 v0, 0
	s_add_i32 s38, s33, 1
	s_cmp_eq_u32 s27, 2
	s_mov_b32 s37, 0
	s_cbranch_scc1 .LBB14_107
; %bb.91:
	v_dual_mov_b32 v1, 0 :: v_dual_mov_b32 v0, 0
	v_mov_b32_e32 v2, v4
	s_and_b32 s37, s38, 28
	s_mov_b32 s39, 0
	s_mov_b64 s[22:23], s[20:21]
	s_mov_b64 s[24:25], s[0:1]
.LBB14_92:                              ; =>This Inner Loop Header: Depth=1
	s_clause 0x1
	s_load_b256 s[40:47], s[24:25], 0x4
	s_load_b128 s[56:59], s[24:25], 0x24
	s_load_b256 s[48:55], s[22:23], 0x0
	s_add_u32 s24, s24, 48
	s_addc_u32 s25, s25, 0
	s_add_i32 s39, s39, 4
	s_add_u32 s22, s22, 32
	s_addc_u32 s23, s23, 0
	s_cmp_eq_u32 s37, s39
	s_waitcnt lgkmcnt(0)
	v_mul_hi_u32 v3, s41, v2
	s_delay_alu instid0(VALU_DEP_1) | instskip(NEXT) | instid1(VALU_DEP_1)
	v_add_nc_u32_e32 v3, v2, v3
	v_lshrrev_b32_e32 v3, s42, v3
	s_delay_alu instid0(VALU_DEP_1) | instskip(SKIP_1) | instid1(VALU_DEP_2)
	v_mul_hi_u32 v5, s44, v3
	v_mul_lo_u32 v7, v3, s40
	v_add_nc_u32_e32 v5, v3, v5
	s_delay_alu instid0(VALU_DEP_2) | instskip(NEXT) | instid1(VALU_DEP_2)
	v_sub_nc_u32_e32 v2, v2, v7
	v_lshrrev_b32_e32 v5, s45, v5
	s_delay_alu instid0(VALU_DEP_2) | instskip(SKIP_1) | instid1(VALU_DEP_3)
	v_mul_lo_u32 v7, v2, s48
	v_mul_lo_u32 v9, v2, s49
	v_mul_hi_u32 v6, s47, v5
	s_delay_alu instid0(VALU_DEP_1) | instskip(NEXT) | instid1(VALU_DEP_1)
	v_add_nc_u32_e32 v6, v5, v6
	v_lshrrev_b32_e32 v6, s56, v6
	s_delay_alu instid0(VALU_DEP_1) | instskip(SKIP_1) | instid1(VALU_DEP_2)
	v_mul_hi_u32 v8, s58, v6
	v_mul_lo_u32 v10, v6, s46
	v_add_nc_u32_e32 v2, v6, v8
	v_mul_lo_u32 v8, v5, s43
	s_delay_alu instid0(VALU_DEP_3) | instskip(NEXT) | instid1(VALU_DEP_3)
	v_sub_nc_u32_e32 v5, v5, v10
	v_lshrrev_b32_e32 v2, s59, v2
	s_delay_alu instid0(VALU_DEP_2) | instskip(SKIP_2) | instid1(VALU_DEP_4)
	v_mul_lo_u32 v10, v5, s52
	v_mul_lo_u32 v5, v5, s53
	v_sub_nc_u32_e32 v3, v3, v8
	v_mul_lo_u32 v11, v2, s57
	s_delay_alu instid0(VALU_DEP_2) | instskip(SKIP_1) | instid1(VALU_DEP_3)
	v_mul_lo_u32 v8, v3, s50
	v_mul_lo_u32 v3, v3, s51
	v_sub_nc_u32_e32 v6, v6, v11
	s_delay_alu instid0(VALU_DEP_3) | instskip(NEXT) | instid1(VALU_DEP_2)
	v_add3_u32 v0, v7, v0, v8
	v_mul_lo_u32 v11, v6, s54
	v_mul_lo_u32 v6, v6, s55
	v_add3_u32 v1, v9, v1, v3
	s_delay_alu instid0(VALU_DEP_3) | instskip(NEXT) | instid1(VALU_DEP_2)
	v_add3_u32 v0, v10, v0, v11
	v_add3_u32 v1, v5, v1, v6
	s_cbranch_scc0 .LBB14_92
	s_branch .LBB14_108
.LBB14_93:
	s_mov_b32 s36, -1
                                        ; implicit-def: $vgpr0
                                        ; implicit-def: $vgpr1
	s_branch .LBB14_111
.LBB14_94:
	v_dual_mov_b32 v2, v4 :: v_dual_mov_b32 v1, 0
.LBB14_95:
	s_and_b32 s38, s38, 3
	s_delay_alu instid0(SALU_CYCLE_1)
	s_cmp_eq_u32 s38, 0
	s_cbranch_scc1 .LBB14_98
; %bb.96:
	s_lshl_b32 s22, s37, 3
	s_mul_i32 s24, s37, 12
	s_add_u32 s22, s22, s0
	s_addc_u32 s23, s1, 0
	s_add_u32 s22, s22, 0xc4
	s_addc_u32 s23, s23, 0
	;; [unrolled: 2-line block ×3, first 2 shown]
	.p2align	6
.LBB14_97:                              ; =>This Inner Loop Header: Depth=1
	s_clause 0x1
	s_load_b64 s[40:41], s[24:25], 0x4
	s_load_b32 s37, s[24:25], 0xc
	s_load_b64 s[42:43], s[22:23], 0x0
	s_add_u32 s24, s24, 12
	s_addc_u32 s25, s25, 0
	s_add_u32 s22, s22, 8
	s_addc_u32 s23, s23, 0
	s_add_i32 s38, s38, -1
	s_delay_alu instid0(SALU_CYCLE_1) | instskip(SKIP_2) | instid1(VALU_DEP_1)
	s_cmp_lg_u32 s38, 0
	s_waitcnt lgkmcnt(0)
	v_mul_hi_u32 v3, s41, v2
	v_add_nc_u32_e32 v3, v2, v3
	s_delay_alu instid0(VALU_DEP_1) | instskip(NEXT) | instid1(VALU_DEP_1)
	v_lshrrev_b32_e32 v3, s37, v3
	v_mul_lo_u32 v5, v3, s40
	s_delay_alu instid0(VALU_DEP_1) | instskip(NEXT) | instid1(VALU_DEP_1)
	v_sub_nc_u32_e32 v2, v2, v5
	v_mad_u64_u32 v[5:6], null, v2, s42, v[0:1]
	v_mad_u64_u32 v[6:7], null, v2, s43, v[1:2]
	v_mov_b32_e32 v2, v3
	s_delay_alu instid0(VALU_DEP_2)
	v_dual_mov_b32 v0, v5 :: v_dual_mov_b32 v1, v6
	s_cbranch_scc1 .LBB14_97
.LBB14_98:
	s_and_not1_b32 vcc_lo, exec_lo, s36
	s_cbranch_vccnz .LBB14_101
; %bb.99:
	s_waitcnt lgkmcnt(0)
	v_mul_hi_u32 v0, s17, v4
	s_and_not1_b32 vcc_lo, exec_lo, s30
	s_delay_alu instid0(VALU_DEP_1) | instskip(NEXT) | instid1(VALU_DEP_1)
	v_add_nc_u32_e32 v0, v4, v0
	v_lshrrev_b32_e32 v2, s18, v0
	s_delay_alu instid0(VALU_DEP_1) | instskip(NEXT) | instid1(VALU_DEP_1)
	v_mul_lo_u32 v0, v2, s16
	v_sub_nc_u32_e32 v1, v4, v0
	s_delay_alu instid0(VALU_DEP_1)
	v_mul_lo_u32 v0, v1, s12
	v_mul_lo_u32 v1, v1, s13
	s_cbranch_vccnz .LBB14_101
; %bb.100:
	v_mul_hi_u32 v3, s2, v2
	s_delay_alu instid0(VALU_DEP_1) | instskip(NEXT) | instid1(VALU_DEP_1)
	v_add_nc_u32_e32 v3, v2, v3
	v_lshrrev_b32_e32 v3, s3, v3
	s_delay_alu instid0(VALU_DEP_1) | instskip(NEXT) | instid1(VALU_DEP_1)
	v_mul_lo_u32 v3, v3, s19
	v_sub_nc_u32_e32 v7, v2, v3
	s_delay_alu instid0(VALU_DEP_1) | instskip(NEXT) | instid1(VALU_DEP_1)
	v_mad_u64_u32 v[2:3], null, v7, s14, v[0:1]
	v_mad_u64_u32 v[5:6], null, v7, s15, v[1:2]
	s_delay_alu instid0(VALU_DEP_1)
	v_dual_mov_b32 v0, v2 :: v_dual_mov_b32 v1, v5
.LBB14_101:
	s_waitcnt lgkmcnt(0)
	global_load_b32 v1, v1, s[6:7]
	s_mov_b32 s22, exec_lo
	s_waitcnt vmcnt(0)
	v_cmpx_nlg_f32_e64 0x7f800000, |v1|
	s_cbranch_execz .LBB14_103
; %bb.102:
	v_dual_mov_b32 v2, 0 :: v_dual_mov_b32 v3, 1.0
	global_store_b32 v2, v3, s[8:9]
.LBB14_103:
	s_or_b32 exec_lo, exec_lo, s22
	v_mov_b32_e32 v2, 0
	v_add_nc_u32_e32 v4, 0x80, v4
	global_load_b32 v2, v2, s[10:11]
	s_waitcnt vmcnt(0)
	v_mul_f32_e32 v3, v1, v2
	v_cmp_eq_f32_e32 vcc_lo, 1.0, v2
	s_delay_alu instid0(VALU_DEP_2) | instskip(SKIP_2) | instid1(SALU_CYCLE_1)
	v_cndmask_b32_e32 v1, v3, v1, vcc_lo
	global_store_b32 v0, v1, s[4:5]
	s_or_b32 exec_lo, exec_lo, s35
	s_mov_b32 s35, exec_lo
	v_cmpx_gt_i32_e64 s31, v4
	s_cbranch_execnz .LBB14_88
.LBB14_104:
	s_or_b32 exec_lo, exec_lo, s35
	s_delay_alu instid0(SALU_CYCLE_1)
	s_mov_b32 s24, exec_lo
	v_cmpx_gt_i32_e64 s31, v4
	s_cbranch_execnz .LBB14_117
.LBB14_105:
	s_or_b32 exec_lo, exec_lo, s24
                                        ; implicit-def: $vgpr8
                                        ; implicit-def: $vgpr4
	s_waitcnt lgkmcnt(0)
	s_and_not1_saveexec_b32 s2, s29
	s_cbranch_execnz .LBB14_8
.LBB14_106:
	s_nop 0
	s_sendmsg sendmsg(MSG_DEALLOC_VGPRS)
	s_endpgm
.LBB14_107:
	v_dual_mov_b32 v2, v4 :: v_dual_mov_b32 v1, 0
.LBB14_108:
	s_and_b32 s38, s38, 3
	s_delay_alu instid0(SALU_CYCLE_1)
	s_cmp_eq_u32 s38, 0
	s_cbranch_scc1 .LBB14_111
; %bb.109:
	s_lshl_b32 s22, s37, 3
	s_mul_i32 s24, s37, 12
	s_add_u32 s22, s22, s0
	s_addc_u32 s23, s1, 0
	s_add_u32 s22, s22, 0xc4
	s_addc_u32 s23, s23, 0
	;; [unrolled: 2-line block ×3, first 2 shown]
	.p2align	6
.LBB14_110:                             ; =>This Inner Loop Header: Depth=1
	s_clause 0x1
	s_load_b64 s[40:41], s[24:25], 0x4
	s_load_b32 s37, s[24:25], 0xc
	s_load_b64 s[42:43], s[22:23], 0x0
	s_add_u32 s24, s24, 12
	s_addc_u32 s25, s25, 0
	s_add_u32 s22, s22, 8
	s_addc_u32 s23, s23, 0
	s_add_i32 s38, s38, -1
	s_delay_alu instid0(SALU_CYCLE_1) | instskip(SKIP_2) | instid1(VALU_DEP_1)
	s_cmp_lg_u32 s38, 0
	s_waitcnt lgkmcnt(0)
	v_mul_hi_u32 v3, s41, v2
	v_add_nc_u32_e32 v3, v2, v3
	s_delay_alu instid0(VALU_DEP_1) | instskip(NEXT) | instid1(VALU_DEP_1)
	v_lshrrev_b32_e32 v3, s37, v3
	v_mul_lo_u32 v5, v3, s40
	s_delay_alu instid0(VALU_DEP_1) | instskip(NEXT) | instid1(VALU_DEP_1)
	v_sub_nc_u32_e32 v2, v2, v5
	v_mad_u64_u32 v[5:6], null, v2, s42, v[0:1]
	v_mad_u64_u32 v[6:7], null, v2, s43, v[1:2]
	v_mov_b32_e32 v2, v3
	s_delay_alu instid0(VALU_DEP_2)
	v_dual_mov_b32 v0, v5 :: v_dual_mov_b32 v1, v6
	s_cbranch_scc1 .LBB14_110
.LBB14_111:
	s_and_not1_b32 vcc_lo, exec_lo, s36
	s_cbranch_vccnz .LBB14_114
; %bb.112:
	s_waitcnt lgkmcnt(0)
	v_mul_hi_u32 v0, s17, v4
	s_and_not1_b32 vcc_lo, exec_lo, s30
	s_delay_alu instid0(VALU_DEP_1) | instskip(NEXT) | instid1(VALU_DEP_1)
	v_add_nc_u32_e32 v0, v4, v0
	v_lshrrev_b32_e32 v2, s18, v0
	s_delay_alu instid0(VALU_DEP_1) | instskip(NEXT) | instid1(VALU_DEP_1)
	v_mul_lo_u32 v0, v2, s16
	v_sub_nc_u32_e32 v1, v4, v0
	s_delay_alu instid0(VALU_DEP_1)
	v_mul_lo_u32 v0, v1, s12
	v_mul_lo_u32 v1, v1, s13
	s_cbranch_vccnz .LBB14_114
; %bb.113:
	v_mul_hi_u32 v3, s2, v2
	s_delay_alu instid0(VALU_DEP_1) | instskip(NEXT) | instid1(VALU_DEP_1)
	v_add_nc_u32_e32 v3, v2, v3
	v_lshrrev_b32_e32 v3, s3, v3
	s_delay_alu instid0(VALU_DEP_1) | instskip(NEXT) | instid1(VALU_DEP_1)
	v_mul_lo_u32 v3, v3, s19
	v_sub_nc_u32_e32 v7, v2, v3
	s_delay_alu instid0(VALU_DEP_1) | instskip(NEXT) | instid1(VALU_DEP_1)
	v_mad_u64_u32 v[2:3], null, v7, s14, v[0:1]
	v_mad_u64_u32 v[5:6], null, v7, s15, v[1:2]
	s_delay_alu instid0(VALU_DEP_1)
	v_dual_mov_b32 v0, v2 :: v_dual_mov_b32 v1, v5
.LBB14_114:
	s_waitcnt lgkmcnt(0)
	global_load_b32 v1, v1, s[6:7]
	s_mov_b32 s22, exec_lo
	s_waitcnt vmcnt(0)
	v_cmpx_nlg_f32_e64 0x7f800000, |v1|
	s_cbranch_execz .LBB14_116
; %bb.115:
	v_dual_mov_b32 v2, 0 :: v_dual_mov_b32 v3, 1.0
	global_store_b32 v2, v3, s[8:9]
.LBB14_116:
	s_or_b32 exec_lo, exec_lo, s22
	v_mov_b32_e32 v2, 0
	v_add_nc_u32_e32 v4, 0x80, v4
	global_load_b32 v2, v2, s[10:11]
	s_waitcnt vmcnt(0)
	v_mul_f32_e32 v3, v1, v2
	v_cmp_eq_f32_e32 vcc_lo, 1.0, v2
	s_delay_alu instid0(VALU_DEP_2) | instskip(SKIP_2) | instid1(SALU_CYCLE_1)
	v_cndmask_b32_e32 v1, v3, v1, vcc_lo
	global_store_b32 v0, v1, s[4:5]
	s_or_b32 exec_lo, exec_lo, s35
	s_mov_b32 s24, exec_lo
	v_cmpx_gt_i32_e64 s31, v4
	s_cbranch_execz .LBB14_105
.LBB14_117:
	s_and_not1_b32 vcc_lo, exec_lo, s28
	s_cbranch_vccnz .LBB14_122
; %bb.118:
	v_dual_mov_b32 v0, 0 :: v_dual_mov_b32 v1, 0
	s_and_not1_b32 vcc_lo, exec_lo, s34
	s_mov_b32 s25, 0
	s_cbranch_vccnz .LBB14_127
; %bb.119:
	v_mov_b32_e32 v0, 0
	s_add_i32 s33, s33, 1
	s_cmp_eq_u32 s27, 2
	s_mov_b32 s31, 0
	s_cbranch_scc1 .LBB14_123
; %bb.120:
	v_dual_mov_b32 v1, 0 :: v_dual_mov_b32 v0, 0
	v_mov_b32_e32 v2, v4
	s_and_b32 s31, s33, 28
	s_mov_b32 s34, 0
	s_mov_b64 s[22:23], s[0:1]
.LBB14_121:                             ; =>This Inner Loop Header: Depth=1
	s_clause 0x1
	s_load_b256 s[36:43], s[22:23], 0x4
	s_load_b128 s[52:55], s[22:23], 0x24
	s_load_b256 s[44:51], s[20:21], 0x0
	s_add_u32 s22, s22, 48
	s_addc_u32 s23, s23, 0
	s_add_i32 s34, s34, 4
	s_add_u32 s20, s20, 32
	s_addc_u32 s21, s21, 0
	s_cmp_eq_u32 s31, s34
	s_waitcnt lgkmcnt(0)
	v_mul_hi_u32 v3, s37, v2
	s_delay_alu instid0(VALU_DEP_1) | instskip(NEXT) | instid1(VALU_DEP_1)
	v_add_nc_u32_e32 v3, v2, v3
	v_lshrrev_b32_e32 v3, s38, v3
	s_delay_alu instid0(VALU_DEP_1) | instskip(SKIP_1) | instid1(VALU_DEP_2)
	v_mul_hi_u32 v5, s40, v3
	v_mul_lo_u32 v7, v3, s36
	v_add_nc_u32_e32 v5, v3, v5
	s_delay_alu instid0(VALU_DEP_2) | instskip(NEXT) | instid1(VALU_DEP_2)
	v_sub_nc_u32_e32 v2, v2, v7
	v_lshrrev_b32_e32 v5, s41, v5
	s_delay_alu instid0(VALU_DEP_2) | instskip(SKIP_1) | instid1(VALU_DEP_3)
	v_mul_lo_u32 v7, v2, s44
	v_mul_lo_u32 v9, v2, s45
	v_mul_hi_u32 v6, s43, v5
	s_delay_alu instid0(VALU_DEP_1) | instskip(NEXT) | instid1(VALU_DEP_1)
	v_add_nc_u32_e32 v6, v5, v6
	v_lshrrev_b32_e32 v6, s52, v6
	s_delay_alu instid0(VALU_DEP_1) | instskip(SKIP_1) | instid1(VALU_DEP_2)
	v_mul_hi_u32 v8, s54, v6
	v_mul_lo_u32 v10, v6, s42
	v_add_nc_u32_e32 v2, v6, v8
	v_mul_lo_u32 v8, v5, s39
	s_delay_alu instid0(VALU_DEP_3) | instskip(NEXT) | instid1(VALU_DEP_3)
	v_sub_nc_u32_e32 v5, v5, v10
	v_lshrrev_b32_e32 v2, s55, v2
	s_delay_alu instid0(VALU_DEP_2) | instskip(SKIP_2) | instid1(VALU_DEP_4)
	v_mul_lo_u32 v10, v5, s48
	v_mul_lo_u32 v5, v5, s49
	v_sub_nc_u32_e32 v3, v3, v8
	v_mul_lo_u32 v11, v2, s53
	s_delay_alu instid0(VALU_DEP_2) | instskip(SKIP_1) | instid1(VALU_DEP_3)
	v_mul_lo_u32 v8, v3, s46
	v_mul_lo_u32 v3, v3, s47
	v_sub_nc_u32_e32 v6, v6, v11
	s_delay_alu instid0(VALU_DEP_3) | instskip(NEXT) | instid1(VALU_DEP_2)
	v_add3_u32 v0, v7, v0, v8
	v_mul_lo_u32 v11, v6, s50
	v_mul_lo_u32 v6, v6, s51
	v_add3_u32 v1, v9, v1, v3
	s_delay_alu instid0(VALU_DEP_3) | instskip(NEXT) | instid1(VALU_DEP_2)
	v_add3_u32 v0, v10, v0, v11
	v_add3_u32 v1, v5, v1, v6
	s_cbranch_scc0 .LBB14_121
	s_branch .LBB14_124
.LBB14_122:
	s_mov_b32 s25, -1
                                        ; implicit-def: $vgpr0
                                        ; implicit-def: $vgpr1
	s_branch .LBB14_127
.LBB14_123:
	v_dual_mov_b32 v2, v4 :: v_dual_mov_b32 v1, 0
.LBB14_124:
	s_and_b32 s33, s33, 3
	s_delay_alu instid0(SALU_CYCLE_1)
	s_cmp_eq_u32 s33, 0
	s_cbranch_scc1 .LBB14_127
; %bb.125:
	s_lshl_b32 s20, s31, 3
	s_mul_i32 s22, s31, 12
	s_add_u32 s20, s20, s0
	s_addc_u32 s21, s1, 0
	s_add_u32 s20, s20, 0xc4
	s_addc_u32 s21, s21, 0
	;; [unrolled: 2-line block ×3, first 2 shown]
	.p2align	6
.LBB14_126:                             ; =>This Inner Loop Header: Depth=1
	s_clause 0x1
	s_load_b64 s[34:35], s[22:23], 0x4
	s_load_b32 s31, s[22:23], 0xc
	s_load_b64 s[36:37], s[20:21], 0x0
	s_add_u32 s22, s22, 12
	s_addc_u32 s23, s23, 0
	s_add_u32 s20, s20, 8
	s_addc_u32 s21, s21, 0
	s_add_i32 s33, s33, -1
	s_delay_alu instid0(SALU_CYCLE_1) | instskip(SKIP_2) | instid1(VALU_DEP_1)
	s_cmp_lg_u32 s33, 0
	s_waitcnt lgkmcnt(0)
	v_mul_hi_u32 v3, s35, v2
	v_add_nc_u32_e32 v3, v2, v3
	s_delay_alu instid0(VALU_DEP_1) | instskip(NEXT) | instid1(VALU_DEP_1)
	v_lshrrev_b32_e32 v3, s31, v3
	v_mul_lo_u32 v5, v3, s34
	s_delay_alu instid0(VALU_DEP_1) | instskip(NEXT) | instid1(VALU_DEP_1)
	v_sub_nc_u32_e32 v2, v2, v5
	v_mad_u64_u32 v[5:6], null, v2, s36, v[0:1]
	v_mad_u64_u32 v[6:7], null, v2, s37, v[1:2]
	v_mov_b32_e32 v2, v3
	s_delay_alu instid0(VALU_DEP_2)
	v_dual_mov_b32 v0, v5 :: v_dual_mov_b32 v1, v6
	s_cbranch_scc1 .LBB14_126
.LBB14_127:
	s_and_not1_b32 vcc_lo, exec_lo, s25
	s_cbranch_vccnz .LBB14_130
; %bb.128:
	s_waitcnt lgkmcnt(0)
	v_mul_hi_u32 v0, s17, v4
	s_and_not1_b32 vcc_lo, exec_lo, s30
	s_delay_alu instid0(VALU_DEP_1) | instskip(NEXT) | instid1(VALU_DEP_1)
	v_add_nc_u32_e32 v0, v4, v0
	v_lshrrev_b32_e32 v2, s18, v0
	s_delay_alu instid0(VALU_DEP_1) | instskip(NEXT) | instid1(VALU_DEP_1)
	v_mul_lo_u32 v0, v2, s16
	v_sub_nc_u32_e32 v1, v4, v0
	s_delay_alu instid0(VALU_DEP_1)
	v_mul_lo_u32 v0, v1, s12
	v_mul_lo_u32 v1, v1, s13
	s_cbranch_vccnz .LBB14_130
; %bb.129:
	v_mul_hi_u32 v3, s2, v2
	s_delay_alu instid0(VALU_DEP_1) | instskip(NEXT) | instid1(VALU_DEP_1)
	v_add_nc_u32_e32 v3, v2, v3
	v_lshrrev_b32_e32 v3, s3, v3
	s_delay_alu instid0(VALU_DEP_1) | instskip(NEXT) | instid1(VALU_DEP_1)
	v_mul_lo_u32 v3, v3, s19
	v_sub_nc_u32_e32 v5, v2, v3
	s_delay_alu instid0(VALU_DEP_1) | instskip(NEXT) | instid1(VALU_DEP_1)
	v_mad_u64_u32 v[2:3], null, v5, s14, v[0:1]
	v_mad_u64_u32 v[3:4], null, v5, s15, v[1:2]
	s_delay_alu instid0(VALU_DEP_1)
	v_dual_mov_b32 v0, v2 :: v_dual_mov_b32 v1, v3
.LBB14_130:
	s_waitcnt lgkmcnt(0)
	global_load_b32 v1, v1, s[6:7]
	s_mov_b32 s2, exec_lo
	s_waitcnt vmcnt(0)
	v_cmpx_nlg_f32_e64 0x7f800000, |v1|
	s_cbranch_execz .LBB14_132
; %bb.131:
	v_dual_mov_b32 v2, 0 :: v_dual_mov_b32 v3, 1.0
	global_store_b32 v2, v3, s[8:9]
.LBB14_132:
	s_or_b32 exec_lo, exec_lo, s2
	v_mov_b32_e32 v2, 0
	global_load_b32 v2, v2, s[10:11]
	s_waitcnt vmcnt(0)
	v_mul_f32_e32 v3, v1, v2
	v_cmp_eq_f32_e32 vcc_lo, 1.0, v2
	s_delay_alu instid0(VALU_DEP_2)
	v_cndmask_b32_e32 v1, v3, v1, vcc_lo
	global_store_b32 v0, v1, s[4:5]
	s_or_b32 exec_lo, exec_lo, s24
                                        ; implicit-def: $vgpr8
                                        ; implicit-def: $vgpr4
	s_and_not1_saveexec_b32 s2, s29
	s_cbranch_execz .LBB14_106
	s_branch .LBB14_8
	.section	.rodata,"a",@progbits
	.p2align	6, 0x0
	.amdhsa_kernel _ZN2at6native32elementwise_kernel_manual_unrollILi128ELi4EZNS0_22gpu_kernel_impl_nocastIZZZNS0_12_GLOBAL__N_139_amp_non_finite_check_and_unscale_cuda_ERNS_6TensorES5_RKS4_ENKUlvE_clEvENKUlvE0_clEvEUlfE_EEvRNS_18TensorIteratorBaseERKT_EUlibE_EEviT1_
		.amdhsa_group_segment_fixed_size 0
		.amdhsa_private_segment_fixed_size 0
		.amdhsa_kernarg_size 368
		.amdhsa_user_sgpr_count 15
		.amdhsa_user_sgpr_dispatch_ptr 0
		.amdhsa_user_sgpr_queue_ptr 0
		.amdhsa_user_sgpr_kernarg_segment_ptr 1
		.amdhsa_user_sgpr_dispatch_id 0
		.amdhsa_user_sgpr_private_segment_size 0
		.amdhsa_wavefront_size32 1
		.amdhsa_uses_dynamic_stack 0
		.amdhsa_enable_private_segment 0
		.amdhsa_system_sgpr_workgroup_id_x 1
		.amdhsa_system_sgpr_workgroup_id_y 0
		.amdhsa_system_sgpr_workgroup_id_z 0
		.amdhsa_system_sgpr_workgroup_info 0
		.amdhsa_system_vgpr_workitem_id 0
		.amdhsa_next_free_vgpr 18
		.amdhsa_next_free_sgpr 60
		.amdhsa_reserve_vcc 1
		.amdhsa_float_round_mode_32 0
		.amdhsa_float_round_mode_16_64 0
		.amdhsa_float_denorm_mode_32 3
		.amdhsa_float_denorm_mode_16_64 3
		.amdhsa_dx10_clamp 1
		.amdhsa_ieee_mode 1
		.amdhsa_fp16_overflow 0
		.amdhsa_workgroup_processor_mode 1
		.amdhsa_memory_ordered 1
		.amdhsa_forward_progress 0
		.amdhsa_shared_vgpr_count 0
		.amdhsa_exception_fp_ieee_invalid_op 0
		.amdhsa_exception_fp_denorm_src 0
		.amdhsa_exception_fp_ieee_div_zero 0
		.amdhsa_exception_fp_ieee_overflow 0
		.amdhsa_exception_fp_ieee_underflow 0
		.amdhsa_exception_fp_ieee_inexact 0
		.amdhsa_exception_int_div_zero 0
	.end_amdhsa_kernel
	.section	.text._ZN2at6native32elementwise_kernel_manual_unrollILi128ELi4EZNS0_22gpu_kernel_impl_nocastIZZZNS0_12_GLOBAL__N_139_amp_non_finite_check_and_unscale_cuda_ERNS_6TensorES5_RKS4_ENKUlvE_clEvENKUlvE0_clEvEUlfE_EEvRNS_18TensorIteratorBaseERKT_EUlibE_EEviT1_,"axG",@progbits,_ZN2at6native32elementwise_kernel_manual_unrollILi128ELi4EZNS0_22gpu_kernel_impl_nocastIZZZNS0_12_GLOBAL__N_139_amp_non_finite_check_and_unscale_cuda_ERNS_6TensorES5_RKS4_ENKUlvE_clEvENKUlvE0_clEvEUlfE_EEvRNS_18TensorIteratorBaseERKT_EUlibE_EEviT1_,comdat
.Lfunc_end14:
	.size	_ZN2at6native32elementwise_kernel_manual_unrollILi128ELi4EZNS0_22gpu_kernel_impl_nocastIZZZNS0_12_GLOBAL__N_139_amp_non_finite_check_and_unscale_cuda_ERNS_6TensorES5_RKS4_ENKUlvE_clEvENKUlvE0_clEvEUlfE_EEvRNS_18TensorIteratorBaseERKT_EUlibE_EEviT1_, .Lfunc_end14-_ZN2at6native32elementwise_kernel_manual_unrollILi128ELi4EZNS0_22gpu_kernel_impl_nocastIZZZNS0_12_GLOBAL__N_139_amp_non_finite_check_and_unscale_cuda_ERNS_6TensorES5_RKS4_ENKUlvE_clEvENKUlvE0_clEvEUlfE_EEvRNS_18TensorIteratorBaseERKT_EUlibE_EEviT1_
                                        ; -- End function
	.section	.AMDGPU.csdata,"",@progbits
; Kernel info:
; codeLenInByte = 7380
; NumSgprs: 62
; NumVgprs: 18
; ScratchSize: 0
; MemoryBound: 0
; FloatMode: 240
; IeeeMode: 1
; LDSByteSize: 0 bytes/workgroup (compile time only)
; SGPRBlocks: 7
; VGPRBlocks: 2
; NumSGPRsForWavesPerEU: 62
; NumVGPRsForWavesPerEU: 18
; Occupancy: 16
; WaveLimiterHint : 1
; COMPUTE_PGM_RSRC2:SCRATCH_EN: 0
; COMPUTE_PGM_RSRC2:USER_SGPR: 15
; COMPUTE_PGM_RSRC2:TRAP_HANDLER: 0
; COMPUTE_PGM_RSRC2:TGID_X_EN: 1
; COMPUTE_PGM_RSRC2:TGID_Y_EN: 0
; COMPUTE_PGM_RSRC2:TGID_Z_EN: 0
; COMPUTE_PGM_RSRC2:TIDIG_COMP_CNT: 0
	.section	.text._ZN2at6native32elementwise_kernel_manual_unrollILi128ELi4EZNS0_15gpu_kernel_implIZZZNS0_12_GLOBAL__N_139_amp_non_finite_check_and_unscale_cuda_ERNS_6TensorES5_RKS4_ENKUlvE_clEvENKUlvE0_clEvEUlfE_EEvRNS_18TensorIteratorBaseERKT_EUlibE_EEviT1_,"axG",@progbits,_ZN2at6native32elementwise_kernel_manual_unrollILi128ELi4EZNS0_15gpu_kernel_implIZZZNS0_12_GLOBAL__N_139_amp_non_finite_check_and_unscale_cuda_ERNS_6TensorES5_RKS4_ENKUlvE_clEvENKUlvE0_clEvEUlfE_EEvRNS_18TensorIteratorBaseERKT_EUlibE_EEviT1_,comdat
	.globl	_ZN2at6native32elementwise_kernel_manual_unrollILi128ELi4EZNS0_15gpu_kernel_implIZZZNS0_12_GLOBAL__N_139_amp_non_finite_check_and_unscale_cuda_ERNS_6TensorES5_RKS4_ENKUlvE_clEvENKUlvE0_clEvEUlfE_EEvRNS_18TensorIteratorBaseERKT_EUlibE_EEviT1_ ; -- Begin function _ZN2at6native32elementwise_kernel_manual_unrollILi128ELi4EZNS0_15gpu_kernel_implIZZZNS0_12_GLOBAL__N_139_amp_non_finite_check_and_unscale_cuda_ERNS_6TensorES5_RKS4_ENKUlvE_clEvENKUlvE0_clEvEUlfE_EEvRNS_18TensorIteratorBaseERKT_EUlibE_EEviT1_
	.p2align	8
	.type	_ZN2at6native32elementwise_kernel_manual_unrollILi128ELi4EZNS0_15gpu_kernel_implIZZZNS0_12_GLOBAL__N_139_amp_non_finite_check_and_unscale_cuda_ERNS_6TensorES5_RKS4_ENKUlvE_clEvENKUlvE0_clEvEUlfE_EEvRNS_18TensorIteratorBaseERKT_EUlibE_EEviT1_,@function
_ZN2at6native32elementwise_kernel_manual_unrollILi128ELi4EZNS0_15gpu_kernel_implIZZZNS0_12_GLOBAL__N_139_amp_non_finite_check_and_unscale_cuda_ERNS_6TensorES5_RKS4_ENKUlvE_clEvENKUlvE0_clEvEUlfE_EEvRNS_18TensorIteratorBaseERKT_EUlibE_EEviT1_: ; @_ZN2at6native32elementwise_kernel_manual_unrollILi128ELi4EZNS0_15gpu_kernel_implIZZZNS0_12_GLOBAL__N_139_amp_non_finite_check_and_unscale_cuda_ERNS_6TensorES5_RKS4_ENKUlvE_clEvENKUlvE0_clEvEUlfE_EEvRNS_18TensorIteratorBaseERKT_EUlibE_EEviT1_
; %bb.0:
	s_clause 0x4
	s_load_b32 s12, s[0:1], 0x30
	s_load_b32 s16, s[0:1], 0x0
	s_load_b128 s[4:7], s[0:1], 0x8
	s_load_b64 s[2:3], s[0:1], 0x18
	s_load_b128 s[8:11], s[0:1], 0x20
	v_lshl_or_b32 v4, s15, 9, v0
	s_mov_b32 s1, 0
	s_mov_b32 s14, 0
	s_mov_b32 s0, exec_lo
	s_delay_alu instid0(VALU_DEP_1) | instskip(SKIP_2) | instid1(VALU_DEP_2)
	v_or_b32_e32 v0, 0x180, v4
	s_waitcnt lgkmcnt(0)
	v_lshrrev_b16 v5, 8, s12
	v_cmpx_le_i32_e64 s16, v0
	s_xor_b32 s13, exec_lo, s0
	s_cbranch_execz .LBB15_1041
; %bb.1:
	s_mov_b32 s20, -1
	s_mov_b32 s18, 0
	s_mov_b32 s15, 0
	s_mov_b32 s17, exec_lo
	v_cmpx_gt_i32_e64 s16, v4
	s_cbranch_execz .LBB15_254
; %bb.2:
	v_mul_lo_u32 v0, v4, s3
	v_cmp_gt_i16_e32 vcc_lo, 11, v5
	s_delay_alu instid0(VALU_DEP_2) | instskip(SKIP_1) | instid1(VALU_DEP_1)
	v_ashrrev_i32_e32 v1, 31, v0
	v_add_co_u32 v0, s0, s6, v0
	v_add_co_ci_u32_e64 v1, s0, s7, v1, s0
	s_cbranch_vccnz .LBB15_9
; %bb.3:
	v_cmp_lt_i16_e32 vcc_lo, 25, v5
	s_cbranch_vccz .LBB15_20
; %bb.4:
	v_cmp_lt_i16_e32 vcc_lo, 28, v5
	s_cbranch_vccz .LBB15_23
	;; [unrolled: 3-line block ×4, first 2 shown]
; %bb.7:
	v_cmp_eq_u16_e32 vcc_lo, 46, v5
	s_cbranch_vccz .LBB15_29
; %bb.8:
	global_load_b32 v2, v[0:1], off
	s_mov_b32 s0, -1
	s_waitcnt vmcnt(0)
	v_lshlrev_b32_e32 v2, 16, v2
	s_branch .LBB15_31
.LBB15_9:
	s_mov_b32 s0, 0
                                        ; implicit-def: $vgpr2
	s_cbranch_execnz .LBB15_204
.LBB15_10:
	s_and_not1_b32 vcc_lo, exec_lo, s0
	s_cbranch_vccnz .LBB15_251
.LBB15_11:
	s_mov_b32 s0, exec_lo
	s_waitcnt vmcnt(0)
	s_delay_alu instid0(VALU_DEP_1)
	v_cmpx_nlg_f32_e64 0x7f800000, |v2|
	s_cbranch_execz .LBB15_13
; %bb.12:
	v_dual_mov_b32 v0, 0 :: v_dual_mov_b32 v1, 1.0
	global_store_b32 v0, v1, s[8:9]
.LBB15_13:
	s_or_b32 exec_lo, exec_lo, s0
	v_mov_b32_e32 v0, 0
	v_and_b32_e64 v6, 0xff, s12
	global_load_b32 v3, v0, s[10:11]
	v_mul_lo_u32 v0, v4, s2
	v_cmp_gt_i16_e32 vcc_lo, 11, v6
	s_and_b32 vcc_lo, exec_lo, vcc_lo
	s_delay_alu instid0(VALU_DEP_2) | instskip(SKIP_1) | instid1(VALU_DEP_1)
	v_ashrrev_i32_e32 v1, 31, v0
	v_add_co_u32 v0, s0, s4, v0
	v_add_co_ci_u32_e64 v1, s0, s5, v1, s0
	s_waitcnt vmcnt(0)
	v_mul_f32_e32 v7, v2, v3
	v_cmp_eq_f32_e64 s0, 1.0, v3
	s_delay_alu instid0(VALU_DEP_1)
	v_cndmask_b32_e64 v2, v7, v2, s0
	s_cbranch_vccnz .LBB15_21
; %bb.14:
	v_cmp_lt_i16_e32 vcc_lo, 25, v6
	s_cbranch_vccz .LBB15_24
; %bb.15:
	v_cmp_lt_i16_e32 vcc_lo, 28, v6
	s_cbranch_vccz .LBB15_26
	;; [unrolled: 3-line block ×4, first 2 shown]
; %bb.18:
	v_cmp_eq_u16_e32 vcc_lo, 46, v6
	s_mov_b32 s19, 0
	s_mov_b32 s0, -1
	s_mov_b32 s14, 0
	s_cbranch_vccz .LBB15_35
; %bb.19:
	v_bfe_u32 v3, v2, 16, 1
	v_cmp_o_f32_e32 vcc_lo, v2, v2
	s_mov_b32 s14, -1
	s_mov_b32 s0, 0
	s_delay_alu instid0(VALU_DEP_2) | instskip(NEXT) | instid1(VALU_DEP_1)
	v_add3_u32 v3, v2, v3, 0x7fff
	v_lshrrev_b32_e32 v3, 16, v3
	s_delay_alu instid0(VALU_DEP_1)
	v_cndmask_b32_e32 v3, 0x7fc0, v3, vcc_lo
	global_store_b32 v[0:1], v3, off
	s_branch .LBB15_35
.LBB15_20:
	s_mov_b32 s0, 0
                                        ; implicit-def: $vgpr2
	s_cbranch_execnz .LBB15_169
	s_branch .LBB15_203
.LBB15_21:
	s_mov_b32 s0, 0
	s_mov_b32 s14, 0
	s_cbranch_execnz .LBB15_104
.LBB15_22:
	s_and_not1_b32 vcc_lo, exec_lo, s14
	s_cbranch_vccnz .LBB15_252
	s_branch .LBB15_142
.LBB15_23:
	s_mov_b32 s14, -1
	s_mov_b32 s0, 0
                                        ; implicit-def: $vgpr2
	s_branch .LBB15_150
.LBB15_24:
	s_mov_b32 s19, -1
	s_mov_b32 s0, 0
	s_mov_b32 s14, 0
	s_branch .LBB15_62
.LBB15_25:
	s_mov_b32 s14, -1
	s_mov_b32 s0, 0
                                        ; implicit-def: $vgpr2
	s_branch .LBB15_145
.LBB15_26:
	s_mov_b32 s19, -1
	s_mov_b32 s0, 0
	s_mov_b32 s14, 0
	s_branch .LBB15_45
.LBB15_27:
	s_mov_b32 s14, -1
	s_branch .LBB15_30
.LBB15_28:
	s_mov_b32 s19, -1
	s_mov_b32 s0, 0
	s_mov_b32 s14, 0
	s_branch .LBB15_41
.LBB15_29:
	s_mov_b32 s15, -1
.LBB15_30:
	s_mov_b32 s0, 0
                                        ; implicit-def: $vgpr2
.LBB15_31:
	s_and_b32 vcc_lo, exec_lo, s14
	s_cbranch_vccz .LBB15_144
; %bb.32:
	v_cmp_eq_u16_e32 vcc_lo, 44, v5
	s_cbranch_vccz .LBB15_143
; %bb.33:
	global_load_u8 v2, v[0:1], off
	s_mov_b32 s15, 0
	s_mov_b32 s0, -1
	s_waitcnt vmcnt(0)
	v_lshlrev_b32_e32 v3, 23, v2
	v_cmp_ne_u32_e32 vcc_lo, 0xff, v2
	s_delay_alu instid0(VALU_DEP_2) | instskip(SKIP_1) | instid1(VALU_DEP_2)
	v_cndmask_b32_e32 v3, 0x7f800001, v3, vcc_lo
	v_cmp_ne_u32_e32 vcc_lo, 0, v2
	v_cndmask_b32_e32 v2, 0x400000, v3, vcc_lo
	s_branch .LBB15_144
.LBB15_34:
	s_mov_b32 s19, -1
	s_mov_b32 s0, 0
	s_mov_b32 s14, 0
.LBB15_35:
	s_and_b32 vcc_lo, exec_lo, s19
	s_cbranch_vccz .LBB15_40
; %bb.36:
	v_cmp_eq_u16_e32 vcc_lo, 44, v6
	s_mov_b32 s0, -1
	s_cbranch_vccz .LBB15_40
; %bb.37:
	v_bfe_u32 v7, v2, 23, 8
	v_mov_b32_e32 v3, 0xff
	s_mov_b32 s14, exec_lo
	s_delay_alu instid0(VALU_DEP_2)
	v_cmpx_ne_u32_e32 0xff, v7
; %bb.38:
	v_and_b32_e32 v3, 0x400000, v2
	v_and_or_b32 v7, 0x3fffff, v2, v7
	s_delay_alu instid0(VALU_DEP_2) | instskip(NEXT) | instid1(VALU_DEP_2)
	v_cmp_ne_u32_e32 vcc_lo, 0, v3
	v_cmp_ne_u32_e64 s0, 0, v7
	v_lshrrev_b32_e32 v3, 23, v2
	s_delay_alu instid0(VALU_DEP_2) | instskip(NEXT) | instid1(SALU_CYCLE_1)
	s_and_b32 s0, vcc_lo, s0
	v_cndmask_b32_e64 v7, 0, 1, s0
	s_delay_alu instid0(VALU_DEP_1)
	v_add_nc_u32_e32 v3, v3, v7
; %bb.39:
	s_or_b32 exec_lo, exec_lo, s14
	s_mov_b32 s14, -1
	s_mov_b32 s0, 0
	global_store_b8 v[0:1], v3, off
.LBB15_40:
	s_mov_b32 s19, 0
.LBB15_41:
	s_delay_alu instid0(SALU_CYCLE_1)
	s_and_b32 vcc_lo, exec_lo, s19
	s_cbranch_vccz .LBB15_44
; %bb.42:
	v_cmp_eq_u16_e32 vcc_lo, 29, v6
	s_mov_b32 s0, -1
	s_cbranch_vccz .LBB15_44
; %bb.43:
	v_trunc_f32_e32 v3, v2
	s_mov_b32 s14, -1
	s_mov_b32 s0, 0
	s_mov_b32 s19, 0
	s_delay_alu instid0(VALU_DEP_1) | instskip(NEXT) | instid1(VALU_DEP_1)
	v_mul_f32_e32 v7, 0x2f800000, v3
	v_floor_f32_e32 v7, v7
	s_delay_alu instid0(VALU_DEP_1) | instskip(SKIP_1) | instid1(VALU_DEP_2)
	v_fmamk_f32 v3, v7, 0xcf800000, v3
	v_cvt_u32_f32_e32 v8, v7
	v_cvt_u32_f32_e32 v7, v3
	global_store_b64 v[0:1], v[7:8], off
	s_branch .LBB15_45
.LBB15_44:
	s_mov_b32 s19, 0
.LBB15_45:
	s_delay_alu instid0(SALU_CYCLE_1)
	s_and_b32 vcc_lo, exec_lo, s19
	s_cbranch_vccz .LBB15_61
; %bb.46:
	v_cmp_gt_i16_e32 vcc_lo, 27, v6
	s_mov_b32 s14, -1
	s_cbranch_vccnz .LBB15_52
; %bb.47:
	v_cmp_lt_i16_e32 vcc_lo, 27, v6
	s_cbranch_vccz .LBB15_49
; %bb.48:
	v_cvt_u32_f32_e32 v3, v2
	s_mov_b32 s14, 0
	global_store_b32 v[0:1], v3, off
.LBB15_49:
	s_and_not1_b32 vcc_lo, exec_lo, s14
	s_cbranch_vccnz .LBB15_51
; %bb.50:
	v_cvt_u32_f32_e32 v3, v2
	global_store_b16 v[0:1], v3, off
.LBB15_51:
	s_mov_b32 s14, 0
.LBB15_52:
	s_delay_alu instid0(SALU_CYCLE_1)
	s_and_not1_b32 vcc_lo, exec_lo, s14
	s_cbranch_vccnz .LBB15_60
; %bb.53:
	v_and_b32_e32 v3, 0x7fffffff, v2
	v_mov_b32_e32 v7, 0x80
	s_mov_b32 s14, exec_lo
	s_delay_alu instid0(VALU_DEP_2)
	v_cmpx_gt_u32_e32 0x43800000, v3
	s_cbranch_execz .LBB15_59
; %bb.54:
	v_cmp_lt_u32_e32 vcc_lo, 0x3bffffff, v3
	s_mov_b32 s19, 0
                                        ; implicit-def: $vgpr3
	s_and_saveexec_b32 s20, vcc_lo
	s_delay_alu instid0(SALU_CYCLE_1)
	s_xor_b32 s20, exec_lo, s20
	s_cbranch_execz .LBB15_280
; %bb.55:
	v_bfe_u32 v3, v2, 20, 1
	s_mov_b32 s19, exec_lo
	s_delay_alu instid0(VALU_DEP_1) | instskip(NEXT) | instid1(VALU_DEP_1)
	v_add3_u32 v3, v2, v3, 0x487ffff
	v_lshrrev_b32_e32 v3, 20, v3
	s_or_saveexec_b32 s20, s20
                                        ; implicit-def: $sgpr21
	s_delay_alu instid0(SALU_CYCLE_1)
	s_xor_b32 exec_lo, exec_lo, s20
	s_cbranch_execnz .LBB15_281
.LBB15_56:
	s_or_b32 exec_lo, exec_lo, s20
	v_mov_b32_e32 v7, s21
	s_and_saveexec_b32 s20, s19
.LBB15_57:
	v_lshrrev_b32_e32 v7, 24, v2
	s_delay_alu instid0(VALU_DEP_1)
	v_and_or_b32 v7, 0x80, v7, v3
.LBB15_58:
	s_or_b32 exec_lo, exec_lo, s20
.LBB15_59:
	s_delay_alu instid0(SALU_CYCLE_1)
	s_or_b32 exec_lo, exec_lo, s14
	global_store_b8 v[0:1], v7, off
.LBB15_60:
	s_mov_b32 s14, -1
.LBB15_61:
	s_mov_b32 s19, 0
.LBB15_62:
	s_delay_alu instid0(SALU_CYCLE_1)
	s_and_b32 vcc_lo, exec_lo, s19
	s_cbranch_vccz .LBB15_103
; %bb.63:
	v_cmp_lt_i16_e32 vcc_lo, 22, v6
	s_mov_b32 s19, -1
	s_cbranch_vccz .LBB15_95
; %bb.64:
	v_cmp_gt_i16_e32 vcc_lo, 24, v6
	s_mov_b32 s14, -1
	s_cbranch_vccnz .LBB15_84
; %bb.65:
	v_cmp_lt_i16_e32 vcc_lo, 24, v6
	s_cbranch_vccz .LBB15_73
; %bb.66:
	v_and_b32_e32 v3, 0x7fffffff, v2
	v_mov_b32_e32 v7, 0x80
	s_mov_b32 s14, exec_lo
	s_delay_alu instid0(VALU_DEP_2)
	v_cmpx_gt_u32_e32 0x47800000, v3
	s_cbranch_execz .LBB15_72
; %bb.67:
	v_cmp_lt_u32_e32 vcc_lo, 0x37ffffff, v3
	s_mov_b32 s19, 0
                                        ; implicit-def: $vgpr3
	s_and_saveexec_b32 s20, vcc_lo
	s_delay_alu instid0(SALU_CYCLE_1)
	s_xor_b32 s20, exec_lo, s20
	s_cbranch_execz .LBB15_284
; %bb.68:
	v_bfe_u32 v3, v2, 21, 1
	s_mov_b32 s19, exec_lo
	s_delay_alu instid0(VALU_DEP_1) | instskip(NEXT) | instid1(VALU_DEP_1)
	v_add3_u32 v3, v2, v3, 0x88fffff
	v_lshrrev_b32_e32 v3, 21, v3
	s_or_saveexec_b32 s20, s20
                                        ; implicit-def: $sgpr21
	s_delay_alu instid0(SALU_CYCLE_1)
	s_xor_b32 exec_lo, exec_lo, s20
	s_cbranch_execnz .LBB15_285
.LBB15_69:
	s_or_b32 exec_lo, exec_lo, s20
	v_mov_b32_e32 v7, s21
	s_and_saveexec_b32 s20, s19
.LBB15_70:
	v_lshrrev_b32_e32 v7, 24, v2
	s_delay_alu instid0(VALU_DEP_1)
	v_and_or_b32 v7, 0x80, v7, v3
.LBB15_71:
	s_or_b32 exec_lo, exec_lo, s20
.LBB15_72:
	s_delay_alu instid0(SALU_CYCLE_1)
	s_or_b32 exec_lo, exec_lo, s14
	s_mov_b32 s14, 0
	global_store_b8 v[0:1], v7, off
.LBB15_73:
	s_and_b32 vcc_lo, exec_lo, s14
	s_cbranch_vccz .LBB15_83
; %bb.74:
	v_and_b32_e32 v7, 0x7fffffff, v2
	s_mov_b32 s14, exec_lo
                                        ; implicit-def: $vgpr3
	s_delay_alu instid0(VALU_DEP_1)
	v_cmpx_gt_u32_e32 0x43f00000, v7
	s_xor_b32 s14, exec_lo, s14
	s_cbranch_execz .LBB15_80
; %bb.75:
	s_mov_b32 s19, exec_lo
                                        ; implicit-def: $vgpr3
	v_cmpx_lt_u32_e32 0x3c7fffff, v7
	s_xor_b32 s19, exec_lo, s19
; %bb.76:
	v_bfe_u32 v3, v2, 20, 1
	s_delay_alu instid0(VALU_DEP_1) | instskip(NEXT) | instid1(VALU_DEP_1)
	v_add3_u32 v3, v2, v3, 0x407ffff
	v_and_b32_e32 v7, 0xff00000, v3
	v_lshrrev_b32_e32 v3, 20, v3
	s_delay_alu instid0(VALU_DEP_2) | instskip(NEXT) | instid1(VALU_DEP_2)
	v_cmp_ne_u32_e32 vcc_lo, 0x7f00000, v7
	v_cndmask_b32_e32 v3, 0x7e, v3, vcc_lo
; %bb.77:
	s_and_not1_saveexec_b32 s19, s19
; %bb.78:
	v_add_f32_e64 v3, 0x46800000, |v2|
; %bb.79:
	s_or_b32 exec_lo, exec_lo, s19
                                        ; implicit-def: $vgpr7
.LBB15_80:
	s_and_not1_saveexec_b32 s14, s14
; %bb.81:
	v_mov_b32_e32 v3, 0x7f
	v_cmp_lt_u32_e32 vcc_lo, 0x7f800000, v7
	s_delay_alu instid0(VALU_DEP_2)
	v_cndmask_b32_e32 v3, 0x7e, v3, vcc_lo
; %bb.82:
	s_or_b32 exec_lo, exec_lo, s14
	v_lshrrev_b32_e32 v7, 24, v2
	s_delay_alu instid0(VALU_DEP_1)
	v_and_or_b32 v3, 0x80, v7, v3
	global_store_b8 v[0:1], v3, off
.LBB15_83:
	s_mov_b32 s14, 0
.LBB15_84:
	s_delay_alu instid0(SALU_CYCLE_1)
	s_and_not1_b32 vcc_lo, exec_lo, s14
	s_cbranch_vccnz .LBB15_94
; %bb.85:
	v_and_b32_e32 v7, 0x7fffffff, v2
	s_mov_b32 s14, exec_lo
                                        ; implicit-def: $vgpr3
	s_delay_alu instid0(VALU_DEP_1)
	v_cmpx_gt_u32_e32 0x47800000, v7
	s_xor_b32 s14, exec_lo, s14
	s_cbranch_execz .LBB15_91
; %bb.86:
	s_mov_b32 s19, exec_lo
                                        ; implicit-def: $vgpr3
	v_cmpx_lt_u32_e32 0x387fffff, v7
	s_xor_b32 s19, exec_lo, s19
; %bb.87:
	v_bfe_u32 v3, v2, 21, 1
	s_delay_alu instid0(VALU_DEP_1) | instskip(NEXT) | instid1(VALU_DEP_1)
	v_add3_u32 v3, v2, v3, 0x80fffff
	v_lshrrev_b32_e32 v3, 21, v3
; %bb.88:
	s_and_not1_saveexec_b32 s19, s19
; %bb.89:
	v_add_f32_e64 v3, 0x43000000, |v2|
; %bb.90:
	s_or_b32 exec_lo, exec_lo, s19
                                        ; implicit-def: $vgpr7
.LBB15_91:
	s_and_not1_saveexec_b32 s14, s14
; %bb.92:
	v_mov_b32_e32 v3, 0x7f
	v_cmp_lt_u32_e32 vcc_lo, 0x7f800000, v7
	s_delay_alu instid0(VALU_DEP_2)
	v_cndmask_b32_e32 v3, 0x7c, v3, vcc_lo
; %bb.93:
	s_or_b32 exec_lo, exec_lo, s14
	v_lshrrev_b32_e32 v7, 24, v2
	s_delay_alu instid0(VALU_DEP_1)
	v_and_or_b32 v3, 0x80, v7, v3
	global_store_b8 v[0:1], v3, off
.LBB15_94:
	s_mov_b32 s19, 0
	s_mov_b32 s14, -1
.LBB15_95:
	s_and_not1_b32 vcc_lo, exec_lo, s19
	s_cbranch_vccnz .LBB15_103
; %bb.96:
	v_cmp_lt_i16_e32 vcc_lo, 14, v6
	s_mov_b32 s19, -1
	s_cbranch_vccz .LBB15_100
; %bb.97:
	v_cmp_eq_u16_e32 vcc_lo, 15, v6
	s_mov_b32 s0, -1
	s_cbranch_vccz .LBB15_99
; %bb.98:
	v_bfe_u32 v3, v2, 16, 1
	v_cmp_o_f32_e32 vcc_lo, v2, v2
	s_mov_b32 s14, -1
	s_mov_b32 s0, 0
	s_delay_alu instid0(VALU_DEP_2) | instskip(NEXT) | instid1(VALU_DEP_1)
	v_add3_u32 v3, v2, v3, 0x7fff
	v_lshrrev_b32_e32 v3, 16, v3
	s_delay_alu instid0(VALU_DEP_1)
	v_cndmask_b32_e32 v3, 0x7fc0, v3, vcc_lo
	global_store_b16 v[0:1], v3, off
.LBB15_99:
	s_mov_b32 s19, 0
.LBB15_100:
	s_delay_alu instid0(SALU_CYCLE_1)
	s_and_b32 vcc_lo, exec_lo, s19
	s_cbranch_vccz .LBB15_103
; %bb.101:
	v_cmp_eq_u16_e32 vcc_lo, 11, v6
	s_mov_b32 s0, -1
	s_cbranch_vccz .LBB15_103
; %bb.102:
	v_cmp_neq_f32_e32 vcc_lo, 0, v2
	s_mov_b32 s0, 0
	s_mov_b32 s14, -1
	v_cndmask_b32_e64 v3, 0, 1, vcc_lo
	global_store_b8 v[0:1], v3, off
.LBB15_103:
	s_branch .LBB15_22
.LBB15_104:
	v_cmp_gt_i16_e32 vcc_lo, 5, v6
	s_mov_b32 s14, -1
	s_cbranch_vccnz .LBB15_125
; %bb.105:
	v_cmp_gt_i16_e32 vcc_lo, 8, v6
	s_cbranch_vccnz .LBB15_115
; %bb.106:
	v_cmp_gt_i16_e32 vcc_lo, 9, v6
	s_cbranch_vccnz .LBB15_112
; %bb.107:
	v_cmp_lt_i16_e32 vcc_lo, 9, v6
	s_cbranch_vccz .LBB15_109
; %bb.108:
	v_cvt_f64_f32_e32 v[7:8], v2
	v_mov_b32_e32 v9, 0
	s_mov_b32 s14, 0
	s_delay_alu instid0(VALU_DEP_1)
	v_mov_b32_e32 v10, v9
	global_store_b128 v[0:1], v[7:10], off
.LBB15_109:
	s_and_not1_b32 vcc_lo, exec_lo, s14
	s_cbranch_vccnz .LBB15_111
; %bb.110:
	v_mov_b32_e32 v3, 0
	global_store_b64 v[0:1], v[2:3], off
.LBB15_111:
	s_mov_b32 s14, 0
.LBB15_112:
	s_delay_alu instid0(SALU_CYCLE_1)
	s_and_not1_b32 vcc_lo, exec_lo, s14
	s_cbranch_vccnz .LBB15_114
; %bb.113:
	v_cvt_f16_f32_e32 v3, v2
	s_delay_alu instid0(VALU_DEP_1)
	v_and_b32_e32 v3, 0xffff, v3
	global_store_b32 v[0:1], v3, off
.LBB15_114:
	s_mov_b32 s14, 0
.LBB15_115:
	s_delay_alu instid0(SALU_CYCLE_1)
	s_and_not1_b32 vcc_lo, exec_lo, s14
	s_cbranch_vccnz .LBB15_124
; %bb.116:
	v_cmp_gt_i16_e32 vcc_lo, 6, v6
	s_mov_b32 s14, -1
	s_cbranch_vccnz .LBB15_122
; %bb.117:
	v_cmp_lt_i16_e32 vcc_lo, 6, v6
	s_cbranch_vccz .LBB15_119
; %bb.118:
	v_cvt_f64_f32_e32 v[7:8], v2
	s_mov_b32 s14, 0
	global_store_b64 v[0:1], v[7:8], off
.LBB15_119:
	s_and_not1_b32 vcc_lo, exec_lo, s14
	s_cbranch_vccnz .LBB15_121
; %bb.120:
	global_store_b32 v[0:1], v2, off
.LBB15_121:
	s_mov_b32 s14, 0
.LBB15_122:
	s_delay_alu instid0(SALU_CYCLE_1)
	s_and_not1_b32 vcc_lo, exec_lo, s14
	s_cbranch_vccnz .LBB15_124
; %bb.123:
	v_cvt_f16_f32_e32 v3, v2
	global_store_b16 v[0:1], v3, off
.LBB15_124:
	s_mov_b32 s14, 0
.LBB15_125:
	s_delay_alu instid0(SALU_CYCLE_1)
	s_and_not1_b32 vcc_lo, exec_lo, s14
	s_cbranch_vccnz .LBB15_141
; %bb.126:
	v_cmp_gt_i16_e32 vcc_lo, 2, v6
	s_mov_b32 s14, -1
	s_cbranch_vccnz .LBB15_136
; %bb.127:
	v_cmp_gt_i16_e32 vcc_lo, 3, v6
	s_cbranch_vccnz .LBB15_133
; %bb.128:
	v_cmp_lt_i16_e32 vcc_lo, 3, v6
	s_cbranch_vccz .LBB15_130
; %bb.129:
	v_trunc_f32_e32 v3, v2
	s_mov_b32 s14, 0
	s_delay_alu instid0(VALU_DEP_1) | instskip(NEXT) | instid1(VALU_DEP_1)
	v_mul_f32_e64 v7, 0x2f800000, |v3|
	v_floor_f32_e32 v7, v7
	s_delay_alu instid0(VALU_DEP_1) | instskip(SKIP_2) | instid1(VALU_DEP_3)
	v_fma_f32 v8, 0xcf800000, v7, |v3|
	v_ashrrev_i32_e32 v3, 31, v3
	v_cvt_u32_f32_e32 v7, v7
	v_cvt_u32_f32_e32 v8, v8
	s_delay_alu instid0(VALU_DEP_2) | instskip(NEXT) | instid1(VALU_DEP_2)
	v_xor_b32_e32 v9, v7, v3
	v_xor_b32_e32 v8, v8, v3
	s_delay_alu instid0(VALU_DEP_1) | instskip(NEXT) | instid1(VALU_DEP_3)
	v_sub_co_u32 v7, vcc_lo, v8, v3
	v_sub_co_ci_u32_e32 v8, vcc_lo, v9, v3, vcc_lo
	global_store_b64 v[0:1], v[7:8], off
.LBB15_130:
	s_and_not1_b32 vcc_lo, exec_lo, s14
	s_cbranch_vccnz .LBB15_132
; %bb.131:
	v_cvt_i32_f32_e32 v3, v2
	global_store_b32 v[0:1], v3, off
.LBB15_132:
	s_mov_b32 s14, 0
.LBB15_133:
	s_delay_alu instid0(SALU_CYCLE_1)
	s_and_not1_b32 vcc_lo, exec_lo, s14
	s_cbranch_vccnz .LBB15_135
; %bb.134:
	v_cvt_i32_f32_e32 v3, v2
	global_store_b16 v[0:1], v3, off
.LBB15_135:
	s_mov_b32 s14, 0
.LBB15_136:
	s_delay_alu instid0(SALU_CYCLE_1)
	s_and_not1_b32 vcc_lo, exec_lo, s14
	s_cbranch_vccnz .LBB15_141
; %bb.137:
	v_cmp_lt_i16_e32 vcc_lo, 0, v6
	s_mov_b32 s14, -1
	s_cbranch_vccz .LBB15_139
; %bb.138:
	v_cvt_i32_f32_e32 v3, v2
	s_mov_b32 s14, 0
	global_store_b8 v[0:1], v3, off
.LBB15_139:
	s_and_not1_b32 vcc_lo, exec_lo, s14
	s_cbranch_vccnz .LBB15_141
; %bb.140:
	v_trunc_f32_e32 v2, v2
	s_delay_alu instid0(VALU_DEP_1) | instskip(NEXT) | instid1(VALU_DEP_1)
	v_mul_f32_e64 v3, 0x2f800000, |v2|
	v_floor_f32_e32 v3, v3
	s_delay_alu instid0(VALU_DEP_1) | instskip(SKIP_1) | instid1(VALU_DEP_2)
	v_fma_f32 v3, 0xcf800000, v3, |v2|
	v_ashrrev_i32_e32 v2, 31, v2
	v_cvt_u32_f32_e32 v3, v3
	s_delay_alu instid0(VALU_DEP_1) | instskip(NEXT) | instid1(VALU_DEP_1)
	v_xor_b32_e32 v3, v3, v2
	v_sub_nc_u32_e32 v2, v3, v2
	global_store_b8 v[0:1], v2, off
.LBB15_141:
.LBB15_142:
	v_add_nc_u32_e32 v4, 0x80, v4
	s_mov_b32 s19, -1
	s_branch .LBB15_253
.LBB15_143:
	s_mov_b32 s15, -1
                                        ; implicit-def: $vgpr2
.LBB15_144:
	s_mov_b32 s14, 0
.LBB15_145:
	s_delay_alu instid0(SALU_CYCLE_1)
	s_and_b32 vcc_lo, exec_lo, s14
	s_cbranch_vccz .LBB15_149
; %bb.146:
	v_cmp_eq_u16_e32 vcc_lo, 29, v5
	s_cbranch_vccz .LBB15_148
; %bb.147:
	global_load_b64 v[2:3], v[0:1], off
	s_mov_b32 s0, -1
	s_mov_b32 s15, 0
	s_mov_b32 s14, 0
	s_waitcnt vmcnt(0)
	v_clz_i32_u32_e32 v6, v3
	s_delay_alu instid0(VALU_DEP_1) | instskip(NEXT) | instid1(VALU_DEP_1)
	v_min_u32_e32 v6, 32, v6
	v_lshlrev_b64 v[2:3], v6, v[2:3]
	s_delay_alu instid0(VALU_DEP_1) | instskip(NEXT) | instid1(VALU_DEP_1)
	v_min_u32_e32 v2, 1, v2
	v_or_b32_e32 v2, v3, v2
	v_sub_nc_u32_e32 v3, 32, v6
	s_delay_alu instid0(VALU_DEP_2) | instskip(NEXT) | instid1(VALU_DEP_1)
	v_cvt_f32_u32_e32 v2, v2
	v_ldexp_f32 v2, v2, v3
	s_branch .LBB15_150
.LBB15_148:
	s_mov_b32 s15, -1
                                        ; implicit-def: $vgpr2
.LBB15_149:
	s_mov_b32 s14, 0
.LBB15_150:
	s_delay_alu instid0(SALU_CYCLE_1)
	s_and_b32 vcc_lo, exec_lo, s14
	s_cbranch_vccz .LBB15_168
; %bb.151:
	v_cmp_gt_i16_e32 vcc_lo, 27, v5
	s_cbranch_vccnz .LBB15_154
; %bb.152:
	v_cmp_lt_i16_e32 vcc_lo, 27, v5
	s_cbranch_vccz .LBB15_155
; %bb.153:
	global_load_b32 v2, v[0:1], off
	s_mov_b32 s0, 0
	s_waitcnt vmcnt(0)
	v_cvt_f32_u32_e32 v2, v2
	s_branch .LBB15_156
.LBB15_154:
	s_mov_b32 s0, -1
                                        ; implicit-def: $vgpr2
	s_branch .LBB15_159
.LBB15_155:
	s_mov_b32 s0, -1
                                        ; implicit-def: $vgpr2
.LBB15_156:
	s_delay_alu instid0(SALU_CYCLE_1)
	s_and_not1_b32 vcc_lo, exec_lo, s0
	s_cbranch_vccnz .LBB15_158
; %bb.157:
	global_load_u16 v2, v[0:1], off
	s_waitcnt vmcnt(0)
	v_cvt_f32_u32_e32 v2, v2
.LBB15_158:
	s_mov_b32 s0, 0
.LBB15_159:
	s_delay_alu instid0(SALU_CYCLE_1)
	s_and_not1_b32 vcc_lo, exec_lo, s0
	s_cbranch_vccnz .LBB15_167
; %bb.160:
	global_load_u8 v3, v[0:1], off
	s_mov_b32 s0, 0
	s_mov_b32 s19, exec_lo
                                        ; implicit-def: $sgpr14
	s_waitcnt vmcnt(0)
	v_cmpx_lt_i16_e32 0x7f, v3
	s_xor_b32 s19, exec_lo, s19
	s_cbranch_execz .LBB15_180
; %bb.161:
	s_mov_b32 s0, -1
	s_mov_b32 s20, exec_lo
                                        ; implicit-def: $sgpr14
	v_cmpx_eq_u16_e32 0x80, v3
; %bb.162:
	s_mov_b32 s14, 0x7f800001
	s_xor_b32 s0, exec_lo, -1
; %bb.163:
	s_or_b32 exec_lo, exec_lo, s20
	s_delay_alu instid0(SALU_CYCLE_1)
	s_and_b32 s0, s0, exec_lo
	s_or_saveexec_b32 s19, s19
	v_mov_b32_e32 v2, s14
	s_xor_b32 exec_lo, exec_lo, s19
	s_cbranch_execnz .LBB15_181
.LBB15_164:
	s_or_b32 exec_lo, exec_lo, s19
	s_and_saveexec_b32 s14, s0
	s_cbranch_execz .LBB15_166
.LBB15_165:
	v_and_b32_e32 v2, 0xffff, v3
	s_delay_alu instid0(VALU_DEP_1) | instskip(NEXT) | instid1(VALU_DEP_1)
	v_and_b32_e32 v6, 7, v2
	v_clz_i32_u32_e32 v7, v6
	s_delay_alu instid0(VALU_DEP_1) | instskip(NEXT) | instid1(VALU_DEP_1)
	v_min_u32_e32 v7, 32, v7
	v_subrev_nc_u32_e32 v8, 28, v7
	v_sub_nc_u32_e32 v7, 29, v7
	s_delay_alu instid0(VALU_DEP_2) | instskip(SKIP_1) | instid1(VALU_DEP_2)
	v_lshlrev_b32_e32 v8, v8, v2
	v_bfe_u32 v2, v2, 3, 4
	v_and_b32_e32 v8, 7, v8
	s_delay_alu instid0(VALU_DEP_2) | instskip(NEXT) | instid1(VALU_DEP_2)
	v_cmp_eq_u32_e32 vcc_lo, 0, v2
	v_dual_cndmask_b32 v6, v6, v8 :: v_dual_lshlrev_b32 v3, 24, v3
	v_cndmask_b32_e32 v2, v2, v7, vcc_lo
	s_delay_alu instid0(VALU_DEP_2) | instskip(NEXT) | instid1(VALU_DEP_3)
	v_and_b32_e32 v3, 0x80000000, v3
	v_lshlrev_b32_e32 v6, 20, v6
	s_delay_alu instid0(VALU_DEP_3) | instskip(NEXT) | instid1(VALU_DEP_1)
	v_lshl_add_u32 v2, v2, 23, 0x3b800000
	v_or3_b32 v2, v3, v2, v6
.LBB15_166:
	s_or_b32 exec_lo, exec_lo, s14
.LBB15_167:
	s_mov_b32 s0, -1
.LBB15_168:
	s_branch .LBB15_203
.LBB15_169:
	v_cmp_lt_i16_e32 vcc_lo, 22, v5
	s_cbranch_vccz .LBB15_179
; %bb.170:
	v_cmp_gt_i16_e32 vcc_lo, 24, v5
	s_cbranch_vccnz .LBB15_182
; %bb.171:
	v_cmp_lt_i16_e32 vcc_lo, 24, v5
	s_cbranch_vccz .LBB15_183
; %bb.172:
	global_load_u8 v3, v[0:1], off
	s_mov_b32 s0, 0
	s_mov_b32 s19, exec_lo
                                        ; implicit-def: $sgpr14
	s_waitcnt vmcnt(0)
	v_cmpx_lt_i16_e32 0x7f, v3
	s_xor_b32 s19, exec_lo, s19
	s_cbranch_execz .LBB15_195
; %bb.173:
	s_mov_b32 s0, -1
	s_mov_b32 s20, exec_lo
                                        ; implicit-def: $sgpr14
	v_cmpx_eq_u16_e32 0x80, v3
; %bb.174:
	s_mov_b32 s14, 0x7f800001
	s_xor_b32 s0, exec_lo, -1
; %bb.175:
	s_or_b32 exec_lo, exec_lo, s20
	s_delay_alu instid0(SALU_CYCLE_1)
	s_and_b32 s0, s0, exec_lo
	s_or_saveexec_b32 s19, s19
	v_mov_b32_e32 v2, s14
	s_xor_b32 exec_lo, exec_lo, s19
	s_cbranch_execnz .LBB15_196
.LBB15_176:
	s_or_b32 exec_lo, exec_lo, s19
	s_and_saveexec_b32 s14, s0
	s_cbranch_execz .LBB15_178
.LBB15_177:
	v_and_b32_e32 v2, 0xffff, v3
	s_delay_alu instid0(VALU_DEP_1) | instskip(NEXT) | instid1(VALU_DEP_1)
	v_and_b32_e32 v6, 3, v2
	v_clz_i32_u32_e32 v7, v6
	s_delay_alu instid0(VALU_DEP_1) | instskip(NEXT) | instid1(VALU_DEP_1)
	v_min_u32_e32 v7, 32, v7
	v_subrev_nc_u32_e32 v8, 29, v7
	v_sub_nc_u32_e32 v7, 30, v7
	s_delay_alu instid0(VALU_DEP_2) | instskip(SKIP_1) | instid1(VALU_DEP_2)
	v_lshlrev_b32_e32 v8, v8, v2
	v_bfe_u32 v2, v2, 2, 5
	v_and_b32_e32 v8, 3, v8
	s_delay_alu instid0(VALU_DEP_2) | instskip(NEXT) | instid1(VALU_DEP_2)
	v_cmp_eq_u32_e32 vcc_lo, 0, v2
	v_dual_cndmask_b32 v6, v6, v8 :: v_dual_lshlrev_b32 v3, 24, v3
	v_cndmask_b32_e32 v2, v2, v7, vcc_lo
	s_delay_alu instid0(VALU_DEP_2) | instskip(NEXT) | instid1(VALU_DEP_3)
	v_and_b32_e32 v3, 0x80000000, v3
	v_lshlrev_b32_e32 v6, 21, v6
	s_delay_alu instid0(VALU_DEP_3) | instskip(NEXT) | instid1(VALU_DEP_1)
	v_lshl_add_u32 v2, v2, 23, 0x37800000
	v_or3_b32 v2, v3, v2, v6
.LBB15_178:
	s_or_b32 exec_lo, exec_lo, s14
	s_mov_b32 s0, 0
	s_branch .LBB15_184
.LBB15_179:
	s_mov_b32 s14, -1
                                        ; implicit-def: $vgpr2
	s_branch .LBB15_190
.LBB15_180:
	s_or_saveexec_b32 s19, s19
	v_mov_b32_e32 v2, s14
	s_xor_b32 exec_lo, exec_lo, s19
	s_cbranch_execz .LBB15_164
.LBB15_181:
	v_cmp_ne_u16_e32 vcc_lo, 0, v3
	v_mov_b32_e32 v2, 0
	s_and_not1_b32 s0, s0, exec_lo
	s_and_b32 s14, vcc_lo, exec_lo
	s_delay_alu instid0(SALU_CYCLE_1)
	s_or_b32 s0, s0, s14
	s_or_b32 exec_lo, exec_lo, s19
	s_and_saveexec_b32 s14, s0
	s_cbranch_execnz .LBB15_165
	s_branch .LBB15_166
.LBB15_182:
	s_mov_b32 s0, -1
                                        ; implicit-def: $vgpr2
	s_branch .LBB15_187
.LBB15_183:
	s_mov_b32 s0, -1
                                        ; implicit-def: $vgpr2
.LBB15_184:
	s_delay_alu instid0(SALU_CYCLE_1)
	s_and_b32 vcc_lo, exec_lo, s0
	s_cbranch_vccz .LBB15_186
; %bb.185:
	global_load_u8 v2, v[0:1], off
	s_waitcnt vmcnt(0)
	v_lshlrev_b32_e32 v2, 24, v2
	s_delay_alu instid0(VALU_DEP_1) | instskip(NEXT) | instid1(VALU_DEP_1)
	v_and_b32_e32 v3, 0x7f000000, v2
	v_clz_i32_u32_e32 v6, v3
	v_cmp_ne_u32_e32 vcc_lo, 0, v3
	v_add_nc_u32_e32 v8, 0x1000000, v3
	s_delay_alu instid0(VALU_DEP_3) | instskip(NEXT) | instid1(VALU_DEP_1)
	v_min_u32_e32 v6, 32, v6
	v_sub_nc_u32_e64 v6, v6, 4 clamp
	s_delay_alu instid0(VALU_DEP_1) | instskip(SKIP_1) | instid1(VALU_DEP_2)
	v_lshlrev_b32_e32 v7, v6, v3
	v_lshlrev_b32_e32 v6, 23, v6
	v_lshrrev_b32_e32 v7, 4, v7
	s_delay_alu instid0(VALU_DEP_1) | instskip(SKIP_1) | instid1(VALU_DEP_2)
	v_sub_nc_u32_e32 v6, v7, v6
	v_ashrrev_i32_e32 v7, 8, v8
	v_add_nc_u32_e32 v6, 0x3c000000, v6
	s_delay_alu instid0(VALU_DEP_1) | instskip(NEXT) | instid1(VALU_DEP_1)
	v_and_or_b32 v6, 0x7f800000, v7, v6
	v_cndmask_b32_e32 v3, 0, v6, vcc_lo
	s_delay_alu instid0(VALU_DEP_1)
	v_and_or_b32 v2, 0x80000000, v2, v3
.LBB15_186:
	s_mov_b32 s0, 0
.LBB15_187:
	s_delay_alu instid0(SALU_CYCLE_1)
	s_and_not1_b32 vcc_lo, exec_lo, s0
	s_cbranch_vccnz .LBB15_189
; %bb.188:
	global_load_u8 v2, v[0:1], off
	s_waitcnt vmcnt(0)
	v_lshlrev_b32_e32 v3, 25, v2
	v_lshlrev_b16 v2, 8, v2
	s_delay_alu instid0(VALU_DEP_2) | instskip(NEXT) | instid1(VALU_DEP_2)
	v_lshrrev_b32_e32 v6, 4, v3
	v_and_or_b32 v7, 0x7f00, v2, 0.5
	v_cmp_gt_u32_e32 vcc_lo, 0x8000000, v3
	v_bfe_i32 v2, v2, 0, 16
	s_delay_alu instid0(VALU_DEP_4) | instskip(NEXT) | instid1(VALU_DEP_1)
	v_or_b32_e32 v6, 0x70000000, v6
	v_dual_add_f32 v7, -0.5, v7 :: v_dual_mul_f32 v6, 0x7800000, v6
	s_delay_alu instid0(VALU_DEP_1) | instskip(NEXT) | instid1(VALU_DEP_1)
	v_cndmask_b32_e32 v3, v6, v7, vcc_lo
	v_and_or_b32 v2, 0x80000000, v2, v3
.LBB15_189:
	s_mov_b32 s14, 0
	s_mov_b32 s0, -1
.LBB15_190:
	s_and_not1_b32 vcc_lo, exec_lo, s14
	s_cbranch_vccnz .LBB15_203
; %bb.191:
	v_cmp_lt_i16_e32 vcc_lo, 14, v5
	s_cbranch_vccz .LBB15_194
; %bb.192:
	v_cmp_eq_u16_e32 vcc_lo, 15, v5
	s_cbranch_vccz .LBB15_197
; %bb.193:
	global_load_u16 v2, v[0:1], off
	s_mov_b32 s0, -1
	s_mov_b32 s15, 0
	s_waitcnt vmcnt(0)
	v_lshlrev_b32_e32 v2, 16, v2
	s_branch .LBB15_198
.LBB15_194:
	s_mov_b32 s14, -1
                                        ; implicit-def: $vgpr2
	s_branch .LBB15_199
.LBB15_195:
	s_or_saveexec_b32 s19, s19
	v_mov_b32_e32 v2, s14
	s_xor_b32 exec_lo, exec_lo, s19
	s_cbranch_execz .LBB15_176
.LBB15_196:
	v_cmp_ne_u16_e32 vcc_lo, 0, v3
	v_mov_b32_e32 v2, 0
	s_and_not1_b32 s0, s0, exec_lo
	s_and_b32 s14, vcc_lo, exec_lo
	s_delay_alu instid0(SALU_CYCLE_1)
	s_or_b32 s0, s0, s14
	s_or_b32 exec_lo, exec_lo, s19
	s_and_saveexec_b32 s14, s0
	s_cbranch_execnz .LBB15_177
	s_branch .LBB15_178
.LBB15_197:
	s_mov_b32 s15, -1
                                        ; implicit-def: $vgpr2
.LBB15_198:
	s_mov_b32 s14, 0
.LBB15_199:
	s_delay_alu instid0(SALU_CYCLE_1)
	s_and_b32 vcc_lo, exec_lo, s14
	s_cbranch_vccz .LBB15_203
; %bb.200:
	v_cmp_eq_u16_e32 vcc_lo, 11, v5
	s_cbranch_vccz .LBB15_202
; %bb.201:
	global_load_u8 v2, v[0:1], off
	s_mov_b32 s15, 0
	s_mov_b32 s0, -1
	s_waitcnt vmcnt(0)
	v_cmp_ne_u16_e32 vcc_lo, 0, v2
	v_cndmask_b32_e64 v2, 0, 1.0, vcc_lo
	s_branch .LBB15_203
.LBB15_202:
	s_mov_b32 s15, -1
                                        ; implicit-def: $vgpr2
.LBB15_203:
	s_branch .LBB15_10
.LBB15_204:
	v_cmp_gt_i16_e32 vcc_lo, 5, v5
	s_cbranch_vccnz .LBB15_209
; %bb.205:
	v_cmp_gt_i16_e32 vcc_lo, 8, v5
	s_cbranch_vccnz .LBB15_210
; %bb.206:
	;; [unrolled: 3-line block ×3, first 2 shown]
	v_cmp_lt_i16_e32 vcc_lo, 9, v5
	s_cbranch_vccz .LBB15_212
; %bb.208:
	global_load_b64 v[2:3], v[0:1], off
	s_mov_b32 s0, 0
	s_waitcnt vmcnt(0)
	v_cvt_f32_f64_e32 v2, v[2:3]
	s_branch .LBB15_213
.LBB15_209:
                                        ; implicit-def: $vgpr2
	s_branch .LBB15_231
.LBB15_210:
	s_mov_b32 s0, -1
                                        ; implicit-def: $vgpr2
	s_branch .LBB15_219
.LBB15_211:
	s_mov_b32 s0, -1
                                        ; implicit-def: $vgpr2
	s_branch .LBB15_216
.LBB15_212:
	s_mov_b32 s0, -1
                                        ; implicit-def: $vgpr2
.LBB15_213:
	s_delay_alu instid0(SALU_CYCLE_1)
	s_and_not1_b32 vcc_lo, exec_lo, s0
	s_cbranch_vccnz .LBB15_215
; %bb.214:
	global_load_b32 v2, v[0:1], off
.LBB15_215:
	s_mov_b32 s0, 0
.LBB15_216:
	s_delay_alu instid0(SALU_CYCLE_1)
	s_and_not1_b32 vcc_lo, exec_lo, s0
	s_cbranch_vccnz .LBB15_218
; %bb.217:
	global_load_b32 v2, v[0:1], off
	s_waitcnt vmcnt(0)
	v_cvt_f32_f16_e32 v2, v2
.LBB15_218:
	s_mov_b32 s0, 0
.LBB15_219:
	s_delay_alu instid0(SALU_CYCLE_1)
	s_and_not1_b32 vcc_lo, exec_lo, s0
	s_cbranch_vccnz .LBB15_230
; %bb.220:
	v_cmp_gt_i16_e32 vcc_lo, 6, v5
	s_cbranch_vccnz .LBB15_223
; %bb.221:
	v_cmp_lt_i16_e32 vcc_lo, 6, v5
	s_cbranch_vccz .LBB15_224
; %bb.222:
	global_load_b64 v[2:3], v[0:1], off
	s_mov_b32 s0, 0
	s_waitcnt vmcnt(0)
	v_cvt_f32_f64_e32 v2, v[2:3]
	s_branch .LBB15_225
.LBB15_223:
	s_mov_b32 s0, -1
                                        ; implicit-def: $vgpr2
	s_branch .LBB15_228
.LBB15_224:
	s_mov_b32 s0, -1
                                        ; implicit-def: $vgpr2
.LBB15_225:
	s_delay_alu instid0(SALU_CYCLE_1)
	s_and_not1_b32 vcc_lo, exec_lo, s0
	s_cbranch_vccnz .LBB15_227
; %bb.226:
	global_load_b32 v2, v[0:1], off
.LBB15_227:
	s_mov_b32 s0, 0
.LBB15_228:
	s_delay_alu instid0(SALU_CYCLE_1)
	s_and_not1_b32 vcc_lo, exec_lo, s0
	s_cbranch_vccnz .LBB15_230
; %bb.229:
	global_load_u16 v2, v[0:1], off
	s_waitcnt vmcnt(0)
	v_cvt_f32_f16_e32 v2, v2
.LBB15_230:
	s_cbranch_execnz .LBB15_250
.LBB15_231:
	v_cmp_gt_i16_e32 vcc_lo, 2, v5
	s_cbranch_vccnz .LBB15_235
; %bb.232:
	v_cmp_gt_i16_e32 vcc_lo, 3, v5
	s_cbranch_vccnz .LBB15_236
; %bb.233:
	v_cmp_lt_i16_e32 vcc_lo, 3, v5
	s_cbranch_vccz .LBB15_237
; %bb.234:
	global_load_b64 v[2:3], v[0:1], off
	s_mov_b32 s0, 0
	s_waitcnt vmcnt(0)
	v_xor_b32_e32 v6, v2, v3
	v_cls_i32_e32 v7, v3
	s_delay_alu instid0(VALU_DEP_2) | instskip(NEXT) | instid1(VALU_DEP_2)
	v_ashrrev_i32_e32 v6, 31, v6
	v_add_nc_u32_e32 v7, -1, v7
	s_delay_alu instid0(VALU_DEP_2) | instskip(NEXT) | instid1(VALU_DEP_1)
	v_add_nc_u32_e32 v6, 32, v6
	v_min_u32_e32 v6, v7, v6
	s_delay_alu instid0(VALU_DEP_1) | instskip(NEXT) | instid1(VALU_DEP_1)
	v_lshlrev_b64 v[2:3], v6, v[2:3]
	v_min_u32_e32 v2, 1, v2
	s_delay_alu instid0(VALU_DEP_1) | instskip(SKIP_1) | instid1(VALU_DEP_2)
	v_or_b32_e32 v2, v3, v2
	v_sub_nc_u32_e32 v3, 32, v6
	v_cvt_f32_i32_e32 v2, v2
	s_delay_alu instid0(VALU_DEP_1)
	v_ldexp_f32 v2, v2, v3
	s_branch .LBB15_238
.LBB15_235:
	s_mov_b32 s0, -1
                                        ; implicit-def: $vgpr2
	s_branch .LBB15_244
.LBB15_236:
	s_mov_b32 s0, -1
                                        ; implicit-def: $vgpr2
	s_branch .LBB15_241
.LBB15_237:
	s_mov_b32 s0, -1
                                        ; implicit-def: $vgpr2
.LBB15_238:
	s_delay_alu instid0(SALU_CYCLE_1)
	s_and_not1_b32 vcc_lo, exec_lo, s0
	s_cbranch_vccnz .LBB15_240
; %bb.239:
	global_load_b32 v2, v[0:1], off
	s_waitcnt vmcnt(0)
	v_cvt_f32_i32_e32 v2, v2
.LBB15_240:
	s_mov_b32 s0, 0
.LBB15_241:
	s_delay_alu instid0(SALU_CYCLE_1)
	s_and_not1_b32 vcc_lo, exec_lo, s0
	s_cbranch_vccnz .LBB15_243
; %bb.242:
	global_load_i16 v2, v[0:1], off
	s_waitcnt vmcnt(0)
	v_cvt_f32_i32_e32 v2, v2
.LBB15_243:
	s_mov_b32 s0, 0
.LBB15_244:
	s_delay_alu instid0(SALU_CYCLE_1)
	s_and_not1_b32 vcc_lo, exec_lo, s0
	s_cbranch_vccnz .LBB15_250
; %bb.245:
	v_cmp_lt_i16_e32 vcc_lo, 0, v5
	s_mov_b32 s0, 0
	s_cbranch_vccz .LBB15_247
; %bb.246:
	global_load_i8 v2, v[0:1], off
	s_waitcnt vmcnt(0)
	v_cvt_f32_i32_e32 v2, v2
	s_branch .LBB15_248
.LBB15_247:
	s_mov_b32 s0, -1
                                        ; implicit-def: $vgpr2
.LBB15_248:
	s_delay_alu instid0(SALU_CYCLE_1)
	s_and_not1_b32 vcc_lo, exec_lo, s0
	s_cbranch_vccnz .LBB15_250
; %bb.249:
	global_load_u8 v0, v[0:1], off
	s_waitcnt vmcnt(0)
	v_cvt_f32_ubyte0_e32 v2, v0
.LBB15_250:
	s_branch .LBB15_11
.LBB15_251:
	s_mov_b32 s0, 0
.LBB15_252:
	s_mov_b32 s19, 0
                                        ; implicit-def: $vgpr4
.LBB15_253:
	s_and_b32 s14, s0, exec_lo
	s_and_b32 s15, s15, exec_lo
	s_or_not1_b32 s20, s19, exec_lo
.LBB15_254:
	s_or_b32 exec_lo, exec_lo, s17
	s_mov_b32 s19, 0
	s_mov_b32 s0, 0
                                        ; implicit-def: $vgpr0_vgpr1
                                        ; implicit-def: $vgpr3
	s_and_saveexec_b32 s17, s20
	s_cbranch_execz .LBB15_866
; %bb.255:
	s_mov_b32 s22, -1
	s_mov_b32 s18, s15
	s_mov_b32 s19, s14
	s_mov_b32 s20, exec_lo
	v_cmpx_gt_i32_e64 s16, v4
	s_cbranch_execz .LBB15_516
; %bb.256:
	v_mul_lo_u32 v0, v4, s3
	v_cmp_gt_i16_e32 vcc_lo, 11, v5
	s_delay_alu instid0(VALU_DEP_2) | instskip(SKIP_1) | instid1(VALU_DEP_1)
	v_ashrrev_i32_e32 v1, 31, v0
	v_add_co_u32 v0, s0, s6, v0
	v_add_co_ci_u32_e64 v1, s0, s7, v1, s0
	s_cbranch_vccnz .LBB15_263
; %bb.257:
	v_cmp_lt_i16_e32 vcc_lo, 25, v5
	s_cbranch_vccz .LBB15_274
; %bb.258:
	v_cmp_lt_i16_e32 vcc_lo, 28, v5
	s_cbranch_vccz .LBB15_276
	;; [unrolled: 3-line block ×4, first 2 shown]
; %bb.261:
	v_cmp_eq_u16_e32 vcc_lo, 46, v5
	s_mov_b32 s19, 0
	s_cbranch_vccz .LBB15_286
; %bb.262:
	global_load_b32 v2, v[0:1], off
	s_mov_b32 s0, -1
	s_mov_b32 s18, 0
	s_waitcnt vmcnt(0)
	v_lshlrev_b32_e32 v2, 16, v2
	s_branch .LBB15_288
.LBB15_263:
	s_mov_b32 s0, 0
	s_mov_b32 s18, s15
                                        ; implicit-def: $vgpr2
	s_cbranch_execnz .LBB15_465
.LBB15_264:
	s_and_not1_b32 vcc_lo, exec_lo, s0
	s_cbranch_vccnz .LBB15_513
.LBB15_265:
	s_mov_b32 s0, exec_lo
	s_waitcnt vmcnt(0)
	s_delay_alu instid0(VALU_DEP_1)
	v_cmpx_nlg_f32_e64 0x7f800000, |v2|
	s_cbranch_execz .LBB15_267
; %bb.266:
	v_dual_mov_b32 v0, 0 :: v_dual_mov_b32 v1, 1.0
	global_store_b32 v0, v1, s[8:9]
.LBB15_267:
	s_or_b32 exec_lo, exec_lo, s0
	v_mov_b32_e32 v0, 0
	v_and_b32_e64 v6, 0xff, s12
	global_load_b32 v3, v0, s[10:11]
	v_mul_lo_u32 v0, v4, s2
	v_cmp_gt_i16_e32 vcc_lo, 11, v6
	s_and_b32 vcc_lo, exec_lo, vcc_lo
	s_delay_alu instid0(VALU_DEP_2) | instskip(SKIP_1) | instid1(VALU_DEP_1)
	v_ashrrev_i32_e32 v1, 31, v0
	v_add_co_u32 v0, s0, s4, v0
	v_add_co_ci_u32_e64 v1, s0, s5, v1, s0
	s_waitcnt vmcnt(0)
	v_mul_f32_e32 v7, v2, v3
	v_cmp_eq_f32_e64 s0, 1.0, v3
	s_delay_alu instid0(VALU_DEP_1)
	v_cndmask_b32_e64 v2, v7, v2, s0
	s_cbranch_vccnz .LBB15_275
; %bb.268:
	v_cmp_lt_i16_e32 vcc_lo, 25, v6
	s_cbranch_vccz .LBB15_277
; %bb.269:
	v_cmp_lt_i16_e32 vcc_lo, 28, v6
	s_cbranch_vccz .LBB15_279
; %bb.270:
	v_cmp_lt_i16_e32 vcc_lo, 43, v6
	s_cbranch_vccz .LBB15_283
; %bb.271:
	v_cmp_lt_i16_e32 vcc_lo, 45, v6
	s_cbranch_vccz .LBB15_291
; %bb.272:
	v_cmp_eq_u16_e32 vcc_lo, 46, v6
	s_mov_b32 s21, 0
	s_mov_b32 s0, -1
	s_mov_b32 s19, 0
	s_cbranch_vccz .LBB15_292
; %bb.273:
	v_bfe_u32 v3, v2, 16, 1
	v_cmp_o_f32_e32 vcc_lo, v2, v2
	s_mov_b32 s19, -1
	s_mov_b32 s0, 0
	s_delay_alu instid0(VALU_DEP_2) | instskip(NEXT) | instid1(VALU_DEP_1)
	v_add3_u32 v3, v2, v3, 0x7fff
	v_lshrrev_b32_e32 v3, 16, v3
	s_delay_alu instid0(VALU_DEP_1)
	v_cndmask_b32_e32 v3, 0x7fc0, v3, vcc_lo
	global_store_b32 v[0:1], v3, off
	s_branch .LBB15_292
.LBB15_274:
	s_mov_b32 s19, -1
	s_mov_b32 s0, 0
	s_mov_b32 s18, s15
                                        ; implicit-def: $vgpr2
	s_branch .LBB15_429
.LBB15_275:
	s_mov_b32 s21, -1
	s_mov_b32 s19, 0
	s_mov_b32 s0, s14
	s_branch .LBB15_361
.LBB15_276:
	s_mov_b32 s19, -1
	s_mov_b32 s0, 0
	s_mov_b32 s18, s15
                                        ; implicit-def: $vgpr2
	s_branch .LBB15_410
.LBB15_277:
	s_mov_b32 s21, -1
	s_mov_b32 s19, 0
	s_mov_b32 s0, s14
	s_branch .LBB15_319
.LBB15_278:
	s_mov_b32 s19, -1
	s_mov_b32 s0, 0
	s_mov_b32 s18, s15
                                        ; implicit-def: $vgpr2
	s_branch .LBB15_405
.LBB15_279:
	s_mov_b32 s21, -1
	s_mov_b32 s19, 0
	s_mov_b32 s0, s14
	s_branch .LBB15_302
.LBB15_280:
	s_or_saveexec_b32 s20, s20
                                        ; implicit-def: $sgpr21
	s_delay_alu instid0(SALU_CYCLE_1)
	s_xor_b32 exec_lo, exec_lo, s20
	s_cbranch_execz .LBB15_56
.LBB15_281:
	v_add_f32_e64 v3, 0x46000000, |v2|
	s_and_not1_b32 s19, s19, exec_lo
	s_mov_b32 s21, 0
	s_delay_alu instid0(VALU_DEP_1) | instskip(NEXT) | instid1(VALU_DEP_1)
	v_and_b32_e32 v3, 0xff, v3
	v_cmp_ne_u32_e32 vcc_lo, 0, v3
	s_and_b32 s22, vcc_lo, exec_lo
	s_delay_alu instid0(SALU_CYCLE_1)
	s_or_b32 s19, s19, s22
	s_or_b32 exec_lo, exec_lo, s20
	v_mov_b32_e32 v7, s21
	s_and_saveexec_b32 s20, s19
	s_cbranch_execnz .LBB15_57
	s_branch .LBB15_58
.LBB15_282:
	s_mov_b32 s19, -1
	s_mov_b32 s0, 0
	s_mov_b32 s18, s15
	s_branch .LBB15_287
.LBB15_283:
	s_mov_b32 s21, -1
	s_mov_b32 s19, 0
	s_mov_b32 s0, s14
	s_branch .LBB15_298
.LBB15_284:
	s_or_saveexec_b32 s20, s20
                                        ; implicit-def: $sgpr21
	s_delay_alu instid0(SALU_CYCLE_1)
	s_xor_b32 exec_lo, exec_lo, s20
	s_cbranch_execz .LBB15_69
.LBB15_285:
	v_add_f32_e64 v3, 0x42800000, |v2|
	s_and_not1_b32 s19, s19, exec_lo
	s_mov_b32 s21, 0
	s_delay_alu instid0(VALU_DEP_1) | instskip(NEXT) | instid1(VALU_DEP_1)
	v_and_b32_e32 v3, 0xff, v3
	v_cmp_ne_u32_e32 vcc_lo, 0, v3
	s_and_b32 s22, vcc_lo, exec_lo
	s_delay_alu instid0(SALU_CYCLE_1)
	s_or_b32 s19, s19, s22
	s_or_b32 exec_lo, exec_lo, s20
	v_mov_b32_e32 v7, s21
	s_and_saveexec_b32 s20, s19
	s_cbranch_execnz .LBB15_70
	s_branch .LBB15_71
.LBB15_286:
	s_mov_b32 s18, -1
	s_mov_b32 s0, 0
.LBB15_287:
                                        ; implicit-def: $vgpr2
.LBB15_288:
	s_and_b32 vcc_lo, exec_lo, s19
	s_cbranch_vccz .LBB15_404
; %bb.289:
	v_cmp_eq_u16_e32 vcc_lo, 44, v5
	s_cbranch_vccz .LBB15_403
; %bb.290:
	global_load_u8 v2, v[0:1], off
	s_mov_b32 s18, 0
	s_mov_b32 s0, -1
	s_waitcnt vmcnt(0)
	v_lshlrev_b32_e32 v3, 23, v2
	v_cmp_ne_u32_e32 vcc_lo, 0xff, v2
	s_delay_alu instid0(VALU_DEP_2) | instskip(SKIP_1) | instid1(VALU_DEP_2)
	v_cndmask_b32_e32 v3, 0x7f800001, v3, vcc_lo
	v_cmp_ne_u32_e32 vcc_lo, 0, v2
	v_cndmask_b32_e32 v2, 0x400000, v3, vcc_lo
	s_branch .LBB15_404
.LBB15_291:
	s_mov_b32 s21, -1
	s_mov_b32 s19, 0
	s_mov_b32 s0, s14
.LBB15_292:
	s_and_b32 vcc_lo, exec_lo, s21
	s_cbranch_vccz .LBB15_297
; %bb.293:
	v_cmp_eq_u16_e32 vcc_lo, 44, v6
	s_mov_b32 s0, -1
	s_cbranch_vccz .LBB15_297
; %bb.294:
	v_bfe_u32 v7, v2, 23, 8
	v_mov_b32_e32 v3, 0xff
	s_mov_b32 s19, exec_lo
	s_delay_alu instid0(VALU_DEP_2)
	v_cmpx_ne_u32_e32 0xff, v7
; %bb.295:
	v_and_b32_e32 v3, 0x400000, v2
	v_and_or_b32 v7, 0x3fffff, v2, v7
	s_delay_alu instid0(VALU_DEP_2) | instskip(NEXT) | instid1(VALU_DEP_2)
	v_cmp_ne_u32_e32 vcc_lo, 0, v3
	v_cmp_ne_u32_e64 s0, 0, v7
	v_lshrrev_b32_e32 v3, 23, v2
	s_delay_alu instid0(VALU_DEP_2) | instskip(NEXT) | instid1(SALU_CYCLE_1)
	s_and_b32 s0, vcc_lo, s0
	v_cndmask_b32_e64 v7, 0, 1, s0
	s_delay_alu instid0(VALU_DEP_1)
	v_add_nc_u32_e32 v3, v3, v7
; %bb.296:
	s_or_b32 exec_lo, exec_lo, s19
	s_mov_b32 s19, -1
	s_mov_b32 s0, 0
	global_store_b8 v[0:1], v3, off
.LBB15_297:
	s_mov_b32 s21, 0
.LBB15_298:
	s_delay_alu instid0(SALU_CYCLE_1)
	s_and_b32 vcc_lo, exec_lo, s21
	s_cbranch_vccz .LBB15_301
; %bb.299:
	v_cmp_eq_u16_e32 vcc_lo, 29, v6
	s_mov_b32 s0, -1
	s_cbranch_vccz .LBB15_301
; %bb.300:
	v_trunc_f32_e32 v3, v2
	s_mov_b32 s19, -1
	s_mov_b32 s0, 0
	s_mov_b32 s21, 0
	s_delay_alu instid0(VALU_DEP_1) | instskip(NEXT) | instid1(VALU_DEP_1)
	v_mul_f32_e32 v7, 0x2f800000, v3
	v_floor_f32_e32 v7, v7
	s_delay_alu instid0(VALU_DEP_1) | instskip(SKIP_1) | instid1(VALU_DEP_2)
	v_fmamk_f32 v3, v7, 0xcf800000, v3
	v_cvt_u32_f32_e32 v8, v7
	v_cvt_u32_f32_e32 v7, v3
	global_store_b64 v[0:1], v[7:8], off
	s_branch .LBB15_302
.LBB15_301:
	s_mov_b32 s21, 0
.LBB15_302:
	s_delay_alu instid0(SALU_CYCLE_1)
	s_and_b32 vcc_lo, exec_lo, s21
	s_cbranch_vccz .LBB15_318
; %bb.303:
	v_cmp_gt_i16_e32 vcc_lo, 27, v6
	s_mov_b32 s19, -1
	s_cbranch_vccnz .LBB15_309
; %bb.304:
	v_cmp_lt_i16_e32 vcc_lo, 27, v6
	s_cbranch_vccz .LBB15_306
; %bb.305:
	v_cvt_u32_f32_e32 v3, v2
	s_mov_b32 s19, 0
	global_store_b32 v[0:1], v3, off
.LBB15_306:
	s_and_not1_b32 vcc_lo, exec_lo, s19
	s_cbranch_vccnz .LBB15_308
; %bb.307:
	v_cvt_u32_f32_e32 v3, v2
	global_store_b16 v[0:1], v3, off
.LBB15_308:
	s_mov_b32 s19, 0
.LBB15_309:
	s_delay_alu instid0(SALU_CYCLE_1)
	s_and_not1_b32 vcc_lo, exec_lo, s19
	s_cbranch_vccnz .LBB15_317
; %bb.310:
	v_and_b32_e32 v3, 0x7fffffff, v2
	v_mov_b32_e32 v7, 0x80
	s_mov_b32 s19, exec_lo
	s_delay_alu instid0(VALU_DEP_2)
	v_cmpx_gt_u32_e32 0x43800000, v3
	s_cbranch_execz .LBB15_316
; %bb.311:
	v_cmp_lt_u32_e32 vcc_lo, 0x3bffffff, v3
	s_mov_b32 s21, 0
                                        ; implicit-def: $vgpr3
	s_and_saveexec_b32 s22, vcc_lo
	s_delay_alu instid0(SALU_CYCLE_1)
	s_xor_b32 s22, exec_lo, s22
	s_cbranch_execz .LBB15_529
; %bb.312:
	v_bfe_u32 v3, v2, 20, 1
	s_mov_b32 s21, exec_lo
	s_delay_alu instid0(VALU_DEP_1) | instskip(NEXT) | instid1(VALU_DEP_1)
	v_add3_u32 v3, v2, v3, 0x487ffff
	v_lshrrev_b32_e32 v3, 20, v3
	s_or_saveexec_b32 s22, s22
                                        ; implicit-def: $sgpr23
	s_delay_alu instid0(SALU_CYCLE_1)
	s_xor_b32 exec_lo, exec_lo, s22
	s_cbranch_execnz .LBB15_530
.LBB15_313:
	s_or_b32 exec_lo, exec_lo, s22
	v_mov_b32_e32 v7, s23
	s_and_saveexec_b32 s22, s21
.LBB15_314:
	v_lshrrev_b32_e32 v7, 24, v2
	s_delay_alu instid0(VALU_DEP_1)
	v_and_or_b32 v7, 0x80, v7, v3
.LBB15_315:
	s_or_b32 exec_lo, exec_lo, s22
.LBB15_316:
	s_delay_alu instid0(SALU_CYCLE_1)
	s_or_b32 exec_lo, exec_lo, s19
	global_store_b8 v[0:1], v7, off
.LBB15_317:
	s_mov_b32 s19, -1
.LBB15_318:
	s_mov_b32 s21, 0
.LBB15_319:
	s_delay_alu instid0(SALU_CYCLE_1)
	s_and_b32 vcc_lo, exec_lo, s21
	s_cbranch_vccz .LBB15_360
; %bb.320:
	v_cmp_lt_i16_e32 vcc_lo, 22, v6
	s_mov_b32 s21, -1
	s_cbranch_vccz .LBB15_352
; %bb.321:
	v_cmp_gt_i16_e32 vcc_lo, 24, v6
	s_mov_b32 s19, -1
	s_cbranch_vccnz .LBB15_341
; %bb.322:
	v_cmp_lt_i16_e32 vcc_lo, 24, v6
	s_cbranch_vccz .LBB15_330
; %bb.323:
	v_and_b32_e32 v3, 0x7fffffff, v2
	v_mov_b32_e32 v7, 0x80
	s_mov_b32 s19, exec_lo
	s_delay_alu instid0(VALU_DEP_2)
	v_cmpx_gt_u32_e32 0x47800000, v3
	s_cbranch_execz .LBB15_329
; %bb.324:
	v_cmp_lt_u32_e32 vcc_lo, 0x37ffffff, v3
	s_mov_b32 s21, 0
                                        ; implicit-def: $vgpr3
	s_and_saveexec_b32 s22, vcc_lo
	s_delay_alu instid0(SALU_CYCLE_1)
	s_xor_b32 s22, exec_lo, s22
	s_cbranch_execz .LBB15_532
; %bb.325:
	v_bfe_u32 v3, v2, 21, 1
	s_mov_b32 s21, exec_lo
	s_delay_alu instid0(VALU_DEP_1) | instskip(NEXT) | instid1(VALU_DEP_1)
	v_add3_u32 v3, v2, v3, 0x88fffff
	v_lshrrev_b32_e32 v3, 21, v3
	s_or_saveexec_b32 s22, s22
                                        ; implicit-def: $sgpr23
	s_delay_alu instid0(SALU_CYCLE_1)
	s_xor_b32 exec_lo, exec_lo, s22
	s_cbranch_execnz .LBB15_533
.LBB15_326:
	s_or_b32 exec_lo, exec_lo, s22
	v_mov_b32_e32 v7, s23
	s_and_saveexec_b32 s22, s21
.LBB15_327:
	v_lshrrev_b32_e32 v7, 24, v2
	s_delay_alu instid0(VALU_DEP_1)
	v_and_or_b32 v7, 0x80, v7, v3
.LBB15_328:
	s_or_b32 exec_lo, exec_lo, s22
.LBB15_329:
	s_delay_alu instid0(SALU_CYCLE_1)
	s_or_b32 exec_lo, exec_lo, s19
	s_mov_b32 s19, 0
	global_store_b8 v[0:1], v7, off
.LBB15_330:
	s_and_b32 vcc_lo, exec_lo, s19
	s_cbranch_vccz .LBB15_340
; %bb.331:
	v_and_b32_e32 v7, 0x7fffffff, v2
	s_mov_b32 s19, exec_lo
                                        ; implicit-def: $vgpr3
	s_delay_alu instid0(VALU_DEP_1)
	v_cmpx_gt_u32_e32 0x43f00000, v7
	s_xor_b32 s19, exec_lo, s19
	s_cbranch_execz .LBB15_337
; %bb.332:
	s_mov_b32 s21, exec_lo
                                        ; implicit-def: $vgpr3
	v_cmpx_lt_u32_e32 0x3c7fffff, v7
	s_xor_b32 s21, exec_lo, s21
; %bb.333:
	v_bfe_u32 v3, v2, 20, 1
	s_delay_alu instid0(VALU_DEP_1) | instskip(NEXT) | instid1(VALU_DEP_1)
	v_add3_u32 v3, v2, v3, 0x407ffff
	v_and_b32_e32 v7, 0xff00000, v3
	v_lshrrev_b32_e32 v3, 20, v3
	s_delay_alu instid0(VALU_DEP_2) | instskip(NEXT) | instid1(VALU_DEP_2)
	v_cmp_ne_u32_e32 vcc_lo, 0x7f00000, v7
	v_cndmask_b32_e32 v3, 0x7e, v3, vcc_lo
; %bb.334:
	s_and_not1_saveexec_b32 s21, s21
; %bb.335:
	v_add_f32_e64 v3, 0x46800000, |v2|
; %bb.336:
	s_or_b32 exec_lo, exec_lo, s21
                                        ; implicit-def: $vgpr7
.LBB15_337:
	s_and_not1_saveexec_b32 s19, s19
; %bb.338:
	v_mov_b32_e32 v3, 0x7f
	v_cmp_lt_u32_e32 vcc_lo, 0x7f800000, v7
	s_delay_alu instid0(VALU_DEP_2)
	v_cndmask_b32_e32 v3, 0x7e, v3, vcc_lo
; %bb.339:
	s_or_b32 exec_lo, exec_lo, s19
	v_lshrrev_b32_e32 v7, 24, v2
	s_delay_alu instid0(VALU_DEP_1)
	v_and_or_b32 v3, 0x80, v7, v3
	global_store_b8 v[0:1], v3, off
.LBB15_340:
	s_mov_b32 s19, 0
.LBB15_341:
	s_delay_alu instid0(SALU_CYCLE_1)
	s_and_not1_b32 vcc_lo, exec_lo, s19
	s_cbranch_vccnz .LBB15_351
; %bb.342:
	v_and_b32_e32 v7, 0x7fffffff, v2
	s_mov_b32 s19, exec_lo
                                        ; implicit-def: $vgpr3
	s_delay_alu instid0(VALU_DEP_1)
	v_cmpx_gt_u32_e32 0x47800000, v7
	s_xor_b32 s19, exec_lo, s19
	s_cbranch_execz .LBB15_348
; %bb.343:
	s_mov_b32 s21, exec_lo
                                        ; implicit-def: $vgpr3
	v_cmpx_lt_u32_e32 0x387fffff, v7
	s_xor_b32 s21, exec_lo, s21
; %bb.344:
	v_bfe_u32 v3, v2, 21, 1
	s_delay_alu instid0(VALU_DEP_1) | instskip(NEXT) | instid1(VALU_DEP_1)
	v_add3_u32 v3, v2, v3, 0x80fffff
	v_lshrrev_b32_e32 v3, 21, v3
; %bb.345:
	s_and_not1_saveexec_b32 s21, s21
; %bb.346:
	v_add_f32_e64 v3, 0x43000000, |v2|
; %bb.347:
	s_or_b32 exec_lo, exec_lo, s21
                                        ; implicit-def: $vgpr7
.LBB15_348:
	s_and_not1_saveexec_b32 s19, s19
; %bb.349:
	v_mov_b32_e32 v3, 0x7f
	v_cmp_lt_u32_e32 vcc_lo, 0x7f800000, v7
	s_delay_alu instid0(VALU_DEP_2)
	v_cndmask_b32_e32 v3, 0x7c, v3, vcc_lo
; %bb.350:
	s_or_b32 exec_lo, exec_lo, s19
	v_lshrrev_b32_e32 v7, 24, v2
	s_delay_alu instid0(VALU_DEP_1)
	v_and_or_b32 v3, 0x80, v7, v3
	global_store_b8 v[0:1], v3, off
.LBB15_351:
	s_mov_b32 s21, 0
	s_mov_b32 s19, -1
.LBB15_352:
	s_and_not1_b32 vcc_lo, exec_lo, s21
	s_cbranch_vccnz .LBB15_360
; %bb.353:
	v_cmp_lt_i16_e32 vcc_lo, 14, v6
	s_mov_b32 s21, -1
	s_cbranch_vccz .LBB15_357
; %bb.354:
	v_cmp_eq_u16_e32 vcc_lo, 15, v6
	s_mov_b32 s0, -1
	s_cbranch_vccz .LBB15_356
; %bb.355:
	v_bfe_u32 v3, v2, 16, 1
	v_cmp_o_f32_e32 vcc_lo, v2, v2
	s_mov_b32 s19, -1
	s_mov_b32 s0, 0
	s_delay_alu instid0(VALU_DEP_2) | instskip(NEXT) | instid1(VALU_DEP_1)
	v_add3_u32 v3, v2, v3, 0x7fff
	v_lshrrev_b32_e32 v3, 16, v3
	s_delay_alu instid0(VALU_DEP_1)
	v_cndmask_b32_e32 v3, 0x7fc0, v3, vcc_lo
	global_store_b16 v[0:1], v3, off
.LBB15_356:
	s_mov_b32 s21, 0
.LBB15_357:
	s_delay_alu instid0(SALU_CYCLE_1)
	s_and_b32 vcc_lo, exec_lo, s21
	s_cbranch_vccz .LBB15_360
; %bb.358:
	v_cmp_eq_u16_e32 vcc_lo, 11, v6
	s_mov_b32 s0, -1
	s_cbranch_vccz .LBB15_360
; %bb.359:
	v_cmp_neq_f32_e32 vcc_lo, 0, v2
	s_mov_b32 s0, 0
	s_mov_b32 s19, -1
	v_cndmask_b32_e64 v3, 0, 1, vcc_lo
	global_store_b8 v[0:1], v3, off
.LBB15_360:
	s_mov_b32 s21, 0
.LBB15_361:
	s_delay_alu instid0(SALU_CYCLE_1)
	s_and_b32 vcc_lo, exec_lo, s21
	s_cbranch_vccz .LBB15_400
; %bb.362:
	v_cmp_gt_i16_e32 vcc_lo, 5, v6
	s_mov_b32 s19, -1
	s_cbranch_vccnz .LBB15_383
; %bb.363:
	v_cmp_gt_i16_e32 vcc_lo, 8, v6
	s_cbranch_vccnz .LBB15_373
; %bb.364:
	v_cmp_gt_i16_e32 vcc_lo, 9, v6
	s_cbranch_vccnz .LBB15_370
; %bb.365:
	v_cmp_lt_i16_e32 vcc_lo, 9, v6
	s_cbranch_vccz .LBB15_367
; %bb.366:
	v_cvt_f64_f32_e32 v[7:8], v2
	v_mov_b32_e32 v9, 0
	s_mov_b32 s19, 0
	s_delay_alu instid0(VALU_DEP_1)
	v_mov_b32_e32 v10, v9
	global_store_b128 v[0:1], v[7:10], off
.LBB15_367:
	s_and_not1_b32 vcc_lo, exec_lo, s19
	s_cbranch_vccnz .LBB15_369
; %bb.368:
	v_mov_b32_e32 v3, 0
	global_store_b64 v[0:1], v[2:3], off
.LBB15_369:
	s_mov_b32 s19, 0
.LBB15_370:
	s_delay_alu instid0(SALU_CYCLE_1)
	s_and_not1_b32 vcc_lo, exec_lo, s19
	s_cbranch_vccnz .LBB15_372
; %bb.371:
	v_cvt_f16_f32_e32 v3, v2
	s_delay_alu instid0(VALU_DEP_1)
	v_and_b32_e32 v3, 0xffff, v3
	global_store_b32 v[0:1], v3, off
.LBB15_372:
	s_mov_b32 s19, 0
.LBB15_373:
	s_delay_alu instid0(SALU_CYCLE_1)
	s_and_not1_b32 vcc_lo, exec_lo, s19
	s_cbranch_vccnz .LBB15_382
; %bb.374:
	v_cmp_gt_i16_e32 vcc_lo, 6, v6
	s_mov_b32 s19, -1
	s_cbranch_vccnz .LBB15_380
; %bb.375:
	v_cmp_lt_i16_e32 vcc_lo, 6, v6
	s_cbranch_vccz .LBB15_377
; %bb.376:
	v_cvt_f64_f32_e32 v[7:8], v2
	s_mov_b32 s19, 0
	global_store_b64 v[0:1], v[7:8], off
.LBB15_377:
	s_and_not1_b32 vcc_lo, exec_lo, s19
	s_cbranch_vccnz .LBB15_379
; %bb.378:
	global_store_b32 v[0:1], v2, off
.LBB15_379:
	s_mov_b32 s19, 0
.LBB15_380:
	s_delay_alu instid0(SALU_CYCLE_1)
	s_and_not1_b32 vcc_lo, exec_lo, s19
	s_cbranch_vccnz .LBB15_382
; %bb.381:
	v_cvt_f16_f32_e32 v3, v2
	global_store_b16 v[0:1], v3, off
.LBB15_382:
	s_mov_b32 s19, 0
.LBB15_383:
	s_delay_alu instid0(SALU_CYCLE_1)
	s_and_not1_b32 vcc_lo, exec_lo, s19
	s_cbranch_vccnz .LBB15_399
; %bb.384:
	v_cmp_gt_i16_e32 vcc_lo, 2, v6
	s_mov_b32 s19, -1
	s_cbranch_vccnz .LBB15_394
; %bb.385:
	v_cmp_gt_i16_e32 vcc_lo, 3, v6
	s_cbranch_vccnz .LBB15_391
; %bb.386:
	v_cmp_lt_i16_e32 vcc_lo, 3, v6
	s_cbranch_vccz .LBB15_388
; %bb.387:
	v_trunc_f32_e32 v3, v2
	s_mov_b32 s19, 0
	s_delay_alu instid0(VALU_DEP_1) | instskip(NEXT) | instid1(VALU_DEP_1)
	v_mul_f32_e64 v7, 0x2f800000, |v3|
	v_floor_f32_e32 v7, v7
	s_delay_alu instid0(VALU_DEP_1) | instskip(SKIP_2) | instid1(VALU_DEP_3)
	v_fma_f32 v8, 0xcf800000, v7, |v3|
	v_ashrrev_i32_e32 v3, 31, v3
	v_cvt_u32_f32_e32 v7, v7
	v_cvt_u32_f32_e32 v8, v8
	s_delay_alu instid0(VALU_DEP_2) | instskip(NEXT) | instid1(VALU_DEP_2)
	v_xor_b32_e32 v9, v7, v3
	v_xor_b32_e32 v8, v8, v3
	s_delay_alu instid0(VALU_DEP_1) | instskip(NEXT) | instid1(VALU_DEP_3)
	v_sub_co_u32 v7, vcc_lo, v8, v3
	v_sub_co_ci_u32_e32 v8, vcc_lo, v9, v3, vcc_lo
	global_store_b64 v[0:1], v[7:8], off
.LBB15_388:
	s_and_not1_b32 vcc_lo, exec_lo, s19
	s_cbranch_vccnz .LBB15_390
; %bb.389:
	v_cvt_i32_f32_e32 v3, v2
	global_store_b32 v[0:1], v3, off
.LBB15_390:
	s_mov_b32 s19, 0
.LBB15_391:
	s_delay_alu instid0(SALU_CYCLE_1)
	s_and_not1_b32 vcc_lo, exec_lo, s19
	s_cbranch_vccnz .LBB15_393
; %bb.392:
	v_cvt_i32_f32_e32 v3, v2
	global_store_b16 v[0:1], v3, off
.LBB15_393:
	s_mov_b32 s19, 0
.LBB15_394:
	s_delay_alu instid0(SALU_CYCLE_1)
	s_and_not1_b32 vcc_lo, exec_lo, s19
	s_cbranch_vccnz .LBB15_399
; %bb.395:
	v_cmp_lt_i16_e32 vcc_lo, 0, v6
	s_mov_b32 s19, -1
	s_cbranch_vccz .LBB15_397
; %bb.396:
	v_cvt_i32_f32_e32 v3, v2
	s_mov_b32 s19, 0
	global_store_b8 v[0:1], v3, off
.LBB15_397:
	s_and_not1_b32 vcc_lo, exec_lo, s19
	s_cbranch_vccnz .LBB15_399
; %bb.398:
	v_trunc_f32_e32 v2, v2
	s_delay_alu instid0(VALU_DEP_1) | instskip(NEXT) | instid1(VALU_DEP_1)
	v_mul_f32_e64 v3, 0x2f800000, |v2|
	v_floor_f32_e32 v3, v3
	s_delay_alu instid0(VALU_DEP_1) | instskip(SKIP_1) | instid1(VALU_DEP_2)
	v_fma_f32 v3, 0xcf800000, v3, |v2|
	v_ashrrev_i32_e32 v2, 31, v2
	v_cvt_u32_f32_e32 v3, v3
	s_delay_alu instid0(VALU_DEP_1) | instskip(NEXT) | instid1(VALU_DEP_1)
	v_xor_b32_e32 v3, v3, v2
	v_sub_nc_u32_e32 v2, v3, v2
	global_store_b8 v[0:1], v2, off
.LBB15_399:
	s_mov_b32 s19, -1
.LBB15_400:
	s_delay_alu instid0(SALU_CYCLE_1)
	s_and_not1_b32 vcc_lo, exec_lo, s19
	s_cbranch_vccnz .LBB15_402
; %bb.401:
	v_add_nc_u32_e32 v4, 0x80, v4
	s_mov_b32 s21, -1
	s_branch .LBB15_515
.LBB15_402:
	s_mov_b32 s21, 0
	s_branch .LBB15_514
.LBB15_403:
	s_mov_b32 s18, -1
                                        ; implicit-def: $vgpr2
.LBB15_404:
	s_mov_b32 s19, 0
.LBB15_405:
	s_delay_alu instid0(SALU_CYCLE_1)
	s_and_b32 vcc_lo, exec_lo, s19
	s_cbranch_vccz .LBB15_409
; %bb.406:
	v_cmp_eq_u16_e32 vcc_lo, 29, v5
	s_cbranch_vccz .LBB15_408
; %bb.407:
	global_load_b64 v[2:3], v[0:1], off
	s_mov_b32 s0, -1
	s_mov_b32 s18, 0
	s_mov_b32 s19, 0
	s_waitcnt vmcnt(0)
	v_clz_i32_u32_e32 v6, v3
	s_delay_alu instid0(VALU_DEP_1) | instskip(NEXT) | instid1(VALU_DEP_1)
	v_min_u32_e32 v6, 32, v6
	v_lshlrev_b64 v[2:3], v6, v[2:3]
	s_delay_alu instid0(VALU_DEP_1) | instskip(NEXT) | instid1(VALU_DEP_1)
	v_min_u32_e32 v2, 1, v2
	v_or_b32_e32 v2, v3, v2
	v_sub_nc_u32_e32 v3, 32, v6
	s_delay_alu instid0(VALU_DEP_2) | instskip(NEXT) | instid1(VALU_DEP_1)
	v_cvt_f32_u32_e32 v2, v2
	v_ldexp_f32 v2, v2, v3
	s_branch .LBB15_410
.LBB15_408:
	s_mov_b32 s18, -1
                                        ; implicit-def: $vgpr2
.LBB15_409:
	s_mov_b32 s19, 0
.LBB15_410:
	s_delay_alu instid0(SALU_CYCLE_1)
	s_and_b32 vcc_lo, exec_lo, s19
	s_cbranch_vccz .LBB15_428
; %bb.411:
	v_cmp_gt_i16_e32 vcc_lo, 27, v5
	s_cbranch_vccnz .LBB15_414
; %bb.412:
	v_cmp_lt_i16_e32 vcc_lo, 27, v5
	s_cbranch_vccz .LBB15_415
; %bb.413:
	global_load_b32 v2, v[0:1], off
	s_mov_b32 s0, 0
	s_waitcnt vmcnt(0)
	v_cvt_f32_u32_e32 v2, v2
	s_branch .LBB15_416
.LBB15_414:
	s_mov_b32 s0, -1
                                        ; implicit-def: $vgpr2
	s_branch .LBB15_419
.LBB15_415:
	s_mov_b32 s0, -1
                                        ; implicit-def: $vgpr2
.LBB15_416:
	s_delay_alu instid0(SALU_CYCLE_1)
	s_and_not1_b32 vcc_lo, exec_lo, s0
	s_cbranch_vccnz .LBB15_418
; %bb.417:
	global_load_u16 v2, v[0:1], off
	s_waitcnt vmcnt(0)
	v_cvt_f32_u32_e32 v2, v2
.LBB15_418:
	s_mov_b32 s0, 0
.LBB15_419:
	s_delay_alu instid0(SALU_CYCLE_1)
	s_and_not1_b32 vcc_lo, exec_lo, s0
	s_cbranch_vccnz .LBB15_427
; %bb.420:
	global_load_u8 v3, v[0:1], off
	s_mov_b32 s0, 0
	s_mov_b32 s21, exec_lo
                                        ; implicit-def: $sgpr19
	s_waitcnt vmcnt(0)
	v_cmpx_lt_i16_e32 0x7f, v3
	s_xor_b32 s21, exec_lo, s21
	s_cbranch_execz .LBB15_441
; %bb.421:
	s_mov_b32 s0, -1
	s_mov_b32 s22, exec_lo
                                        ; implicit-def: $sgpr19
	v_cmpx_eq_u16_e32 0x80, v3
; %bb.422:
	s_mov_b32 s19, 0x7f800001
	s_xor_b32 s0, exec_lo, -1
; %bb.423:
	s_or_b32 exec_lo, exec_lo, s22
	s_delay_alu instid0(SALU_CYCLE_1)
	s_and_b32 s0, s0, exec_lo
	s_or_saveexec_b32 s21, s21
	v_mov_b32_e32 v2, s19
	s_xor_b32 exec_lo, exec_lo, s21
	s_cbranch_execnz .LBB15_442
.LBB15_424:
	s_or_b32 exec_lo, exec_lo, s21
	s_and_saveexec_b32 s19, s0
	s_cbranch_execz .LBB15_426
.LBB15_425:
	v_and_b32_e32 v2, 0xffff, v3
	s_delay_alu instid0(VALU_DEP_1) | instskip(NEXT) | instid1(VALU_DEP_1)
	v_and_b32_e32 v6, 7, v2
	v_clz_i32_u32_e32 v7, v6
	s_delay_alu instid0(VALU_DEP_1) | instskip(NEXT) | instid1(VALU_DEP_1)
	v_min_u32_e32 v7, 32, v7
	v_subrev_nc_u32_e32 v8, 28, v7
	v_sub_nc_u32_e32 v7, 29, v7
	s_delay_alu instid0(VALU_DEP_2) | instskip(SKIP_1) | instid1(VALU_DEP_2)
	v_lshlrev_b32_e32 v8, v8, v2
	v_bfe_u32 v2, v2, 3, 4
	v_and_b32_e32 v8, 7, v8
	s_delay_alu instid0(VALU_DEP_2) | instskip(NEXT) | instid1(VALU_DEP_2)
	v_cmp_eq_u32_e32 vcc_lo, 0, v2
	v_dual_cndmask_b32 v6, v6, v8 :: v_dual_lshlrev_b32 v3, 24, v3
	v_cndmask_b32_e32 v2, v2, v7, vcc_lo
	s_delay_alu instid0(VALU_DEP_2) | instskip(NEXT) | instid1(VALU_DEP_3)
	v_and_b32_e32 v3, 0x80000000, v3
	v_lshlrev_b32_e32 v6, 20, v6
	s_delay_alu instid0(VALU_DEP_3) | instskip(NEXT) | instid1(VALU_DEP_1)
	v_lshl_add_u32 v2, v2, 23, 0x3b800000
	v_or3_b32 v2, v3, v2, v6
.LBB15_426:
	s_or_b32 exec_lo, exec_lo, s19
.LBB15_427:
	s_mov_b32 s0, -1
.LBB15_428:
	s_mov_b32 s19, 0
.LBB15_429:
	s_delay_alu instid0(SALU_CYCLE_1)
	s_and_b32 vcc_lo, exec_lo, s19
	s_cbranch_vccz .LBB15_464
; %bb.430:
	v_cmp_lt_i16_e32 vcc_lo, 22, v5
	s_cbranch_vccz .LBB15_440
; %bb.431:
	v_cmp_gt_i16_e32 vcc_lo, 24, v5
	s_cbranch_vccnz .LBB15_443
; %bb.432:
	v_cmp_lt_i16_e32 vcc_lo, 24, v5
	s_cbranch_vccz .LBB15_444
; %bb.433:
	global_load_u8 v3, v[0:1], off
	s_mov_b32 s0, 0
	s_mov_b32 s21, exec_lo
                                        ; implicit-def: $sgpr19
	s_waitcnt vmcnt(0)
	v_cmpx_lt_i16_e32 0x7f, v3
	s_xor_b32 s21, exec_lo, s21
	s_cbranch_execz .LBB15_456
; %bb.434:
	s_mov_b32 s0, -1
	s_mov_b32 s22, exec_lo
                                        ; implicit-def: $sgpr19
	v_cmpx_eq_u16_e32 0x80, v3
; %bb.435:
	s_mov_b32 s19, 0x7f800001
	s_xor_b32 s0, exec_lo, -1
; %bb.436:
	s_or_b32 exec_lo, exec_lo, s22
	s_delay_alu instid0(SALU_CYCLE_1)
	s_and_b32 s0, s0, exec_lo
	s_or_saveexec_b32 s21, s21
	v_mov_b32_e32 v2, s19
	s_xor_b32 exec_lo, exec_lo, s21
	s_cbranch_execnz .LBB15_457
.LBB15_437:
	s_or_b32 exec_lo, exec_lo, s21
	s_and_saveexec_b32 s19, s0
	s_cbranch_execz .LBB15_439
.LBB15_438:
	v_and_b32_e32 v2, 0xffff, v3
	s_delay_alu instid0(VALU_DEP_1) | instskip(NEXT) | instid1(VALU_DEP_1)
	v_and_b32_e32 v6, 3, v2
	v_clz_i32_u32_e32 v7, v6
	s_delay_alu instid0(VALU_DEP_1) | instskip(NEXT) | instid1(VALU_DEP_1)
	v_min_u32_e32 v7, 32, v7
	v_subrev_nc_u32_e32 v8, 29, v7
	v_sub_nc_u32_e32 v7, 30, v7
	s_delay_alu instid0(VALU_DEP_2) | instskip(SKIP_1) | instid1(VALU_DEP_2)
	v_lshlrev_b32_e32 v8, v8, v2
	v_bfe_u32 v2, v2, 2, 5
	v_and_b32_e32 v8, 3, v8
	s_delay_alu instid0(VALU_DEP_2) | instskip(NEXT) | instid1(VALU_DEP_2)
	v_cmp_eq_u32_e32 vcc_lo, 0, v2
	v_dual_cndmask_b32 v6, v6, v8 :: v_dual_lshlrev_b32 v3, 24, v3
	v_cndmask_b32_e32 v2, v2, v7, vcc_lo
	s_delay_alu instid0(VALU_DEP_2) | instskip(NEXT) | instid1(VALU_DEP_3)
	v_and_b32_e32 v3, 0x80000000, v3
	v_lshlrev_b32_e32 v6, 21, v6
	s_delay_alu instid0(VALU_DEP_3) | instskip(NEXT) | instid1(VALU_DEP_1)
	v_lshl_add_u32 v2, v2, 23, 0x37800000
	v_or3_b32 v2, v3, v2, v6
.LBB15_439:
	s_or_b32 exec_lo, exec_lo, s19
	s_mov_b32 s0, 0
	s_branch .LBB15_445
.LBB15_440:
	s_mov_b32 s19, -1
                                        ; implicit-def: $vgpr2
	s_branch .LBB15_451
.LBB15_441:
	s_or_saveexec_b32 s21, s21
	v_mov_b32_e32 v2, s19
	s_xor_b32 exec_lo, exec_lo, s21
	s_cbranch_execz .LBB15_424
.LBB15_442:
	v_cmp_ne_u16_e32 vcc_lo, 0, v3
	v_mov_b32_e32 v2, 0
	s_and_not1_b32 s0, s0, exec_lo
	s_and_b32 s19, vcc_lo, exec_lo
	s_delay_alu instid0(SALU_CYCLE_1)
	s_or_b32 s0, s0, s19
	s_or_b32 exec_lo, exec_lo, s21
	s_and_saveexec_b32 s19, s0
	s_cbranch_execnz .LBB15_425
	s_branch .LBB15_426
.LBB15_443:
	s_mov_b32 s0, -1
                                        ; implicit-def: $vgpr2
	s_branch .LBB15_448
.LBB15_444:
	s_mov_b32 s0, -1
                                        ; implicit-def: $vgpr2
.LBB15_445:
	s_delay_alu instid0(SALU_CYCLE_1)
	s_and_b32 vcc_lo, exec_lo, s0
	s_cbranch_vccz .LBB15_447
; %bb.446:
	global_load_u8 v2, v[0:1], off
	s_waitcnt vmcnt(0)
	v_lshlrev_b32_e32 v2, 24, v2
	s_delay_alu instid0(VALU_DEP_1) | instskip(NEXT) | instid1(VALU_DEP_1)
	v_and_b32_e32 v3, 0x7f000000, v2
	v_clz_i32_u32_e32 v6, v3
	v_cmp_ne_u32_e32 vcc_lo, 0, v3
	v_add_nc_u32_e32 v8, 0x1000000, v3
	s_delay_alu instid0(VALU_DEP_3) | instskip(NEXT) | instid1(VALU_DEP_1)
	v_min_u32_e32 v6, 32, v6
	v_sub_nc_u32_e64 v6, v6, 4 clamp
	s_delay_alu instid0(VALU_DEP_1) | instskip(SKIP_1) | instid1(VALU_DEP_2)
	v_lshlrev_b32_e32 v7, v6, v3
	v_lshlrev_b32_e32 v6, 23, v6
	v_lshrrev_b32_e32 v7, 4, v7
	s_delay_alu instid0(VALU_DEP_1) | instskip(SKIP_1) | instid1(VALU_DEP_2)
	v_sub_nc_u32_e32 v6, v7, v6
	v_ashrrev_i32_e32 v7, 8, v8
	v_add_nc_u32_e32 v6, 0x3c000000, v6
	s_delay_alu instid0(VALU_DEP_1) | instskip(NEXT) | instid1(VALU_DEP_1)
	v_and_or_b32 v6, 0x7f800000, v7, v6
	v_cndmask_b32_e32 v3, 0, v6, vcc_lo
	s_delay_alu instid0(VALU_DEP_1)
	v_and_or_b32 v2, 0x80000000, v2, v3
.LBB15_447:
	s_mov_b32 s0, 0
.LBB15_448:
	s_delay_alu instid0(SALU_CYCLE_1)
	s_and_not1_b32 vcc_lo, exec_lo, s0
	s_cbranch_vccnz .LBB15_450
; %bb.449:
	global_load_u8 v2, v[0:1], off
	s_waitcnt vmcnt(0)
	v_lshlrev_b32_e32 v3, 25, v2
	v_lshlrev_b16 v2, 8, v2
	s_delay_alu instid0(VALU_DEP_2) | instskip(NEXT) | instid1(VALU_DEP_2)
	v_lshrrev_b32_e32 v6, 4, v3
	v_and_or_b32 v7, 0x7f00, v2, 0.5
	v_cmp_gt_u32_e32 vcc_lo, 0x8000000, v3
	v_bfe_i32 v2, v2, 0, 16
	s_delay_alu instid0(VALU_DEP_4) | instskip(NEXT) | instid1(VALU_DEP_1)
	v_or_b32_e32 v6, 0x70000000, v6
	v_dual_add_f32 v7, -0.5, v7 :: v_dual_mul_f32 v6, 0x7800000, v6
	s_delay_alu instid0(VALU_DEP_1) | instskip(NEXT) | instid1(VALU_DEP_1)
	v_cndmask_b32_e32 v3, v6, v7, vcc_lo
	v_and_or_b32 v2, 0x80000000, v2, v3
.LBB15_450:
	s_mov_b32 s19, 0
	s_mov_b32 s0, -1
.LBB15_451:
	s_and_not1_b32 vcc_lo, exec_lo, s19
	s_cbranch_vccnz .LBB15_464
; %bb.452:
	v_cmp_lt_i16_e32 vcc_lo, 14, v5
	s_cbranch_vccz .LBB15_455
; %bb.453:
	v_cmp_eq_u16_e32 vcc_lo, 15, v5
	s_cbranch_vccz .LBB15_458
; %bb.454:
	global_load_u16 v2, v[0:1], off
	s_mov_b32 s0, -1
	s_mov_b32 s18, 0
	s_waitcnt vmcnt(0)
	v_lshlrev_b32_e32 v2, 16, v2
	s_branch .LBB15_459
.LBB15_455:
	s_mov_b32 s19, -1
                                        ; implicit-def: $vgpr2
	s_branch .LBB15_460
.LBB15_456:
	s_or_saveexec_b32 s21, s21
	v_mov_b32_e32 v2, s19
	s_xor_b32 exec_lo, exec_lo, s21
	s_cbranch_execz .LBB15_437
.LBB15_457:
	v_cmp_ne_u16_e32 vcc_lo, 0, v3
	v_mov_b32_e32 v2, 0
	s_and_not1_b32 s0, s0, exec_lo
	s_and_b32 s19, vcc_lo, exec_lo
	s_delay_alu instid0(SALU_CYCLE_1)
	s_or_b32 s0, s0, s19
	s_or_b32 exec_lo, exec_lo, s21
	s_and_saveexec_b32 s19, s0
	s_cbranch_execnz .LBB15_438
	s_branch .LBB15_439
.LBB15_458:
	s_mov_b32 s18, -1
                                        ; implicit-def: $vgpr2
.LBB15_459:
	s_mov_b32 s19, 0
.LBB15_460:
	s_delay_alu instid0(SALU_CYCLE_1)
	s_and_b32 vcc_lo, exec_lo, s19
	s_cbranch_vccz .LBB15_464
; %bb.461:
	v_cmp_eq_u16_e32 vcc_lo, 11, v5
	s_cbranch_vccz .LBB15_463
; %bb.462:
	global_load_u8 v2, v[0:1], off
	s_mov_b32 s18, 0
	s_mov_b32 s0, -1
	s_waitcnt vmcnt(0)
	v_cmp_ne_u16_e32 vcc_lo, 0, v2
	v_cndmask_b32_e64 v2, 0, 1.0, vcc_lo
	s_branch .LBB15_464
.LBB15_463:
	s_mov_b32 s18, -1
                                        ; implicit-def: $vgpr2
.LBB15_464:
	s_branch .LBB15_264
.LBB15_465:
	v_cmp_gt_i16_e32 vcc_lo, 5, v5
	s_cbranch_vccnz .LBB15_470
; %bb.466:
	v_cmp_gt_i16_e32 vcc_lo, 8, v5
	s_cbranch_vccnz .LBB15_471
; %bb.467:
	;; [unrolled: 3-line block ×3, first 2 shown]
	v_cmp_lt_i16_e32 vcc_lo, 9, v5
	s_cbranch_vccz .LBB15_473
; %bb.469:
	global_load_b64 v[2:3], v[0:1], off
	s_mov_b32 s0, 0
	s_waitcnt vmcnt(0)
	v_cvt_f32_f64_e32 v2, v[2:3]
	s_branch .LBB15_474
.LBB15_470:
	s_mov_b32 s0, -1
                                        ; implicit-def: $vgpr2
	s_branch .LBB15_492
.LBB15_471:
	s_mov_b32 s0, -1
                                        ; implicit-def: $vgpr2
	s_branch .LBB15_480
.LBB15_472:
	s_mov_b32 s0, -1
                                        ; implicit-def: $vgpr2
	s_branch .LBB15_477
.LBB15_473:
	s_mov_b32 s0, -1
                                        ; implicit-def: $vgpr2
.LBB15_474:
	s_delay_alu instid0(SALU_CYCLE_1)
	s_and_not1_b32 vcc_lo, exec_lo, s0
	s_cbranch_vccnz .LBB15_476
; %bb.475:
	global_load_b32 v2, v[0:1], off
.LBB15_476:
	s_mov_b32 s0, 0
.LBB15_477:
	s_delay_alu instid0(SALU_CYCLE_1)
	s_and_not1_b32 vcc_lo, exec_lo, s0
	s_cbranch_vccnz .LBB15_479
; %bb.478:
	global_load_b32 v2, v[0:1], off
	s_waitcnt vmcnt(0)
	v_cvt_f32_f16_e32 v2, v2
.LBB15_479:
	s_mov_b32 s0, 0
.LBB15_480:
	s_delay_alu instid0(SALU_CYCLE_1)
	s_and_not1_b32 vcc_lo, exec_lo, s0
	s_cbranch_vccnz .LBB15_491
; %bb.481:
	v_cmp_gt_i16_e32 vcc_lo, 6, v5
	s_cbranch_vccnz .LBB15_484
; %bb.482:
	v_cmp_lt_i16_e32 vcc_lo, 6, v5
	s_cbranch_vccz .LBB15_485
; %bb.483:
	global_load_b64 v[2:3], v[0:1], off
	s_mov_b32 s0, 0
	s_waitcnt vmcnt(0)
	v_cvt_f32_f64_e32 v2, v[2:3]
	s_branch .LBB15_486
.LBB15_484:
	s_mov_b32 s0, -1
                                        ; implicit-def: $vgpr2
	s_branch .LBB15_489
.LBB15_485:
	s_mov_b32 s0, -1
                                        ; implicit-def: $vgpr2
.LBB15_486:
	s_delay_alu instid0(SALU_CYCLE_1)
	s_and_not1_b32 vcc_lo, exec_lo, s0
	s_cbranch_vccnz .LBB15_488
; %bb.487:
	global_load_b32 v2, v[0:1], off
.LBB15_488:
	s_mov_b32 s0, 0
.LBB15_489:
	s_delay_alu instid0(SALU_CYCLE_1)
	s_and_not1_b32 vcc_lo, exec_lo, s0
	s_cbranch_vccnz .LBB15_491
; %bb.490:
	global_load_u16 v2, v[0:1], off
	s_waitcnt vmcnt(0)
	v_cvt_f32_f16_e32 v2, v2
.LBB15_491:
	s_mov_b32 s0, 0
.LBB15_492:
	s_delay_alu instid0(SALU_CYCLE_1)
	s_and_not1_b32 vcc_lo, exec_lo, s0
	s_cbranch_vccnz .LBB15_512
; %bb.493:
	v_cmp_gt_i16_e32 vcc_lo, 2, v5
	s_cbranch_vccnz .LBB15_497
; %bb.494:
	v_cmp_gt_i16_e32 vcc_lo, 3, v5
	s_cbranch_vccnz .LBB15_498
; %bb.495:
	v_cmp_lt_i16_e32 vcc_lo, 3, v5
	s_cbranch_vccz .LBB15_499
; %bb.496:
	global_load_b64 v[2:3], v[0:1], off
	s_mov_b32 s0, 0
	s_waitcnt vmcnt(0)
	v_xor_b32_e32 v6, v2, v3
	v_cls_i32_e32 v7, v3
	s_delay_alu instid0(VALU_DEP_2) | instskip(NEXT) | instid1(VALU_DEP_2)
	v_ashrrev_i32_e32 v6, 31, v6
	v_add_nc_u32_e32 v7, -1, v7
	s_delay_alu instid0(VALU_DEP_2) | instskip(NEXT) | instid1(VALU_DEP_1)
	v_add_nc_u32_e32 v6, 32, v6
	v_min_u32_e32 v6, v7, v6
	s_delay_alu instid0(VALU_DEP_1) | instskip(NEXT) | instid1(VALU_DEP_1)
	v_lshlrev_b64 v[2:3], v6, v[2:3]
	v_min_u32_e32 v2, 1, v2
	s_delay_alu instid0(VALU_DEP_1) | instskip(SKIP_1) | instid1(VALU_DEP_2)
	v_or_b32_e32 v2, v3, v2
	v_sub_nc_u32_e32 v3, 32, v6
	v_cvt_f32_i32_e32 v2, v2
	s_delay_alu instid0(VALU_DEP_1)
	v_ldexp_f32 v2, v2, v3
	s_branch .LBB15_500
.LBB15_497:
	s_mov_b32 s0, -1
                                        ; implicit-def: $vgpr2
	s_branch .LBB15_506
.LBB15_498:
	s_mov_b32 s0, -1
                                        ; implicit-def: $vgpr2
	s_branch .LBB15_503
.LBB15_499:
	s_mov_b32 s0, -1
                                        ; implicit-def: $vgpr2
.LBB15_500:
	s_delay_alu instid0(SALU_CYCLE_1)
	s_and_not1_b32 vcc_lo, exec_lo, s0
	s_cbranch_vccnz .LBB15_502
; %bb.501:
	global_load_b32 v2, v[0:1], off
	s_waitcnt vmcnt(0)
	v_cvt_f32_i32_e32 v2, v2
.LBB15_502:
	s_mov_b32 s0, 0
.LBB15_503:
	s_delay_alu instid0(SALU_CYCLE_1)
	s_and_not1_b32 vcc_lo, exec_lo, s0
	s_cbranch_vccnz .LBB15_505
; %bb.504:
	global_load_i16 v2, v[0:1], off
	s_waitcnt vmcnt(0)
	v_cvt_f32_i32_e32 v2, v2
.LBB15_505:
	s_mov_b32 s0, 0
.LBB15_506:
	s_delay_alu instid0(SALU_CYCLE_1)
	s_and_not1_b32 vcc_lo, exec_lo, s0
	s_cbranch_vccnz .LBB15_512
; %bb.507:
	v_cmp_lt_i16_e32 vcc_lo, 0, v5
	s_mov_b32 s0, 0
	s_cbranch_vccz .LBB15_509
; %bb.508:
	global_load_i8 v2, v[0:1], off
	s_waitcnt vmcnt(0)
	v_cvt_f32_i32_e32 v2, v2
	s_branch .LBB15_510
.LBB15_509:
	s_mov_b32 s0, -1
                                        ; implicit-def: $vgpr2
.LBB15_510:
	s_delay_alu instid0(SALU_CYCLE_1)
	s_and_not1_b32 vcc_lo, exec_lo, s0
	s_cbranch_vccnz .LBB15_512
; %bb.511:
	global_load_u8 v0, v[0:1], off
	s_waitcnt vmcnt(0)
	v_cvt_f32_ubyte0_e32 v2, v0
.LBB15_512:
	s_branch .LBB15_265
.LBB15_513:
	s_mov_b32 s21, 0
	s_mov_b32 s0, s14
.LBB15_514:
                                        ; implicit-def: $vgpr4
.LBB15_515:
	s_and_not1_b32 s19, s14, exec_lo
	s_and_b32 s0, s0, exec_lo
	s_and_not1_b32 s22, s15, exec_lo
	s_and_b32 s18, s18, exec_lo
	s_or_b32 s19, s19, s0
	s_or_b32 s18, s22, s18
	s_or_not1_b32 s22, s21, exec_lo
.LBB15_516:
	s_or_b32 exec_lo, exec_lo, s20
	s_mov_b32 s21, 0
	s_mov_b32 s23, 0
	;; [unrolled: 1-line block ×3, first 2 shown]
                                        ; implicit-def: $vgpr0_vgpr1
                                        ; implicit-def: $vgpr3
	s_and_saveexec_b32 s20, s22
	s_cbranch_execz .LBB15_865
; %bb.517:
	s_mov_b32 s0, -1
	s_mov_b32 s22, s18
	s_mov_b32 s23, s19
	s_mov_b32 s21, exec_lo
	v_cmpx_gt_i32_e64 s16, v4
	s_cbranch_execz .LBB15_779
; %bb.518:
	v_mul_lo_u32 v0, v4, s3
	v_cmp_gt_i16_e32 vcc_lo, 11, v5
	s_delay_alu instid0(VALU_DEP_2) | instskip(SKIP_1) | instid1(VALU_DEP_1)
	v_ashrrev_i32_e32 v1, 31, v0
	v_add_co_u32 v0, s0, s6, v0
	v_add_co_ci_u32_e64 v1, s0, s7, v1, s0
	s_cbranch_vccnz .LBB15_525
; %bb.519:
	v_cmp_lt_i16_e32 vcc_lo, 25, v5
	s_cbranch_vccz .LBB15_526
; %bb.520:
	v_cmp_lt_i16_e32 vcc_lo, 28, v5
	s_cbranch_vccz .LBB15_527
	;; [unrolled: 3-line block ×4, first 2 shown]
; %bb.523:
	v_cmp_eq_u16_e32 vcc_lo, 46, v5
	s_mov_b32 s23, 0
	s_cbranch_vccz .LBB15_534
; %bb.524:
	global_load_b32 v2, v[0:1], off
	s_mov_b32 s0, -1
	s_mov_b32 s22, 0
	s_waitcnt vmcnt(0)
	v_lshlrev_b32_e32 v2, 16, v2
	s_branch .LBB15_536
.LBB15_525:
	s_mov_b32 s23, -1
	s_mov_b32 s0, 0
	s_mov_b32 s22, s18
                                        ; implicit-def: $vgpr2
	s_branch .LBB15_601
.LBB15_526:
	s_mov_b32 s23, -1
	s_mov_b32 s0, 0
	s_mov_b32 s22, s18
                                        ; implicit-def: $vgpr2
	s_branch .LBB15_565
.LBB15_527:
	s_mov_b32 s23, -1
	s_mov_b32 s0, 0
	s_mov_b32 s22, s18
                                        ; implicit-def: $vgpr2
	s_branch .LBB15_546
.LBB15_528:
	s_mov_b32 s23, -1
	s_mov_b32 s0, 0
	s_mov_b32 s22, s18
                                        ; implicit-def: $vgpr2
	s_branch .LBB15_541
.LBB15_529:
	s_or_saveexec_b32 s22, s22
                                        ; implicit-def: $sgpr23
	s_delay_alu instid0(SALU_CYCLE_1)
	s_xor_b32 exec_lo, exec_lo, s22
	s_cbranch_execz .LBB15_313
.LBB15_530:
	v_add_f32_e64 v3, 0x46000000, |v2|
	s_and_not1_b32 s21, s21, exec_lo
	s_mov_b32 s23, 0
	s_delay_alu instid0(VALU_DEP_1) | instskip(NEXT) | instid1(VALU_DEP_1)
	v_and_b32_e32 v3, 0xff, v3
	v_cmp_ne_u32_e32 vcc_lo, 0, v3
	s_and_b32 s24, vcc_lo, exec_lo
	s_delay_alu instid0(SALU_CYCLE_1)
	s_or_b32 s21, s21, s24
	s_or_b32 exec_lo, exec_lo, s22
	v_mov_b32_e32 v7, s23
	s_and_saveexec_b32 s22, s21
	s_cbranch_execnz .LBB15_314
	s_branch .LBB15_315
.LBB15_531:
	s_mov_b32 s23, -1
	s_mov_b32 s0, 0
	s_mov_b32 s22, s18
	s_branch .LBB15_535
.LBB15_532:
	s_or_saveexec_b32 s22, s22
                                        ; implicit-def: $sgpr23
	s_delay_alu instid0(SALU_CYCLE_1)
	s_xor_b32 exec_lo, exec_lo, s22
	s_cbranch_execz .LBB15_326
.LBB15_533:
	v_add_f32_e64 v3, 0x42800000, |v2|
	s_and_not1_b32 s21, s21, exec_lo
	s_mov_b32 s23, 0
	s_delay_alu instid0(VALU_DEP_1) | instskip(NEXT) | instid1(VALU_DEP_1)
	v_and_b32_e32 v3, 0xff, v3
	v_cmp_ne_u32_e32 vcc_lo, 0, v3
	s_and_b32 s24, vcc_lo, exec_lo
	s_delay_alu instid0(SALU_CYCLE_1)
	s_or_b32 s21, s21, s24
	s_or_b32 exec_lo, exec_lo, s22
	v_mov_b32_e32 v7, s23
	s_and_saveexec_b32 s22, s21
	s_cbranch_execnz .LBB15_327
	s_branch .LBB15_328
.LBB15_534:
	s_mov_b32 s22, -1
	s_mov_b32 s0, 0
.LBB15_535:
                                        ; implicit-def: $vgpr2
.LBB15_536:
	s_and_b32 vcc_lo, exec_lo, s23
	s_cbranch_vccz .LBB15_540
; %bb.537:
	v_cmp_eq_u16_e32 vcc_lo, 44, v5
	s_cbranch_vccz .LBB15_539
; %bb.538:
	global_load_u8 v2, v[0:1], off
	s_mov_b32 s22, 0
	s_mov_b32 s0, -1
	s_waitcnt vmcnt(0)
	v_lshlrev_b32_e32 v3, 23, v2
	v_cmp_ne_u32_e32 vcc_lo, 0xff, v2
	s_delay_alu instid0(VALU_DEP_2) | instskip(SKIP_1) | instid1(VALU_DEP_2)
	v_cndmask_b32_e32 v3, 0x7f800001, v3, vcc_lo
	v_cmp_ne_u32_e32 vcc_lo, 0, v2
	v_cndmask_b32_e32 v2, 0x400000, v3, vcc_lo
	s_branch .LBB15_540
.LBB15_539:
	s_mov_b32 s22, -1
                                        ; implicit-def: $vgpr2
.LBB15_540:
	s_mov_b32 s23, 0
.LBB15_541:
	s_delay_alu instid0(SALU_CYCLE_1)
	s_and_b32 vcc_lo, exec_lo, s23
	s_cbranch_vccz .LBB15_545
; %bb.542:
	v_cmp_eq_u16_e32 vcc_lo, 29, v5
	s_cbranch_vccz .LBB15_544
; %bb.543:
	global_load_b64 v[2:3], v[0:1], off
	s_mov_b32 s0, -1
	s_mov_b32 s22, 0
	s_mov_b32 s23, 0
	s_waitcnt vmcnt(0)
	v_clz_i32_u32_e32 v6, v3
	s_delay_alu instid0(VALU_DEP_1) | instskip(NEXT) | instid1(VALU_DEP_1)
	v_min_u32_e32 v6, 32, v6
	v_lshlrev_b64 v[2:3], v6, v[2:3]
	s_delay_alu instid0(VALU_DEP_1) | instskip(NEXT) | instid1(VALU_DEP_1)
	v_min_u32_e32 v2, 1, v2
	v_or_b32_e32 v2, v3, v2
	v_sub_nc_u32_e32 v3, 32, v6
	s_delay_alu instid0(VALU_DEP_2) | instskip(NEXT) | instid1(VALU_DEP_1)
	v_cvt_f32_u32_e32 v2, v2
	v_ldexp_f32 v2, v2, v3
	s_branch .LBB15_546
.LBB15_544:
	s_mov_b32 s22, -1
                                        ; implicit-def: $vgpr2
.LBB15_545:
	s_mov_b32 s23, 0
.LBB15_546:
	s_delay_alu instid0(SALU_CYCLE_1)
	s_and_b32 vcc_lo, exec_lo, s23
	s_cbranch_vccz .LBB15_564
; %bb.547:
	v_cmp_gt_i16_e32 vcc_lo, 27, v5
	s_cbranch_vccnz .LBB15_550
; %bb.548:
	v_cmp_lt_i16_e32 vcc_lo, 27, v5
	s_cbranch_vccz .LBB15_551
; %bb.549:
	global_load_b32 v2, v[0:1], off
	s_mov_b32 s0, 0
	s_waitcnt vmcnt(0)
	v_cvt_f32_u32_e32 v2, v2
	s_branch .LBB15_552
.LBB15_550:
	s_mov_b32 s0, -1
                                        ; implicit-def: $vgpr2
	s_branch .LBB15_555
.LBB15_551:
	s_mov_b32 s0, -1
                                        ; implicit-def: $vgpr2
.LBB15_552:
	s_delay_alu instid0(SALU_CYCLE_1)
	s_and_not1_b32 vcc_lo, exec_lo, s0
	s_cbranch_vccnz .LBB15_554
; %bb.553:
	global_load_u16 v2, v[0:1], off
	s_waitcnt vmcnt(0)
	v_cvt_f32_u32_e32 v2, v2
.LBB15_554:
	s_mov_b32 s0, 0
.LBB15_555:
	s_delay_alu instid0(SALU_CYCLE_1)
	s_and_not1_b32 vcc_lo, exec_lo, s0
	s_cbranch_vccnz .LBB15_563
; %bb.556:
	global_load_u8 v3, v[0:1], off
	s_mov_b32 s0, 0
	s_mov_b32 s24, exec_lo
                                        ; implicit-def: $sgpr23
	s_waitcnt vmcnt(0)
	v_cmpx_lt_i16_e32 0x7f, v3
	s_xor_b32 s24, exec_lo, s24
	s_cbranch_execz .LBB15_577
; %bb.557:
	s_mov_b32 s0, -1
	s_mov_b32 s25, exec_lo
                                        ; implicit-def: $sgpr23
	v_cmpx_eq_u16_e32 0x80, v3
; %bb.558:
	s_mov_b32 s23, 0x7f800001
	s_xor_b32 s0, exec_lo, -1
; %bb.559:
	s_or_b32 exec_lo, exec_lo, s25
	s_delay_alu instid0(SALU_CYCLE_1)
	s_and_b32 s0, s0, exec_lo
	s_or_saveexec_b32 s24, s24
	v_mov_b32_e32 v2, s23
	s_xor_b32 exec_lo, exec_lo, s24
	s_cbranch_execnz .LBB15_578
.LBB15_560:
	s_or_b32 exec_lo, exec_lo, s24
	s_and_saveexec_b32 s23, s0
	s_cbranch_execz .LBB15_562
.LBB15_561:
	v_and_b32_e32 v2, 0xffff, v3
	s_delay_alu instid0(VALU_DEP_1) | instskip(NEXT) | instid1(VALU_DEP_1)
	v_and_b32_e32 v6, 7, v2
	v_clz_i32_u32_e32 v7, v6
	s_delay_alu instid0(VALU_DEP_1) | instskip(NEXT) | instid1(VALU_DEP_1)
	v_min_u32_e32 v7, 32, v7
	v_subrev_nc_u32_e32 v8, 28, v7
	v_sub_nc_u32_e32 v7, 29, v7
	s_delay_alu instid0(VALU_DEP_2) | instskip(SKIP_1) | instid1(VALU_DEP_2)
	v_lshlrev_b32_e32 v8, v8, v2
	v_bfe_u32 v2, v2, 3, 4
	v_and_b32_e32 v8, 7, v8
	s_delay_alu instid0(VALU_DEP_2) | instskip(NEXT) | instid1(VALU_DEP_2)
	v_cmp_eq_u32_e32 vcc_lo, 0, v2
	v_dual_cndmask_b32 v6, v6, v8 :: v_dual_lshlrev_b32 v3, 24, v3
	v_cndmask_b32_e32 v2, v2, v7, vcc_lo
	s_delay_alu instid0(VALU_DEP_2) | instskip(NEXT) | instid1(VALU_DEP_3)
	v_and_b32_e32 v3, 0x80000000, v3
	v_lshlrev_b32_e32 v6, 20, v6
	s_delay_alu instid0(VALU_DEP_3) | instskip(NEXT) | instid1(VALU_DEP_1)
	v_lshl_add_u32 v2, v2, 23, 0x3b800000
	v_or3_b32 v2, v3, v2, v6
.LBB15_562:
	s_or_b32 exec_lo, exec_lo, s23
.LBB15_563:
	s_mov_b32 s0, -1
.LBB15_564:
	s_mov_b32 s23, 0
.LBB15_565:
	s_delay_alu instid0(SALU_CYCLE_1)
	s_and_b32 vcc_lo, exec_lo, s23
	s_cbranch_vccz .LBB15_600
; %bb.566:
	v_cmp_lt_i16_e32 vcc_lo, 22, v5
	s_cbranch_vccz .LBB15_576
; %bb.567:
	v_cmp_gt_i16_e32 vcc_lo, 24, v5
	s_cbranch_vccnz .LBB15_579
; %bb.568:
	v_cmp_lt_i16_e32 vcc_lo, 24, v5
	s_cbranch_vccz .LBB15_580
; %bb.569:
	global_load_u8 v3, v[0:1], off
	s_mov_b32 s0, 0
	s_mov_b32 s24, exec_lo
                                        ; implicit-def: $sgpr23
	s_waitcnt vmcnt(0)
	v_cmpx_lt_i16_e32 0x7f, v3
	s_xor_b32 s24, exec_lo, s24
	s_cbranch_execz .LBB15_592
; %bb.570:
	s_mov_b32 s0, -1
	s_mov_b32 s25, exec_lo
                                        ; implicit-def: $sgpr23
	v_cmpx_eq_u16_e32 0x80, v3
; %bb.571:
	s_mov_b32 s23, 0x7f800001
	s_xor_b32 s0, exec_lo, -1
; %bb.572:
	s_or_b32 exec_lo, exec_lo, s25
	s_delay_alu instid0(SALU_CYCLE_1)
	s_and_b32 s0, s0, exec_lo
	s_or_saveexec_b32 s24, s24
	v_mov_b32_e32 v2, s23
	s_xor_b32 exec_lo, exec_lo, s24
	s_cbranch_execnz .LBB15_593
.LBB15_573:
	s_or_b32 exec_lo, exec_lo, s24
	s_and_saveexec_b32 s23, s0
	s_cbranch_execz .LBB15_575
.LBB15_574:
	v_and_b32_e32 v2, 0xffff, v3
	s_delay_alu instid0(VALU_DEP_1) | instskip(NEXT) | instid1(VALU_DEP_1)
	v_and_b32_e32 v6, 3, v2
	v_clz_i32_u32_e32 v7, v6
	s_delay_alu instid0(VALU_DEP_1) | instskip(NEXT) | instid1(VALU_DEP_1)
	v_min_u32_e32 v7, 32, v7
	v_subrev_nc_u32_e32 v8, 29, v7
	v_sub_nc_u32_e32 v7, 30, v7
	s_delay_alu instid0(VALU_DEP_2) | instskip(SKIP_1) | instid1(VALU_DEP_2)
	v_lshlrev_b32_e32 v8, v8, v2
	v_bfe_u32 v2, v2, 2, 5
	v_and_b32_e32 v8, 3, v8
	s_delay_alu instid0(VALU_DEP_2) | instskip(NEXT) | instid1(VALU_DEP_2)
	v_cmp_eq_u32_e32 vcc_lo, 0, v2
	v_dual_cndmask_b32 v6, v6, v8 :: v_dual_lshlrev_b32 v3, 24, v3
	v_cndmask_b32_e32 v2, v2, v7, vcc_lo
	s_delay_alu instid0(VALU_DEP_2) | instskip(NEXT) | instid1(VALU_DEP_3)
	v_and_b32_e32 v3, 0x80000000, v3
	v_lshlrev_b32_e32 v6, 21, v6
	s_delay_alu instid0(VALU_DEP_3) | instskip(NEXT) | instid1(VALU_DEP_1)
	v_lshl_add_u32 v2, v2, 23, 0x37800000
	v_or3_b32 v2, v3, v2, v6
.LBB15_575:
	s_or_b32 exec_lo, exec_lo, s23
	s_mov_b32 s0, 0
	s_branch .LBB15_581
.LBB15_576:
	s_mov_b32 s23, -1
                                        ; implicit-def: $vgpr2
	s_branch .LBB15_587
.LBB15_577:
	s_or_saveexec_b32 s24, s24
	v_mov_b32_e32 v2, s23
	s_xor_b32 exec_lo, exec_lo, s24
	s_cbranch_execz .LBB15_560
.LBB15_578:
	v_cmp_ne_u16_e32 vcc_lo, 0, v3
	v_mov_b32_e32 v2, 0
	s_and_not1_b32 s0, s0, exec_lo
	s_and_b32 s23, vcc_lo, exec_lo
	s_delay_alu instid0(SALU_CYCLE_1)
	s_or_b32 s0, s0, s23
	s_or_b32 exec_lo, exec_lo, s24
	s_and_saveexec_b32 s23, s0
	s_cbranch_execnz .LBB15_561
	s_branch .LBB15_562
.LBB15_579:
	s_mov_b32 s0, -1
                                        ; implicit-def: $vgpr2
	s_branch .LBB15_584
.LBB15_580:
	s_mov_b32 s0, -1
                                        ; implicit-def: $vgpr2
.LBB15_581:
	s_delay_alu instid0(SALU_CYCLE_1)
	s_and_b32 vcc_lo, exec_lo, s0
	s_cbranch_vccz .LBB15_583
; %bb.582:
	global_load_u8 v2, v[0:1], off
	s_waitcnt vmcnt(0)
	v_lshlrev_b32_e32 v2, 24, v2
	s_delay_alu instid0(VALU_DEP_1) | instskip(NEXT) | instid1(VALU_DEP_1)
	v_and_b32_e32 v3, 0x7f000000, v2
	v_clz_i32_u32_e32 v6, v3
	v_cmp_ne_u32_e32 vcc_lo, 0, v3
	v_add_nc_u32_e32 v8, 0x1000000, v3
	s_delay_alu instid0(VALU_DEP_3) | instskip(NEXT) | instid1(VALU_DEP_1)
	v_min_u32_e32 v6, 32, v6
	v_sub_nc_u32_e64 v6, v6, 4 clamp
	s_delay_alu instid0(VALU_DEP_1) | instskip(SKIP_1) | instid1(VALU_DEP_2)
	v_lshlrev_b32_e32 v7, v6, v3
	v_lshlrev_b32_e32 v6, 23, v6
	v_lshrrev_b32_e32 v7, 4, v7
	s_delay_alu instid0(VALU_DEP_1) | instskip(SKIP_1) | instid1(VALU_DEP_2)
	v_sub_nc_u32_e32 v6, v7, v6
	v_ashrrev_i32_e32 v7, 8, v8
	v_add_nc_u32_e32 v6, 0x3c000000, v6
	s_delay_alu instid0(VALU_DEP_1) | instskip(NEXT) | instid1(VALU_DEP_1)
	v_and_or_b32 v6, 0x7f800000, v7, v6
	v_cndmask_b32_e32 v3, 0, v6, vcc_lo
	s_delay_alu instid0(VALU_DEP_1)
	v_and_or_b32 v2, 0x80000000, v2, v3
.LBB15_583:
	s_mov_b32 s0, 0
.LBB15_584:
	s_delay_alu instid0(SALU_CYCLE_1)
	s_and_not1_b32 vcc_lo, exec_lo, s0
	s_cbranch_vccnz .LBB15_586
; %bb.585:
	global_load_u8 v2, v[0:1], off
	s_waitcnt vmcnt(0)
	v_lshlrev_b32_e32 v3, 25, v2
	v_lshlrev_b16 v2, 8, v2
	s_delay_alu instid0(VALU_DEP_2) | instskip(NEXT) | instid1(VALU_DEP_2)
	v_lshrrev_b32_e32 v6, 4, v3
	v_and_or_b32 v7, 0x7f00, v2, 0.5
	v_cmp_gt_u32_e32 vcc_lo, 0x8000000, v3
	v_bfe_i32 v2, v2, 0, 16
	s_delay_alu instid0(VALU_DEP_4) | instskip(NEXT) | instid1(VALU_DEP_1)
	v_or_b32_e32 v6, 0x70000000, v6
	v_dual_add_f32 v7, -0.5, v7 :: v_dual_mul_f32 v6, 0x7800000, v6
	s_delay_alu instid0(VALU_DEP_1) | instskip(NEXT) | instid1(VALU_DEP_1)
	v_cndmask_b32_e32 v3, v6, v7, vcc_lo
	v_and_or_b32 v2, 0x80000000, v2, v3
.LBB15_586:
	s_mov_b32 s23, 0
	s_mov_b32 s0, -1
.LBB15_587:
	s_and_not1_b32 vcc_lo, exec_lo, s23
	s_cbranch_vccnz .LBB15_600
; %bb.588:
	v_cmp_lt_i16_e32 vcc_lo, 14, v5
	s_cbranch_vccz .LBB15_591
; %bb.589:
	v_cmp_eq_u16_e32 vcc_lo, 15, v5
	s_cbranch_vccz .LBB15_594
; %bb.590:
	global_load_u16 v2, v[0:1], off
	s_mov_b32 s0, -1
	s_mov_b32 s22, 0
	s_waitcnt vmcnt(0)
	v_lshlrev_b32_e32 v2, 16, v2
	s_branch .LBB15_595
.LBB15_591:
	s_mov_b32 s23, -1
                                        ; implicit-def: $vgpr2
	s_branch .LBB15_596
.LBB15_592:
	s_or_saveexec_b32 s24, s24
	v_mov_b32_e32 v2, s23
	s_xor_b32 exec_lo, exec_lo, s24
	s_cbranch_execz .LBB15_573
.LBB15_593:
	v_cmp_ne_u16_e32 vcc_lo, 0, v3
	v_mov_b32_e32 v2, 0
	s_and_not1_b32 s0, s0, exec_lo
	s_and_b32 s23, vcc_lo, exec_lo
	s_delay_alu instid0(SALU_CYCLE_1)
	s_or_b32 s0, s0, s23
	s_or_b32 exec_lo, exec_lo, s24
	s_and_saveexec_b32 s23, s0
	s_cbranch_execnz .LBB15_574
	s_branch .LBB15_575
.LBB15_594:
	s_mov_b32 s22, -1
                                        ; implicit-def: $vgpr2
.LBB15_595:
	s_mov_b32 s23, 0
.LBB15_596:
	s_delay_alu instid0(SALU_CYCLE_1)
	s_and_b32 vcc_lo, exec_lo, s23
	s_cbranch_vccz .LBB15_600
; %bb.597:
	v_cmp_eq_u16_e32 vcc_lo, 11, v5
	s_cbranch_vccz .LBB15_599
; %bb.598:
	global_load_u8 v2, v[0:1], off
	s_mov_b32 s22, 0
	s_mov_b32 s0, -1
	s_waitcnt vmcnt(0)
	v_cmp_ne_u16_e32 vcc_lo, 0, v2
	v_cndmask_b32_e64 v2, 0, 1.0, vcc_lo
	s_branch .LBB15_600
.LBB15_599:
	s_mov_b32 s22, -1
                                        ; implicit-def: $vgpr2
.LBB15_600:
	s_mov_b32 s23, 0
.LBB15_601:
	s_delay_alu instid0(SALU_CYCLE_1)
	s_and_b32 vcc_lo, exec_lo, s23
	s_cbranch_vccz .LBB15_650
; %bb.602:
	v_cmp_gt_i16_e32 vcc_lo, 5, v5
	s_cbranch_vccnz .LBB15_607
; %bb.603:
	v_cmp_gt_i16_e32 vcc_lo, 8, v5
	s_cbranch_vccnz .LBB15_608
	;; [unrolled: 3-line block ×3, first 2 shown]
; %bb.605:
	v_cmp_lt_i16_e32 vcc_lo, 9, v5
	s_cbranch_vccz .LBB15_610
; %bb.606:
	global_load_b64 v[2:3], v[0:1], off
	s_mov_b32 s0, 0
	s_waitcnt vmcnt(0)
	v_cvt_f32_f64_e32 v2, v[2:3]
	s_branch .LBB15_611
.LBB15_607:
	s_mov_b32 s0, -1
                                        ; implicit-def: $vgpr2
	s_branch .LBB15_629
.LBB15_608:
	s_mov_b32 s0, -1
                                        ; implicit-def: $vgpr2
	s_branch .LBB15_617
.LBB15_609:
	s_mov_b32 s0, -1
                                        ; implicit-def: $vgpr2
	s_branch .LBB15_614
.LBB15_610:
	s_mov_b32 s0, -1
                                        ; implicit-def: $vgpr2
.LBB15_611:
	s_delay_alu instid0(SALU_CYCLE_1)
	s_and_not1_b32 vcc_lo, exec_lo, s0
	s_cbranch_vccnz .LBB15_613
; %bb.612:
	global_load_b32 v2, v[0:1], off
.LBB15_613:
	s_mov_b32 s0, 0
.LBB15_614:
	s_delay_alu instid0(SALU_CYCLE_1)
	s_and_not1_b32 vcc_lo, exec_lo, s0
	s_cbranch_vccnz .LBB15_616
; %bb.615:
	global_load_b32 v2, v[0:1], off
	s_waitcnt vmcnt(0)
	v_cvt_f32_f16_e32 v2, v2
.LBB15_616:
	s_mov_b32 s0, 0
.LBB15_617:
	s_delay_alu instid0(SALU_CYCLE_1)
	s_and_not1_b32 vcc_lo, exec_lo, s0
	s_cbranch_vccnz .LBB15_628
; %bb.618:
	v_cmp_gt_i16_e32 vcc_lo, 6, v5
	s_cbranch_vccnz .LBB15_621
; %bb.619:
	v_cmp_lt_i16_e32 vcc_lo, 6, v5
	s_cbranch_vccz .LBB15_622
; %bb.620:
	global_load_b64 v[2:3], v[0:1], off
	s_mov_b32 s0, 0
	s_waitcnt vmcnt(0)
	v_cvt_f32_f64_e32 v2, v[2:3]
	s_branch .LBB15_623
.LBB15_621:
	s_mov_b32 s0, -1
                                        ; implicit-def: $vgpr2
	s_branch .LBB15_626
.LBB15_622:
	s_mov_b32 s0, -1
                                        ; implicit-def: $vgpr2
.LBB15_623:
	s_delay_alu instid0(SALU_CYCLE_1)
	s_and_not1_b32 vcc_lo, exec_lo, s0
	s_cbranch_vccnz .LBB15_625
; %bb.624:
	global_load_b32 v2, v[0:1], off
.LBB15_625:
	s_mov_b32 s0, 0
.LBB15_626:
	s_delay_alu instid0(SALU_CYCLE_1)
	s_and_not1_b32 vcc_lo, exec_lo, s0
	s_cbranch_vccnz .LBB15_628
; %bb.627:
	global_load_u16 v2, v[0:1], off
	s_waitcnt vmcnt(0)
	v_cvt_f32_f16_e32 v2, v2
.LBB15_628:
	s_mov_b32 s0, 0
.LBB15_629:
	s_delay_alu instid0(SALU_CYCLE_1)
	s_and_not1_b32 vcc_lo, exec_lo, s0
	s_cbranch_vccnz .LBB15_649
; %bb.630:
	v_cmp_gt_i16_e32 vcc_lo, 2, v5
	s_cbranch_vccnz .LBB15_634
; %bb.631:
	v_cmp_gt_i16_e32 vcc_lo, 3, v5
	s_cbranch_vccnz .LBB15_635
; %bb.632:
	v_cmp_lt_i16_e32 vcc_lo, 3, v5
	s_cbranch_vccz .LBB15_636
; %bb.633:
	global_load_b64 v[2:3], v[0:1], off
	s_mov_b32 s0, 0
	s_waitcnt vmcnt(0)
	v_xor_b32_e32 v6, v2, v3
	v_cls_i32_e32 v7, v3
	s_delay_alu instid0(VALU_DEP_2) | instskip(NEXT) | instid1(VALU_DEP_2)
	v_ashrrev_i32_e32 v6, 31, v6
	v_add_nc_u32_e32 v7, -1, v7
	s_delay_alu instid0(VALU_DEP_2) | instskip(NEXT) | instid1(VALU_DEP_1)
	v_add_nc_u32_e32 v6, 32, v6
	v_min_u32_e32 v6, v7, v6
	s_delay_alu instid0(VALU_DEP_1) | instskip(NEXT) | instid1(VALU_DEP_1)
	v_lshlrev_b64 v[2:3], v6, v[2:3]
	v_min_u32_e32 v2, 1, v2
	s_delay_alu instid0(VALU_DEP_1) | instskip(SKIP_1) | instid1(VALU_DEP_2)
	v_or_b32_e32 v2, v3, v2
	v_sub_nc_u32_e32 v3, 32, v6
	v_cvt_f32_i32_e32 v2, v2
	s_delay_alu instid0(VALU_DEP_1)
	v_ldexp_f32 v2, v2, v3
	s_branch .LBB15_637
.LBB15_634:
	s_mov_b32 s0, -1
                                        ; implicit-def: $vgpr2
	s_branch .LBB15_643
.LBB15_635:
	s_mov_b32 s0, -1
                                        ; implicit-def: $vgpr2
	s_branch .LBB15_640
.LBB15_636:
	s_mov_b32 s0, -1
                                        ; implicit-def: $vgpr2
.LBB15_637:
	s_delay_alu instid0(SALU_CYCLE_1)
	s_and_not1_b32 vcc_lo, exec_lo, s0
	s_cbranch_vccnz .LBB15_639
; %bb.638:
	global_load_b32 v2, v[0:1], off
	s_waitcnt vmcnt(0)
	v_cvt_f32_i32_e32 v2, v2
.LBB15_639:
	s_mov_b32 s0, 0
.LBB15_640:
	s_delay_alu instid0(SALU_CYCLE_1)
	s_and_not1_b32 vcc_lo, exec_lo, s0
	s_cbranch_vccnz .LBB15_642
; %bb.641:
	global_load_i16 v2, v[0:1], off
	s_waitcnt vmcnt(0)
	v_cvt_f32_i32_e32 v2, v2
.LBB15_642:
	s_mov_b32 s0, 0
.LBB15_643:
	s_delay_alu instid0(SALU_CYCLE_1)
	s_and_not1_b32 vcc_lo, exec_lo, s0
	s_cbranch_vccnz .LBB15_649
; %bb.644:
	v_cmp_lt_i16_e32 vcc_lo, 0, v5
	s_mov_b32 s0, 0
	s_cbranch_vccz .LBB15_646
; %bb.645:
	global_load_i8 v2, v[0:1], off
	s_waitcnt vmcnt(0)
	v_cvt_f32_i32_e32 v2, v2
	s_branch .LBB15_647
.LBB15_646:
	s_mov_b32 s0, -1
                                        ; implicit-def: $vgpr2
.LBB15_647:
	s_delay_alu instid0(SALU_CYCLE_1)
	s_and_not1_b32 vcc_lo, exec_lo, s0
	s_cbranch_vccnz .LBB15_649
; %bb.648:
	global_load_u8 v0, v[0:1], off
	s_waitcnt vmcnt(0)
	v_cvt_f32_ubyte0_e32 v2, v0
.LBB15_649:
	s_mov_b32 s0, -1
.LBB15_650:
	s_delay_alu instid0(SALU_CYCLE_1)
	s_and_not1_b32 vcc_lo, exec_lo, s0
	s_cbranch_vccnz .LBB15_660
; %bb.651:
	s_mov_b32 s0, exec_lo
	s_waitcnt vmcnt(0)
	s_delay_alu instid0(VALU_DEP_1)
	v_cmpx_nlg_f32_e64 0x7f800000, |v2|
	s_cbranch_execz .LBB15_653
; %bb.652:
	v_dual_mov_b32 v0, 0 :: v_dual_mov_b32 v1, 1.0
	global_store_b32 v0, v1, s[8:9]
.LBB15_653:
	s_or_b32 exec_lo, exec_lo, s0
	v_mov_b32_e32 v0, 0
	v_and_b32_e64 v6, 0xff, s12
	global_load_b32 v3, v0, s[10:11]
	v_mul_lo_u32 v0, v4, s2
	v_cmp_gt_i16_e32 vcc_lo, 11, v6
	s_and_b32 vcc_lo, exec_lo, vcc_lo
	s_delay_alu instid0(VALU_DEP_2) | instskip(SKIP_1) | instid1(VALU_DEP_1)
	v_ashrrev_i32_e32 v1, 31, v0
	v_add_co_u32 v0, s0, s4, v0
	v_add_co_ci_u32_e64 v1, s0, s5, v1, s0
	s_waitcnt vmcnt(0)
	v_mul_f32_e32 v7, v2, v3
	v_cmp_eq_f32_e64 s0, 1.0, v3
	s_delay_alu instid0(VALU_DEP_1)
	v_cndmask_b32_e64 v2, v7, v2, s0
	s_cbranch_vccnz .LBB15_661
; %bb.654:
	v_cmp_lt_i16_e32 vcc_lo, 25, v6
	s_cbranch_vccz .LBB15_662
; %bb.655:
	v_cmp_lt_i16_e32 vcc_lo, 28, v6
	s_cbranch_vccz .LBB15_663
	;; [unrolled: 3-line block ×4, first 2 shown]
; %bb.658:
	v_cmp_eq_u16_e32 vcc_lo, 46, v6
	s_mov_b32 s24, 0
	s_mov_b32 s0, -1
	s_mov_b32 s23, 0
	s_cbranch_vccz .LBB15_666
; %bb.659:
	v_bfe_u32 v3, v2, 16, 1
	v_cmp_o_f32_e32 vcc_lo, v2, v2
	s_mov_b32 s23, -1
	s_mov_b32 s0, 0
	s_delay_alu instid0(VALU_DEP_2) | instskip(NEXT) | instid1(VALU_DEP_1)
	v_add3_u32 v3, v2, v3, 0x7fff
	v_lshrrev_b32_e32 v3, 16, v3
	s_delay_alu instid0(VALU_DEP_1)
	v_cndmask_b32_e32 v3, 0x7fc0, v3, vcc_lo
	global_store_b32 v[0:1], v3, off
	s_branch .LBB15_666
.LBB15_660:
	s_mov_b32 s24, 0
	s_mov_b32 s0, s19
	s_branch .LBB15_777
.LBB15_661:
	s_mov_b32 s24, -1
	s_mov_b32 s23, 0
	s_mov_b32 s0, s19
	s_branch .LBB15_735
.LBB15_662:
	s_mov_b32 s24, -1
	s_mov_b32 s23, 0
	s_mov_b32 s0, s19
	s_branch .LBB15_693
.LBB15_663:
	s_mov_b32 s24, -1
	s_mov_b32 s23, 0
	s_mov_b32 s0, s19
	s_branch .LBB15_676
.LBB15_664:
	s_mov_b32 s24, -1
	s_mov_b32 s23, 0
	s_mov_b32 s0, s19
	s_branch .LBB15_672
.LBB15_665:
	s_mov_b32 s24, -1
	s_mov_b32 s23, 0
	s_mov_b32 s0, s19
.LBB15_666:
	s_and_b32 vcc_lo, exec_lo, s24
	s_cbranch_vccz .LBB15_671
; %bb.667:
	v_cmp_eq_u16_e32 vcc_lo, 44, v6
	s_mov_b32 s0, -1
	s_cbranch_vccz .LBB15_671
; %bb.668:
	v_bfe_u32 v7, v2, 23, 8
	v_mov_b32_e32 v3, 0xff
	s_mov_b32 s23, exec_lo
	s_delay_alu instid0(VALU_DEP_2)
	v_cmpx_ne_u32_e32 0xff, v7
; %bb.669:
	v_and_b32_e32 v3, 0x400000, v2
	v_and_or_b32 v7, 0x3fffff, v2, v7
	s_delay_alu instid0(VALU_DEP_2) | instskip(NEXT) | instid1(VALU_DEP_2)
	v_cmp_ne_u32_e32 vcc_lo, 0, v3
	v_cmp_ne_u32_e64 s0, 0, v7
	v_lshrrev_b32_e32 v3, 23, v2
	s_delay_alu instid0(VALU_DEP_2) | instskip(NEXT) | instid1(SALU_CYCLE_1)
	s_and_b32 s0, vcc_lo, s0
	v_cndmask_b32_e64 v7, 0, 1, s0
	s_delay_alu instid0(VALU_DEP_1)
	v_add_nc_u32_e32 v3, v3, v7
; %bb.670:
	s_or_b32 exec_lo, exec_lo, s23
	s_mov_b32 s23, -1
	s_mov_b32 s0, 0
	global_store_b8 v[0:1], v3, off
.LBB15_671:
	s_mov_b32 s24, 0
.LBB15_672:
	s_delay_alu instid0(SALU_CYCLE_1)
	s_and_b32 vcc_lo, exec_lo, s24
	s_cbranch_vccz .LBB15_675
; %bb.673:
	v_cmp_eq_u16_e32 vcc_lo, 29, v6
	s_mov_b32 s0, -1
	s_cbranch_vccz .LBB15_675
; %bb.674:
	v_trunc_f32_e32 v3, v2
	s_mov_b32 s23, -1
	s_mov_b32 s0, 0
	s_mov_b32 s24, 0
	s_delay_alu instid0(VALU_DEP_1) | instskip(NEXT) | instid1(VALU_DEP_1)
	v_mul_f32_e32 v7, 0x2f800000, v3
	v_floor_f32_e32 v7, v7
	s_delay_alu instid0(VALU_DEP_1) | instskip(SKIP_1) | instid1(VALU_DEP_2)
	v_fmamk_f32 v3, v7, 0xcf800000, v3
	v_cvt_u32_f32_e32 v8, v7
	v_cvt_u32_f32_e32 v7, v3
	global_store_b64 v[0:1], v[7:8], off
	s_branch .LBB15_676
.LBB15_675:
	s_mov_b32 s24, 0
.LBB15_676:
	s_delay_alu instid0(SALU_CYCLE_1)
	s_and_b32 vcc_lo, exec_lo, s24
	s_cbranch_vccz .LBB15_692
; %bb.677:
	v_cmp_gt_i16_e32 vcc_lo, 27, v6
	s_mov_b32 s23, -1
	s_cbranch_vccnz .LBB15_683
; %bb.678:
	v_cmp_lt_i16_e32 vcc_lo, 27, v6
	s_cbranch_vccz .LBB15_680
; %bb.679:
	v_cvt_u32_f32_e32 v3, v2
	s_mov_b32 s23, 0
	global_store_b32 v[0:1], v3, off
.LBB15_680:
	s_and_not1_b32 vcc_lo, exec_lo, s23
	s_cbranch_vccnz .LBB15_682
; %bb.681:
	v_cvt_u32_f32_e32 v3, v2
	global_store_b16 v[0:1], v3, off
.LBB15_682:
	s_mov_b32 s23, 0
.LBB15_683:
	s_delay_alu instid0(SALU_CYCLE_1)
	s_and_not1_b32 vcc_lo, exec_lo, s23
	s_cbranch_vccnz .LBB15_691
; %bb.684:
	v_and_b32_e32 v3, 0x7fffffff, v2
	v_mov_b32_e32 v7, 0x80
	s_mov_b32 s23, exec_lo
	s_delay_alu instid0(VALU_DEP_2)
	v_cmpx_gt_u32_e32 0x43800000, v3
	s_cbranch_execz .LBB15_690
; %bb.685:
	v_cmp_lt_u32_e32 vcc_lo, 0x3bffffff, v3
	s_mov_b32 s24, 0
                                        ; implicit-def: $vgpr3
	s_and_saveexec_b32 s25, vcc_lo
	s_delay_alu instid0(SALU_CYCLE_1)
	s_xor_b32 s25, exec_lo, s25
	s_cbranch_execz .LBB15_792
; %bb.686:
	v_bfe_u32 v3, v2, 20, 1
	s_mov_b32 s24, exec_lo
	s_delay_alu instid0(VALU_DEP_1) | instskip(NEXT) | instid1(VALU_DEP_1)
	v_add3_u32 v3, v2, v3, 0x487ffff
	v_lshrrev_b32_e32 v3, 20, v3
	s_or_saveexec_b32 s25, s25
                                        ; implicit-def: $sgpr26
	s_delay_alu instid0(SALU_CYCLE_1)
	s_xor_b32 exec_lo, exec_lo, s25
	s_cbranch_execnz .LBB15_793
.LBB15_687:
	s_or_b32 exec_lo, exec_lo, s25
	v_mov_b32_e32 v7, s26
	s_and_saveexec_b32 s25, s24
.LBB15_688:
	v_lshrrev_b32_e32 v7, 24, v2
	s_delay_alu instid0(VALU_DEP_1)
	v_and_or_b32 v7, 0x80, v7, v3
.LBB15_689:
	s_or_b32 exec_lo, exec_lo, s25
.LBB15_690:
	s_delay_alu instid0(SALU_CYCLE_1)
	s_or_b32 exec_lo, exec_lo, s23
	global_store_b8 v[0:1], v7, off
.LBB15_691:
	s_mov_b32 s23, -1
.LBB15_692:
	s_mov_b32 s24, 0
.LBB15_693:
	s_delay_alu instid0(SALU_CYCLE_1)
	s_and_b32 vcc_lo, exec_lo, s24
	s_cbranch_vccz .LBB15_734
; %bb.694:
	v_cmp_lt_i16_e32 vcc_lo, 22, v6
	s_mov_b32 s24, -1
	s_cbranch_vccz .LBB15_726
; %bb.695:
	v_cmp_gt_i16_e32 vcc_lo, 24, v6
	s_mov_b32 s23, -1
	s_cbranch_vccnz .LBB15_715
; %bb.696:
	v_cmp_lt_i16_e32 vcc_lo, 24, v6
	s_cbranch_vccz .LBB15_704
; %bb.697:
	v_and_b32_e32 v3, 0x7fffffff, v2
	v_mov_b32_e32 v7, 0x80
	s_mov_b32 s23, exec_lo
	s_delay_alu instid0(VALU_DEP_2)
	v_cmpx_gt_u32_e32 0x47800000, v3
	s_cbranch_execz .LBB15_703
; %bb.698:
	v_cmp_lt_u32_e32 vcc_lo, 0x37ffffff, v3
	s_mov_b32 s24, 0
                                        ; implicit-def: $vgpr3
	s_and_saveexec_b32 s25, vcc_lo
	s_delay_alu instid0(SALU_CYCLE_1)
	s_xor_b32 s25, exec_lo, s25
	s_cbranch_execz .LBB15_795
; %bb.699:
	v_bfe_u32 v3, v2, 21, 1
	s_mov_b32 s24, exec_lo
	s_delay_alu instid0(VALU_DEP_1) | instskip(NEXT) | instid1(VALU_DEP_1)
	v_add3_u32 v3, v2, v3, 0x88fffff
	v_lshrrev_b32_e32 v3, 21, v3
	s_or_saveexec_b32 s25, s25
                                        ; implicit-def: $sgpr26
	s_delay_alu instid0(SALU_CYCLE_1)
	s_xor_b32 exec_lo, exec_lo, s25
	s_cbranch_execnz .LBB15_796
.LBB15_700:
	s_or_b32 exec_lo, exec_lo, s25
	v_mov_b32_e32 v7, s26
	s_and_saveexec_b32 s25, s24
.LBB15_701:
	v_lshrrev_b32_e32 v7, 24, v2
	s_delay_alu instid0(VALU_DEP_1)
	v_and_or_b32 v7, 0x80, v7, v3
.LBB15_702:
	s_or_b32 exec_lo, exec_lo, s25
.LBB15_703:
	s_delay_alu instid0(SALU_CYCLE_1)
	s_or_b32 exec_lo, exec_lo, s23
	s_mov_b32 s23, 0
	global_store_b8 v[0:1], v7, off
.LBB15_704:
	s_and_b32 vcc_lo, exec_lo, s23
	s_cbranch_vccz .LBB15_714
; %bb.705:
	v_and_b32_e32 v7, 0x7fffffff, v2
	s_mov_b32 s23, exec_lo
                                        ; implicit-def: $vgpr3
	s_delay_alu instid0(VALU_DEP_1)
	v_cmpx_gt_u32_e32 0x43f00000, v7
	s_xor_b32 s23, exec_lo, s23
	s_cbranch_execz .LBB15_711
; %bb.706:
	s_mov_b32 s24, exec_lo
                                        ; implicit-def: $vgpr3
	v_cmpx_lt_u32_e32 0x3c7fffff, v7
	s_xor_b32 s24, exec_lo, s24
; %bb.707:
	v_bfe_u32 v3, v2, 20, 1
	s_delay_alu instid0(VALU_DEP_1) | instskip(NEXT) | instid1(VALU_DEP_1)
	v_add3_u32 v3, v2, v3, 0x407ffff
	v_and_b32_e32 v7, 0xff00000, v3
	v_lshrrev_b32_e32 v3, 20, v3
	s_delay_alu instid0(VALU_DEP_2) | instskip(NEXT) | instid1(VALU_DEP_2)
	v_cmp_ne_u32_e32 vcc_lo, 0x7f00000, v7
	v_cndmask_b32_e32 v3, 0x7e, v3, vcc_lo
; %bb.708:
	s_and_not1_saveexec_b32 s24, s24
; %bb.709:
	v_add_f32_e64 v3, 0x46800000, |v2|
; %bb.710:
	s_or_b32 exec_lo, exec_lo, s24
                                        ; implicit-def: $vgpr7
.LBB15_711:
	s_and_not1_saveexec_b32 s23, s23
; %bb.712:
	v_mov_b32_e32 v3, 0x7f
	v_cmp_lt_u32_e32 vcc_lo, 0x7f800000, v7
	s_delay_alu instid0(VALU_DEP_2)
	v_cndmask_b32_e32 v3, 0x7e, v3, vcc_lo
; %bb.713:
	s_or_b32 exec_lo, exec_lo, s23
	v_lshrrev_b32_e32 v7, 24, v2
	s_delay_alu instid0(VALU_DEP_1)
	v_and_or_b32 v3, 0x80, v7, v3
	global_store_b8 v[0:1], v3, off
.LBB15_714:
	s_mov_b32 s23, 0
.LBB15_715:
	s_delay_alu instid0(SALU_CYCLE_1)
	s_and_not1_b32 vcc_lo, exec_lo, s23
	s_cbranch_vccnz .LBB15_725
; %bb.716:
	v_and_b32_e32 v7, 0x7fffffff, v2
	s_mov_b32 s23, exec_lo
                                        ; implicit-def: $vgpr3
	s_delay_alu instid0(VALU_DEP_1)
	v_cmpx_gt_u32_e32 0x47800000, v7
	s_xor_b32 s23, exec_lo, s23
	s_cbranch_execz .LBB15_722
; %bb.717:
	s_mov_b32 s24, exec_lo
                                        ; implicit-def: $vgpr3
	v_cmpx_lt_u32_e32 0x387fffff, v7
	s_xor_b32 s24, exec_lo, s24
; %bb.718:
	v_bfe_u32 v3, v2, 21, 1
	s_delay_alu instid0(VALU_DEP_1) | instskip(NEXT) | instid1(VALU_DEP_1)
	v_add3_u32 v3, v2, v3, 0x80fffff
	v_lshrrev_b32_e32 v3, 21, v3
; %bb.719:
	s_and_not1_saveexec_b32 s24, s24
; %bb.720:
	v_add_f32_e64 v3, 0x43000000, |v2|
; %bb.721:
	s_or_b32 exec_lo, exec_lo, s24
                                        ; implicit-def: $vgpr7
.LBB15_722:
	s_and_not1_saveexec_b32 s23, s23
; %bb.723:
	v_mov_b32_e32 v3, 0x7f
	v_cmp_lt_u32_e32 vcc_lo, 0x7f800000, v7
	s_delay_alu instid0(VALU_DEP_2)
	v_cndmask_b32_e32 v3, 0x7c, v3, vcc_lo
; %bb.724:
	s_or_b32 exec_lo, exec_lo, s23
	v_lshrrev_b32_e32 v7, 24, v2
	s_delay_alu instid0(VALU_DEP_1)
	v_and_or_b32 v3, 0x80, v7, v3
	global_store_b8 v[0:1], v3, off
.LBB15_725:
	s_mov_b32 s24, 0
	s_mov_b32 s23, -1
.LBB15_726:
	s_and_not1_b32 vcc_lo, exec_lo, s24
	s_cbranch_vccnz .LBB15_734
; %bb.727:
	v_cmp_lt_i16_e32 vcc_lo, 14, v6
	s_mov_b32 s24, -1
	s_cbranch_vccz .LBB15_731
; %bb.728:
	v_cmp_eq_u16_e32 vcc_lo, 15, v6
	s_mov_b32 s0, -1
	s_cbranch_vccz .LBB15_730
; %bb.729:
	v_bfe_u32 v3, v2, 16, 1
	v_cmp_o_f32_e32 vcc_lo, v2, v2
	s_mov_b32 s23, -1
	s_mov_b32 s0, 0
	s_delay_alu instid0(VALU_DEP_2) | instskip(NEXT) | instid1(VALU_DEP_1)
	v_add3_u32 v3, v2, v3, 0x7fff
	v_lshrrev_b32_e32 v3, 16, v3
	s_delay_alu instid0(VALU_DEP_1)
	v_cndmask_b32_e32 v3, 0x7fc0, v3, vcc_lo
	global_store_b16 v[0:1], v3, off
.LBB15_730:
	s_mov_b32 s24, 0
.LBB15_731:
	s_delay_alu instid0(SALU_CYCLE_1)
	s_and_b32 vcc_lo, exec_lo, s24
	s_cbranch_vccz .LBB15_734
; %bb.732:
	v_cmp_eq_u16_e32 vcc_lo, 11, v6
	s_mov_b32 s0, -1
	s_cbranch_vccz .LBB15_734
; %bb.733:
	v_cmp_neq_f32_e32 vcc_lo, 0, v2
	s_mov_b32 s0, 0
	s_mov_b32 s23, -1
	v_cndmask_b32_e64 v3, 0, 1, vcc_lo
	global_store_b8 v[0:1], v3, off
.LBB15_734:
	s_mov_b32 s24, 0
.LBB15_735:
	s_delay_alu instid0(SALU_CYCLE_1)
	s_and_b32 vcc_lo, exec_lo, s24
	s_cbranch_vccz .LBB15_774
; %bb.736:
	v_cmp_gt_i16_e32 vcc_lo, 5, v6
	s_mov_b32 s23, -1
	s_cbranch_vccnz .LBB15_757
; %bb.737:
	v_cmp_gt_i16_e32 vcc_lo, 8, v6
	s_cbranch_vccnz .LBB15_747
; %bb.738:
	v_cmp_gt_i16_e32 vcc_lo, 9, v6
	s_cbranch_vccnz .LBB15_744
; %bb.739:
	v_cmp_lt_i16_e32 vcc_lo, 9, v6
	s_cbranch_vccz .LBB15_741
; %bb.740:
	v_cvt_f64_f32_e32 v[7:8], v2
	v_mov_b32_e32 v9, 0
	s_mov_b32 s23, 0
	s_delay_alu instid0(VALU_DEP_1)
	v_mov_b32_e32 v10, v9
	global_store_b128 v[0:1], v[7:10], off
.LBB15_741:
	s_and_not1_b32 vcc_lo, exec_lo, s23
	s_cbranch_vccnz .LBB15_743
; %bb.742:
	v_mov_b32_e32 v3, 0
	global_store_b64 v[0:1], v[2:3], off
.LBB15_743:
	s_mov_b32 s23, 0
.LBB15_744:
	s_delay_alu instid0(SALU_CYCLE_1)
	s_and_not1_b32 vcc_lo, exec_lo, s23
	s_cbranch_vccnz .LBB15_746
; %bb.745:
	v_cvt_f16_f32_e32 v3, v2
	s_delay_alu instid0(VALU_DEP_1)
	v_and_b32_e32 v3, 0xffff, v3
	global_store_b32 v[0:1], v3, off
.LBB15_746:
	s_mov_b32 s23, 0
.LBB15_747:
	s_delay_alu instid0(SALU_CYCLE_1)
	s_and_not1_b32 vcc_lo, exec_lo, s23
	s_cbranch_vccnz .LBB15_756
; %bb.748:
	v_cmp_gt_i16_e32 vcc_lo, 6, v6
	s_mov_b32 s23, -1
	s_cbranch_vccnz .LBB15_754
; %bb.749:
	v_cmp_lt_i16_e32 vcc_lo, 6, v6
	s_cbranch_vccz .LBB15_751
; %bb.750:
	v_cvt_f64_f32_e32 v[7:8], v2
	s_mov_b32 s23, 0
	global_store_b64 v[0:1], v[7:8], off
.LBB15_751:
	s_and_not1_b32 vcc_lo, exec_lo, s23
	s_cbranch_vccnz .LBB15_753
; %bb.752:
	global_store_b32 v[0:1], v2, off
.LBB15_753:
	s_mov_b32 s23, 0
.LBB15_754:
	s_delay_alu instid0(SALU_CYCLE_1)
	s_and_not1_b32 vcc_lo, exec_lo, s23
	s_cbranch_vccnz .LBB15_756
; %bb.755:
	v_cvt_f16_f32_e32 v3, v2
	global_store_b16 v[0:1], v3, off
.LBB15_756:
	s_mov_b32 s23, 0
.LBB15_757:
	s_delay_alu instid0(SALU_CYCLE_1)
	s_and_not1_b32 vcc_lo, exec_lo, s23
	s_cbranch_vccnz .LBB15_773
; %bb.758:
	v_cmp_gt_i16_e32 vcc_lo, 2, v6
	s_mov_b32 s23, -1
	s_cbranch_vccnz .LBB15_768
; %bb.759:
	v_cmp_gt_i16_e32 vcc_lo, 3, v6
	s_cbranch_vccnz .LBB15_765
; %bb.760:
	v_cmp_lt_i16_e32 vcc_lo, 3, v6
	s_cbranch_vccz .LBB15_762
; %bb.761:
	v_trunc_f32_e32 v3, v2
	s_mov_b32 s23, 0
	s_delay_alu instid0(VALU_DEP_1) | instskip(NEXT) | instid1(VALU_DEP_1)
	v_mul_f32_e64 v7, 0x2f800000, |v3|
	v_floor_f32_e32 v7, v7
	s_delay_alu instid0(VALU_DEP_1) | instskip(SKIP_2) | instid1(VALU_DEP_3)
	v_fma_f32 v8, 0xcf800000, v7, |v3|
	v_ashrrev_i32_e32 v3, 31, v3
	v_cvt_u32_f32_e32 v7, v7
	v_cvt_u32_f32_e32 v8, v8
	s_delay_alu instid0(VALU_DEP_2) | instskip(NEXT) | instid1(VALU_DEP_2)
	v_xor_b32_e32 v9, v7, v3
	v_xor_b32_e32 v8, v8, v3
	s_delay_alu instid0(VALU_DEP_1) | instskip(NEXT) | instid1(VALU_DEP_3)
	v_sub_co_u32 v7, vcc_lo, v8, v3
	v_sub_co_ci_u32_e32 v8, vcc_lo, v9, v3, vcc_lo
	global_store_b64 v[0:1], v[7:8], off
.LBB15_762:
	s_and_not1_b32 vcc_lo, exec_lo, s23
	s_cbranch_vccnz .LBB15_764
; %bb.763:
	v_cvt_i32_f32_e32 v3, v2
	global_store_b32 v[0:1], v3, off
.LBB15_764:
	s_mov_b32 s23, 0
.LBB15_765:
	s_delay_alu instid0(SALU_CYCLE_1)
	s_and_not1_b32 vcc_lo, exec_lo, s23
	s_cbranch_vccnz .LBB15_767
; %bb.766:
	v_cvt_i32_f32_e32 v3, v2
	global_store_b16 v[0:1], v3, off
.LBB15_767:
	s_mov_b32 s23, 0
.LBB15_768:
	s_delay_alu instid0(SALU_CYCLE_1)
	s_and_not1_b32 vcc_lo, exec_lo, s23
	s_cbranch_vccnz .LBB15_773
; %bb.769:
	v_cmp_lt_i16_e32 vcc_lo, 0, v6
	s_mov_b32 s23, -1
	s_cbranch_vccz .LBB15_771
; %bb.770:
	v_cvt_i32_f32_e32 v3, v2
	s_mov_b32 s23, 0
	global_store_b8 v[0:1], v3, off
.LBB15_771:
	s_and_not1_b32 vcc_lo, exec_lo, s23
	s_cbranch_vccnz .LBB15_773
; %bb.772:
	v_trunc_f32_e32 v2, v2
	s_delay_alu instid0(VALU_DEP_1) | instskip(NEXT) | instid1(VALU_DEP_1)
	v_mul_f32_e64 v3, 0x2f800000, |v2|
	v_floor_f32_e32 v3, v3
	s_delay_alu instid0(VALU_DEP_1) | instskip(SKIP_1) | instid1(VALU_DEP_2)
	v_fma_f32 v3, 0xcf800000, v3, |v2|
	v_ashrrev_i32_e32 v2, 31, v2
	v_cvt_u32_f32_e32 v3, v3
	s_delay_alu instid0(VALU_DEP_1) | instskip(NEXT) | instid1(VALU_DEP_1)
	v_xor_b32_e32 v3, v3, v2
	v_sub_nc_u32_e32 v2, v3, v2
	global_store_b8 v[0:1], v2, off
.LBB15_773:
	s_mov_b32 s23, -1
.LBB15_774:
	s_delay_alu instid0(SALU_CYCLE_1)
	s_and_not1_b32 vcc_lo, exec_lo, s23
	s_cbranch_vccnz .LBB15_776
; %bb.775:
	v_add_nc_u32_e32 v4, 0x80, v4
	s_mov_b32 s24, -1
	s_branch .LBB15_778
.LBB15_776:
	s_mov_b32 s24, 0
.LBB15_777:
                                        ; implicit-def: $vgpr4
.LBB15_778:
	s_and_not1_b32 s23, s19, exec_lo
	s_and_b32 s0, s0, exec_lo
	s_and_not1_b32 s25, s18, exec_lo
	s_and_b32 s22, s22, exec_lo
	s_or_b32 s23, s23, s0
	s_or_b32 s22, s25, s22
	s_or_not1_b32 s0, s24, exec_lo
.LBB15_779:
	s_or_b32 exec_lo, exec_lo, s21
	s_mov_b32 s24, 0
	s_mov_b32 s25, 0
	s_mov_b32 s26, 0
                                        ; implicit-def: $vgpr0_vgpr1
                                        ; implicit-def: $vgpr3
	s_and_saveexec_b32 s21, s0
	s_cbranch_execz .LBB15_864
; %bb.780:
	v_cmp_gt_i32_e32 vcc_lo, s16, v4
	s_mov_b32 s0, 0
	s_mov_b32 s24, s22
                                        ; implicit-def: $vgpr0_vgpr1
                                        ; implicit-def: $vgpr3
	s_and_saveexec_b32 s16, vcc_lo
	s_cbranch_execz .LBB15_863
; %bb.781:
	v_mul_lo_u32 v0, v4, s3
	v_cmp_gt_i16_e32 vcc_lo, 11, v5
	s_delay_alu instid0(VALU_DEP_2) | instskip(SKIP_1) | instid1(VALU_DEP_1)
	v_ashrrev_i32_e32 v1, 31, v0
	v_add_co_u32 v0, s0, s6, v0
	v_add_co_ci_u32_e64 v1, s0, s7, v1, s0
	s_cbranch_vccnz .LBB15_788
; %bb.782:
	v_cmp_lt_i16_e32 vcc_lo, 25, v5
	s_mov_b32 s24, 0
	s_cbranch_vccz .LBB15_789
; %bb.783:
	v_cmp_lt_i16_e32 vcc_lo, 28, v5
	s_cbranch_vccz .LBB15_790
; %bb.784:
	v_cmp_lt_i16_e32 vcc_lo, 43, v5
	;; [unrolled: 3-line block ×3, first 2 shown]
	s_cbranch_vccz .LBB15_794
; %bb.786:
	v_cmp_eq_u16_e32 vcc_lo, 46, v5
	s_cbranch_vccz .LBB15_797
; %bb.787:
	global_load_b32 v2, v[0:1], off
	s_mov_b32 s0, 0
	s_mov_b32 s25, -1
	s_waitcnt vmcnt(0)
	v_lshlrev_b32_e32 v3, 16, v2
	s_branch .LBB15_799
.LBB15_788:
	s_mov_b32 s27, -1
	s_mov_b32 s24, 0
	s_mov_b32 s0, s22
                                        ; implicit-def: $vgpr3
	s_branch .LBB15_862
.LBB15_789:
	s_mov_b32 s26, -1
	s_mov_b32 s0, s22
                                        ; implicit-def: $vgpr3
	s_branch .LBB15_828
.LBB15_790:
	s_mov_b32 s26, -1
	s_mov_b32 s0, s22
                                        ; implicit-def: $vgpr3
	s_branch .LBB15_809
.LBB15_791:
	s_mov_b32 s26, -1
	s_mov_b32 s0, s22
                                        ; implicit-def: $vgpr3
	s_branch .LBB15_804
.LBB15_792:
	s_or_saveexec_b32 s25, s25
                                        ; implicit-def: $sgpr26
	s_delay_alu instid0(SALU_CYCLE_1)
	s_xor_b32 exec_lo, exec_lo, s25
	s_cbranch_execz .LBB15_687
.LBB15_793:
	v_add_f32_e64 v3, 0x46000000, |v2|
	s_and_not1_b32 s24, s24, exec_lo
	s_mov_b32 s26, 0
	s_delay_alu instid0(VALU_DEP_1) | instskip(NEXT) | instid1(VALU_DEP_1)
	v_and_b32_e32 v3, 0xff, v3
	v_cmp_ne_u32_e32 vcc_lo, 0, v3
	s_and_b32 s27, vcc_lo, exec_lo
	s_delay_alu instid0(SALU_CYCLE_1)
	s_or_b32 s24, s24, s27
	s_or_b32 exec_lo, exec_lo, s25
	v_mov_b32_e32 v7, s26
	s_and_saveexec_b32 s25, s24
	s_cbranch_execnz .LBB15_688
	s_branch .LBB15_689
.LBB15_794:
	s_mov_b32 s26, -1
	s_mov_b32 s0, s22
	s_branch .LBB15_798
.LBB15_795:
	s_or_saveexec_b32 s25, s25
                                        ; implicit-def: $sgpr26
	s_delay_alu instid0(SALU_CYCLE_1)
	s_xor_b32 exec_lo, exec_lo, s25
	s_cbranch_execz .LBB15_700
.LBB15_796:
	v_add_f32_e64 v3, 0x42800000, |v2|
	s_and_not1_b32 s24, s24, exec_lo
	s_mov_b32 s26, 0
	s_delay_alu instid0(VALU_DEP_1) | instskip(NEXT) | instid1(VALU_DEP_1)
	v_and_b32_e32 v3, 0xff, v3
	v_cmp_ne_u32_e32 vcc_lo, 0, v3
	s_and_b32 s27, vcc_lo, exec_lo
	s_delay_alu instid0(SALU_CYCLE_1)
	s_or_b32 s24, s24, s27
	s_or_b32 exec_lo, exec_lo, s25
	v_mov_b32_e32 v7, s26
	s_and_saveexec_b32 s25, s24
	s_cbranch_execnz .LBB15_701
	s_branch .LBB15_702
.LBB15_797:
	s_mov_b32 s0, -1
.LBB15_798:
                                        ; implicit-def: $vgpr3
.LBB15_799:
	s_and_b32 vcc_lo, exec_lo, s26
	s_cbranch_vccz .LBB15_803
; %bb.800:
	v_cmp_eq_u16_e32 vcc_lo, 44, v5
	s_cbranch_vccz .LBB15_802
; %bb.801:
	global_load_u8 v2, v[0:1], off
	s_mov_b32 s0, 0
	s_mov_b32 s25, -1
	s_waitcnt vmcnt(0)
	v_lshlrev_b32_e32 v3, 23, v2
	v_cmp_ne_u32_e32 vcc_lo, 0xff, v2
	s_delay_alu instid0(VALU_DEP_2) | instskip(SKIP_1) | instid1(VALU_DEP_2)
	v_cndmask_b32_e32 v3, 0x7f800001, v3, vcc_lo
	v_cmp_ne_u32_e32 vcc_lo, 0, v2
	v_cndmask_b32_e32 v3, 0x400000, v3, vcc_lo
	s_branch .LBB15_803
.LBB15_802:
	s_mov_b32 s0, -1
                                        ; implicit-def: $vgpr3
.LBB15_803:
	s_mov_b32 s26, 0
.LBB15_804:
	s_delay_alu instid0(SALU_CYCLE_1)
	s_and_b32 vcc_lo, exec_lo, s26
	s_cbranch_vccz .LBB15_808
; %bb.805:
	v_cmp_eq_u16_e32 vcc_lo, 29, v5
	s_cbranch_vccz .LBB15_807
; %bb.806:
	global_load_b64 v[2:3], v[0:1], off
	s_mov_b32 s0, 0
	s_mov_b32 s25, -1
	s_mov_b32 s26, 0
	s_waitcnt vmcnt(0)
	v_clz_i32_u32_e32 v6, v3
	s_delay_alu instid0(VALU_DEP_1) | instskip(NEXT) | instid1(VALU_DEP_1)
	v_min_u32_e32 v6, 32, v6
	v_lshlrev_b64 v[2:3], v6, v[2:3]
	s_delay_alu instid0(VALU_DEP_1) | instskip(NEXT) | instid1(VALU_DEP_1)
	v_min_u32_e32 v2, 1, v2
	v_or_b32_e32 v2, v3, v2
	v_sub_nc_u32_e32 v3, 32, v6
	s_delay_alu instid0(VALU_DEP_2) | instskip(NEXT) | instid1(VALU_DEP_1)
	v_cvt_f32_u32_e32 v2, v2
	v_ldexp_f32 v3, v2, v3
	s_branch .LBB15_809
.LBB15_807:
	s_mov_b32 s0, -1
                                        ; implicit-def: $vgpr3
.LBB15_808:
	s_mov_b32 s26, 0
.LBB15_809:
	s_delay_alu instid0(SALU_CYCLE_1)
	s_and_b32 vcc_lo, exec_lo, s26
	s_cbranch_vccz .LBB15_827
; %bb.810:
	v_cmp_gt_i16_e32 vcc_lo, 27, v5
	s_cbranch_vccnz .LBB15_813
; %bb.811:
	v_cmp_lt_i16_e32 vcc_lo, 27, v5
	s_cbranch_vccz .LBB15_814
; %bb.812:
	global_load_b32 v2, v[0:1], off
	s_mov_b32 s25, 0
	s_waitcnt vmcnt(0)
	v_cvt_f32_u32_e32 v3, v2
	s_branch .LBB15_815
.LBB15_813:
	s_mov_b32 s25, -1
                                        ; implicit-def: $vgpr3
	s_branch .LBB15_818
.LBB15_814:
	s_mov_b32 s25, -1
                                        ; implicit-def: $vgpr3
.LBB15_815:
	s_delay_alu instid0(SALU_CYCLE_1)
	s_and_not1_b32 vcc_lo, exec_lo, s25
	s_cbranch_vccnz .LBB15_817
; %bb.816:
	global_load_u16 v2, v[0:1], off
	s_waitcnt vmcnt(0)
	v_cvt_f32_u32_e32 v3, v2
.LBB15_817:
	s_mov_b32 s25, 0
.LBB15_818:
	s_delay_alu instid0(SALU_CYCLE_1)
	s_and_not1_b32 vcc_lo, exec_lo, s25
	s_cbranch_vccnz .LBB15_826
; %bb.819:
	global_load_u8 v2, v[0:1], off
	s_mov_b32 s25, 0
	s_mov_b32 s27, exec_lo
                                        ; implicit-def: $sgpr26
	s_waitcnt vmcnt(0)
	v_cmpx_lt_i16_e32 0x7f, v2
	s_xor_b32 s27, exec_lo, s27
	s_cbranch_execz .LBB15_840
; %bb.820:
	s_mov_b32 s25, -1
	s_mov_b32 s28, exec_lo
                                        ; implicit-def: $sgpr26
	v_cmpx_eq_u16_e32 0x80, v2
; %bb.821:
	s_mov_b32 s26, 0x7f800001
	s_xor_b32 s25, exec_lo, -1
; %bb.822:
	s_or_b32 exec_lo, exec_lo, s28
	s_delay_alu instid0(SALU_CYCLE_1)
	s_and_b32 s25, s25, exec_lo
	s_or_saveexec_b32 s27, s27
	v_mov_b32_e32 v3, s26
	s_xor_b32 exec_lo, exec_lo, s27
	s_cbranch_execnz .LBB15_841
.LBB15_823:
	s_or_b32 exec_lo, exec_lo, s27
	s_and_saveexec_b32 s26, s25
	s_cbranch_execz .LBB15_825
.LBB15_824:
	v_and_b32_e32 v3, 0xffff, v2
	v_lshlrev_b32_e32 v2, 24, v2
	s_delay_alu instid0(VALU_DEP_2) | instskip(NEXT) | instid1(VALU_DEP_2)
	v_and_b32_e32 v6, 7, v3
	v_and_b32_e32 v2, 0x80000000, v2
	s_delay_alu instid0(VALU_DEP_2) | instskip(NEXT) | instid1(VALU_DEP_1)
	v_clz_i32_u32_e32 v7, v6
	v_min_u32_e32 v7, 32, v7
	s_delay_alu instid0(VALU_DEP_1) | instskip(SKIP_1) | instid1(VALU_DEP_2)
	v_subrev_nc_u32_e32 v8, 28, v7
	v_sub_nc_u32_e32 v7, 29, v7
	v_lshlrev_b32_e32 v8, v8, v3
	v_bfe_u32 v3, v3, 3, 4
	s_delay_alu instid0(VALU_DEP_1) | instskip(NEXT) | instid1(VALU_DEP_3)
	v_cmp_eq_u32_e32 vcc_lo, 0, v3
	v_dual_cndmask_b32 v3, v3, v7 :: v_dual_and_b32 v8, 7, v8
	s_delay_alu instid0(VALU_DEP_1) | instskip(NEXT) | instid1(VALU_DEP_2)
	v_cndmask_b32_e32 v6, v6, v8, vcc_lo
	v_lshl_add_u32 v3, v3, 23, 0x3b800000
	s_delay_alu instid0(VALU_DEP_2) | instskip(NEXT) | instid1(VALU_DEP_1)
	v_lshlrev_b32_e32 v6, 20, v6
	v_or3_b32 v3, v2, v3, v6
.LBB15_825:
	s_or_b32 exec_lo, exec_lo, s26
.LBB15_826:
	s_mov_b32 s25, -1
.LBB15_827:
	s_mov_b32 s26, 0
.LBB15_828:
	s_delay_alu instid0(SALU_CYCLE_1)
	s_and_b32 vcc_lo, exec_lo, s26
	s_cbranch_vccz .LBB15_861
; %bb.829:
	v_cmp_lt_i16_e32 vcc_lo, 22, v5
	s_cbranch_vccz .LBB15_839
; %bb.830:
	v_cmp_gt_i16_e32 vcc_lo, 24, v5
	s_cbranch_vccnz .LBB15_842
; %bb.831:
	v_cmp_lt_i16_e32 vcc_lo, 24, v5
	s_cbranch_vccz .LBB15_843
; %bb.832:
	global_load_u8 v2, v[0:1], off
	s_mov_b32 s26, exec_lo
                                        ; implicit-def: $sgpr25
	s_waitcnt vmcnt(0)
	v_cmpx_lt_i16_e32 0x7f, v2
	s_xor_b32 s26, exec_lo, s26
	s_cbranch_execz .LBB15_855
; %bb.833:
	s_mov_b32 s24, -1
	s_mov_b32 s27, exec_lo
                                        ; implicit-def: $sgpr25
	v_cmpx_eq_u16_e32 0x80, v2
; %bb.834:
	s_mov_b32 s25, 0x7f800001
	s_xor_b32 s24, exec_lo, -1
; %bb.835:
	s_or_b32 exec_lo, exec_lo, s27
	s_delay_alu instid0(SALU_CYCLE_1)
	s_and_b32 s24, s24, exec_lo
	s_or_saveexec_b32 s26, s26
	v_mov_b32_e32 v3, s25
	s_xor_b32 exec_lo, exec_lo, s26
	s_cbranch_execnz .LBB15_856
.LBB15_836:
	s_or_b32 exec_lo, exec_lo, s26
	s_and_saveexec_b32 s25, s24
	s_cbranch_execz .LBB15_838
.LBB15_837:
	v_and_b32_e32 v3, 0xffff, v2
	v_lshlrev_b32_e32 v2, 24, v2
	s_delay_alu instid0(VALU_DEP_2) | instskip(NEXT) | instid1(VALU_DEP_2)
	v_and_b32_e32 v6, 3, v3
	v_and_b32_e32 v2, 0x80000000, v2
	s_delay_alu instid0(VALU_DEP_2) | instskip(NEXT) | instid1(VALU_DEP_1)
	v_clz_i32_u32_e32 v7, v6
	v_min_u32_e32 v7, 32, v7
	s_delay_alu instid0(VALU_DEP_1) | instskip(SKIP_1) | instid1(VALU_DEP_2)
	v_subrev_nc_u32_e32 v8, 29, v7
	v_sub_nc_u32_e32 v7, 30, v7
	v_lshlrev_b32_e32 v8, v8, v3
	v_bfe_u32 v3, v3, 2, 5
	s_delay_alu instid0(VALU_DEP_1) | instskip(NEXT) | instid1(VALU_DEP_3)
	v_cmp_eq_u32_e32 vcc_lo, 0, v3
	v_dual_cndmask_b32 v3, v3, v7 :: v_dual_and_b32 v8, 3, v8
	s_delay_alu instid0(VALU_DEP_1) | instskip(NEXT) | instid1(VALU_DEP_2)
	v_cndmask_b32_e32 v6, v6, v8, vcc_lo
	v_lshl_add_u32 v3, v3, 23, 0x37800000
	s_delay_alu instid0(VALU_DEP_2) | instskip(NEXT) | instid1(VALU_DEP_1)
	v_lshlrev_b32_e32 v6, 21, v6
	v_or3_b32 v3, v2, v3, v6
.LBB15_838:
	s_or_b32 exec_lo, exec_lo, s25
	s_mov_b32 s24, 0
	s_branch .LBB15_844
.LBB15_839:
	s_mov_b32 s24, -1
                                        ; implicit-def: $vgpr3
	s_branch .LBB15_850
.LBB15_840:
	s_or_saveexec_b32 s27, s27
	v_mov_b32_e32 v3, s26
	s_xor_b32 exec_lo, exec_lo, s27
	s_cbranch_execz .LBB15_823
.LBB15_841:
	v_cmp_ne_u16_e32 vcc_lo, 0, v2
	v_mov_b32_e32 v3, 0
	s_and_not1_b32 s25, s25, exec_lo
	s_and_b32 s26, vcc_lo, exec_lo
	s_delay_alu instid0(SALU_CYCLE_1)
	s_or_b32 s25, s25, s26
	s_or_b32 exec_lo, exec_lo, s27
	s_and_saveexec_b32 s26, s25
	s_cbranch_execnz .LBB15_824
	s_branch .LBB15_825
.LBB15_842:
	s_mov_b32 s24, -1
                                        ; implicit-def: $vgpr3
	s_branch .LBB15_847
.LBB15_843:
	s_mov_b32 s24, -1
                                        ; implicit-def: $vgpr3
.LBB15_844:
	s_delay_alu instid0(SALU_CYCLE_1)
	s_and_b32 vcc_lo, exec_lo, s24
	s_cbranch_vccz .LBB15_846
; %bb.845:
	global_load_u8 v2, v[0:1], off
	s_waitcnt vmcnt(0)
	v_lshlrev_b32_e32 v2, 24, v2
	s_delay_alu instid0(VALU_DEP_1) | instskip(NEXT) | instid1(VALU_DEP_1)
	v_and_b32_e32 v3, 0x7f000000, v2
	v_clz_i32_u32_e32 v6, v3
	v_cmp_ne_u32_e32 vcc_lo, 0, v3
	v_add_nc_u32_e32 v8, 0x1000000, v3
	s_delay_alu instid0(VALU_DEP_3) | instskip(NEXT) | instid1(VALU_DEP_1)
	v_min_u32_e32 v6, 32, v6
	v_sub_nc_u32_e64 v6, v6, 4 clamp
	s_delay_alu instid0(VALU_DEP_1) | instskip(SKIP_1) | instid1(VALU_DEP_2)
	v_lshlrev_b32_e32 v7, v6, v3
	v_lshlrev_b32_e32 v6, 23, v6
	v_lshrrev_b32_e32 v7, 4, v7
	s_delay_alu instid0(VALU_DEP_1) | instskip(SKIP_1) | instid1(VALU_DEP_2)
	v_sub_nc_u32_e32 v6, v7, v6
	v_ashrrev_i32_e32 v7, 8, v8
	v_add_nc_u32_e32 v6, 0x3c000000, v6
	s_delay_alu instid0(VALU_DEP_1) | instskip(NEXT) | instid1(VALU_DEP_1)
	v_and_or_b32 v6, 0x7f800000, v7, v6
	v_cndmask_b32_e32 v3, 0, v6, vcc_lo
	s_delay_alu instid0(VALU_DEP_1)
	v_and_or_b32 v3, 0x80000000, v2, v3
.LBB15_846:
	s_mov_b32 s24, 0
.LBB15_847:
	s_delay_alu instid0(SALU_CYCLE_1)
	s_and_not1_b32 vcc_lo, exec_lo, s24
	s_cbranch_vccnz .LBB15_849
; %bb.848:
	global_load_u8 v2, v[0:1], off
	s_waitcnt vmcnt(0)
	v_lshlrev_b32_e32 v3, 25, v2
	v_lshlrev_b16 v2, 8, v2
	s_delay_alu instid0(VALU_DEP_2) | instskip(NEXT) | instid1(VALU_DEP_2)
	v_lshrrev_b32_e32 v6, 4, v3
	v_and_or_b32 v7, 0x7f00, v2, 0.5
	v_cmp_gt_u32_e32 vcc_lo, 0x8000000, v3
	v_bfe_i32 v2, v2, 0, 16
	s_delay_alu instid0(VALU_DEP_4) | instskip(NEXT) | instid1(VALU_DEP_1)
	v_or_b32_e32 v6, 0x70000000, v6
	v_dual_add_f32 v7, -0.5, v7 :: v_dual_mul_f32 v6, 0x7800000, v6
	s_delay_alu instid0(VALU_DEP_1) | instskip(NEXT) | instid1(VALU_DEP_1)
	v_cndmask_b32_e32 v3, v6, v7, vcc_lo
	v_and_or_b32 v3, 0x80000000, v2, v3
.LBB15_849:
	s_mov_b32 s24, 0
	s_mov_b32 s25, -1
.LBB15_850:
	s_and_not1_b32 vcc_lo, exec_lo, s24
	s_mov_b32 s24, 0
	s_cbranch_vccnz .LBB15_861
; %bb.851:
	v_cmp_lt_i16_e32 vcc_lo, 14, v5
	s_cbranch_vccz .LBB15_854
; %bb.852:
	v_cmp_eq_u16_e32 vcc_lo, 15, v5
	s_cbranch_vccz .LBB15_857
; %bb.853:
	global_load_u16 v2, v[0:1], off
	s_mov_b32 s0, 0
	s_mov_b32 s25, -1
	s_waitcnt vmcnt(0)
	v_lshlrev_b32_e32 v3, 16, v2
	s_branch .LBB15_859
.LBB15_854:
	s_mov_b32 s24, -1
	s_branch .LBB15_858
.LBB15_855:
	s_or_saveexec_b32 s26, s26
	v_mov_b32_e32 v3, s25
	s_xor_b32 exec_lo, exec_lo, s26
	s_cbranch_execz .LBB15_836
.LBB15_856:
	v_cmp_ne_u16_e32 vcc_lo, 0, v2
	v_mov_b32_e32 v3, 0
	s_and_not1_b32 s24, s24, exec_lo
	s_and_b32 s25, vcc_lo, exec_lo
	s_delay_alu instid0(SALU_CYCLE_1)
	s_or_b32 s24, s24, s25
	s_or_b32 exec_lo, exec_lo, s26
	s_and_saveexec_b32 s25, s24
	s_cbranch_execnz .LBB15_837
	s_branch .LBB15_838
.LBB15_857:
	s_mov_b32 s0, -1
.LBB15_858:
                                        ; implicit-def: $vgpr3
.LBB15_859:
	s_and_b32 vcc_lo, exec_lo, s24
	s_mov_b32 s24, 0
	s_cbranch_vccz .LBB15_861
; %bb.860:
	v_cmp_ne_u16_e32 vcc_lo, 11, v5
	s_and_not1_b32 s0, s0, exec_lo
	s_mov_b32 s24, -1
                                        ; implicit-def: $vgpr3
	s_and_b32 s26, vcc_lo, exec_lo
	s_delay_alu instid0(SALU_CYCLE_1)
	s_or_b32 s0, s0, s26
.LBB15_861:
	s_mov_b32 s27, 0
.LBB15_862:
	s_and_b32 s26, s25, exec_lo
	s_and_b32 s25, s27, exec_lo
	s_and_not1_b32 s27, s22, exec_lo
	s_and_b32 s28, s0, exec_lo
	s_and_b32 s0, s24, exec_lo
	s_or_b32 s24, s27, s28
.LBB15_863:
	s_or_b32 exec_lo, exec_lo, s16
	s_delay_alu instid0(SALU_CYCLE_1)
	s_and_not1_b32 s16, s22, exec_lo
	s_and_b32 s22, s24, exec_lo
	s_and_b32 s26, s26, exec_lo
	;; [unrolled: 1-line block ×4, first 2 shown]
	s_or_b32 s22, s16, s22
.LBB15_864:
	s_or_b32 exec_lo, exec_lo, s21
	s_delay_alu instid0(SALU_CYCLE_1)
	s_and_not1_b32 s0, s19, exec_lo
	s_and_b32 s16, s23, exec_lo
	s_and_b32 s23, s25, exec_lo
	s_or_b32 s19, s0, s16
	s_and_not1_b32 s16, s18, exec_lo
	s_and_b32 s18, s22, exec_lo
	s_and_b32 s0, s26, exec_lo
	;; [unrolled: 1-line block ×3, first 2 shown]
	s_or_b32 s18, s16, s18
.LBB15_865:
	s_or_b32 exec_lo, exec_lo, s20
	s_delay_alu instid0(SALU_CYCLE_1)
	s_and_not1_b32 s14, s14, exec_lo
	s_and_b32 s16, s19, exec_lo
	s_and_not1_b32 s15, s15, exec_lo
	s_or_b32 s14, s14, s16
	s_and_b32 s16, s18, exec_lo
	s_and_b32 s0, s0, exec_lo
	;; [unrolled: 1-line block ×4, first 2 shown]
	s_or_b32 s15, s15, s16
.LBB15_866:
	s_or_b32 exec_lo, exec_lo, s17
	s_mov_b32 s16, 0
	s_and_saveexec_b32 s17, s15
	s_cbranch_execnz .LBB15_878
; %bb.867:
	s_or_b32 exec_lo, exec_lo, s17
	s_and_saveexec_b32 s15, s18
	s_delay_alu instid0(SALU_CYCLE_1)
	s_xor_b32 s15, exec_lo, s15
	s_cbranch_execz .LBB15_869
.LBB15_868:
	global_load_u8 v2, v[0:1], off
	s_or_b32 s0, s0, exec_lo
	s_waitcnt vmcnt(0)
	v_cmp_ne_u16_e32 vcc_lo, 0, v2
	v_cndmask_b32_e64 v3, 0, 1.0, vcc_lo
.LBB15_869:
	s_or_b32 exec_lo, exec_lo, s15
	s_and_saveexec_b32 s15, s19
	s_cbranch_execz .LBB15_917
; %bb.870:
	v_cmp_gt_i16_e32 vcc_lo, 5, v5
	s_cbranch_vccnz .LBB15_875
; %bb.871:
	v_cmp_gt_i16_e32 vcc_lo, 8, v5
	s_cbranch_vccnz .LBB15_876
	;; [unrolled: 3-line block ×3, first 2 shown]
; %bb.873:
	v_cmp_lt_i16_e32 vcc_lo, 9, v5
	s_cbranch_vccz .LBB15_880
; %bb.874:
	global_load_b64 v[2:3], v[0:1], off
	s_mov_b32 s17, 0
	s_waitcnt vmcnt(0)
	v_cvt_f32_f64_e32 v3, v[2:3]
	s_branch .LBB15_881
.LBB15_875:
                                        ; implicit-def: $vgpr3
	s_branch .LBB15_898
.LBB15_876:
                                        ; implicit-def: $vgpr3
	s_branch .LBB15_887
.LBB15_877:
	s_mov_b32 s17, -1
                                        ; implicit-def: $vgpr3
	s_branch .LBB15_884
.LBB15_878:
	s_cbranch_execnz .LBB15_928
; %bb.879:
	s_mov_b32 s16, exec_lo
	s_and_not1_b32 s18, s18, exec_lo
                                        ; implicit-def: $vgpr3
	s_or_b32 exec_lo, exec_lo, s17
	s_and_saveexec_b32 s15, s18
	s_delay_alu instid0(SALU_CYCLE_1)
	s_xor_b32 s15, exec_lo, s15
	s_cbranch_execnz .LBB15_868
	s_branch .LBB15_869
.LBB15_880:
	s_mov_b32 s17, -1
                                        ; implicit-def: $vgpr3
.LBB15_881:
	s_delay_alu instid0(SALU_CYCLE_1)
	s_and_not1_b32 vcc_lo, exec_lo, s17
	s_cbranch_vccnz .LBB15_883
; %bb.882:
	global_load_b32 v3, v[0:1], off
.LBB15_883:
	s_mov_b32 s17, 0
.LBB15_884:
	s_delay_alu instid0(SALU_CYCLE_1)
	s_and_not1_b32 vcc_lo, exec_lo, s17
	s_cbranch_vccnz .LBB15_886
; %bb.885:
	global_load_b32 v2, v[0:1], off
	s_waitcnt vmcnt(0)
	v_cvt_f32_f16_e32 v3, v2
.LBB15_886:
	s_cbranch_execnz .LBB15_897
.LBB15_887:
	v_cmp_gt_i16_e32 vcc_lo, 6, v5
	s_cbranch_vccnz .LBB15_890
; %bb.888:
	v_cmp_lt_i16_e32 vcc_lo, 6, v5
	s_cbranch_vccz .LBB15_891
; %bb.889:
	global_load_b64 v[2:3], v[0:1], off
	s_mov_b32 s17, 0
	s_waitcnt vmcnt(0)
	v_cvt_f32_f64_e32 v3, v[2:3]
	s_branch .LBB15_892
.LBB15_890:
	s_mov_b32 s17, -1
                                        ; implicit-def: $vgpr3
	s_branch .LBB15_895
.LBB15_891:
	s_mov_b32 s17, -1
                                        ; implicit-def: $vgpr3
.LBB15_892:
	s_delay_alu instid0(SALU_CYCLE_1)
	s_and_not1_b32 vcc_lo, exec_lo, s17
	s_cbranch_vccnz .LBB15_894
; %bb.893:
	global_load_b32 v3, v[0:1], off
.LBB15_894:
	s_mov_b32 s17, 0
.LBB15_895:
	s_delay_alu instid0(SALU_CYCLE_1)
	s_and_not1_b32 vcc_lo, exec_lo, s17
	s_cbranch_vccnz .LBB15_897
; %bb.896:
	global_load_u16 v2, v[0:1], off
	s_waitcnt vmcnt(0)
	v_cvt_f32_f16_e32 v3, v2
.LBB15_897:
	s_cbranch_execnz .LBB15_916
.LBB15_898:
	v_cmp_gt_i16_e32 vcc_lo, 2, v5
	s_cbranch_vccnz .LBB15_902
; %bb.899:
	v_cmp_gt_i16_e32 vcc_lo, 3, v5
	s_cbranch_vccnz .LBB15_903
; %bb.900:
	v_cmp_lt_i16_e32 vcc_lo, 3, v5
	s_cbranch_vccz .LBB15_904
; %bb.901:
	global_load_b64 v[2:3], v[0:1], off
	s_mov_b32 s17, 0
	s_waitcnt vmcnt(0)
	v_xor_b32_e32 v6, v2, v3
	v_cls_i32_e32 v7, v3
	s_delay_alu instid0(VALU_DEP_2) | instskip(NEXT) | instid1(VALU_DEP_2)
	v_ashrrev_i32_e32 v6, 31, v6
	v_add_nc_u32_e32 v7, -1, v7
	s_delay_alu instid0(VALU_DEP_2) | instskip(NEXT) | instid1(VALU_DEP_1)
	v_add_nc_u32_e32 v6, 32, v6
	v_min_u32_e32 v6, v7, v6
	s_delay_alu instid0(VALU_DEP_1) | instskip(NEXT) | instid1(VALU_DEP_1)
	v_lshlrev_b64 v[2:3], v6, v[2:3]
	v_min_u32_e32 v2, 1, v2
	s_delay_alu instid0(VALU_DEP_1) | instskip(SKIP_1) | instid1(VALU_DEP_2)
	v_or_b32_e32 v2, v3, v2
	v_sub_nc_u32_e32 v3, 32, v6
	v_cvt_f32_i32_e32 v2, v2
	s_delay_alu instid0(VALU_DEP_1)
	v_ldexp_f32 v3, v2, v3
	s_branch .LBB15_905
.LBB15_902:
                                        ; implicit-def: $vgpr3
	s_branch .LBB15_911
.LBB15_903:
	s_mov_b32 s17, -1
                                        ; implicit-def: $vgpr3
	s_branch .LBB15_908
.LBB15_904:
	s_mov_b32 s17, -1
                                        ; implicit-def: $vgpr3
.LBB15_905:
	s_delay_alu instid0(SALU_CYCLE_1)
	s_and_not1_b32 vcc_lo, exec_lo, s17
	s_cbranch_vccnz .LBB15_907
; %bb.906:
	global_load_b32 v2, v[0:1], off
	s_waitcnt vmcnt(0)
	v_cvt_f32_i32_e32 v3, v2
.LBB15_907:
	s_mov_b32 s17, 0
.LBB15_908:
	s_delay_alu instid0(SALU_CYCLE_1)
	s_and_not1_b32 vcc_lo, exec_lo, s17
	s_cbranch_vccnz .LBB15_910
; %bb.909:
	global_load_i16 v2, v[0:1], off
	s_waitcnt vmcnt(0)
	v_cvt_f32_i32_e32 v3, v2
.LBB15_910:
	s_cbranch_execnz .LBB15_916
.LBB15_911:
	v_cmp_lt_i16_e32 vcc_lo, 0, v5
	s_mov_b32 s17, 0
	s_cbranch_vccz .LBB15_913
; %bb.912:
	global_load_i8 v2, v[0:1], off
	s_waitcnt vmcnt(0)
	v_cvt_f32_i32_e32 v3, v2
	s_branch .LBB15_914
.LBB15_913:
	s_mov_b32 s17, -1
                                        ; implicit-def: $vgpr3
.LBB15_914:
	s_delay_alu instid0(SALU_CYCLE_1)
	s_and_not1_b32 vcc_lo, exec_lo, s17
	s_cbranch_vccnz .LBB15_916
; %bb.915:
	global_load_u8 v0, v[0:1], off
	s_waitcnt vmcnt(0)
	v_cvt_f32_ubyte0_e32 v3, v0
.LBB15_916:
	s_or_b32 s0, s0, exec_lo
.LBB15_917:
	s_or_b32 exec_lo, exec_lo, s15
	s_mov_b32 s18, 0
	s_mov_b32 s17, 0
                                        ; implicit-def: $vgpr5
                                        ; implicit-def: $vgpr0_vgpr1
                                        ; implicit-def: $vgpr2
	s_and_saveexec_b32 s15, s0
	s_cbranch_execz .LBB15_999
; %bb.918:
	s_mov_b32 s0, exec_lo
	s_waitcnt vmcnt(0)
	s_delay_alu instid0(VALU_DEP_1)
	v_cmpx_nlg_f32_e64 0x7f800000, |v3|
	s_cbranch_execz .LBB15_920
; %bb.919:
	v_dual_mov_b32 v0, 0 :: v_dual_mov_b32 v1, 1.0
	global_store_b32 v0, v1, s[8:9]
.LBB15_920:
	s_or_b32 exec_lo, exec_lo, s0
	v_mov_b32_e32 v0, 0
	v_and_b32_e64 v5, 0xff, s12
	global_load_b32 v2, v0, s[10:11]
	v_mul_lo_u32 v0, v4, s2
	v_cmp_gt_i16_e32 vcc_lo, 11, v5
	s_and_b32 vcc_lo, exec_lo, vcc_lo
	s_delay_alu instid0(VALU_DEP_2) | instskip(SKIP_1) | instid1(VALU_DEP_1)
	v_ashrrev_i32_e32 v1, 31, v0
	v_add_co_u32 v0, s0, s4, v0
	v_add_co_ci_u32_e64 v1, s0, s5, v1, s0
	s_waitcnt vmcnt(0)
	v_mul_f32_e32 v4, v3, v2
	v_cmp_eq_f32_e64 s0, 1.0, v2
	s_delay_alu instid0(VALU_DEP_1)
	v_cndmask_b32_e64 v2, v4, v3, s0
	s_cbranch_vccnz .LBB15_927
; %bb.921:
	v_cmp_lt_i16_e32 vcc_lo, 25, v5
	s_mov_b32 s17, -1
	s_mov_b32 s0, s14
	s_cbranch_vccz .LBB15_957
; %bb.922:
	v_cmp_lt_i16_e32 vcc_lo, 28, v5
	s_mov_b32 s0, s14
	s_cbranch_vccz .LBB15_941
; %bb.923:
	v_cmp_lt_i16_e32 vcc_lo, 43, v5
	s_mov_b32 s0, s14
	s_cbranch_vccz .LBB15_937
; %bb.924:
	v_cmp_lt_i16_e32 vcc_lo, 45, v5
	s_mov_b32 s0, s14
	s_cbranch_vccz .LBB15_931
; %bb.925:
	v_cmp_eq_u16_e32 vcc_lo, 46, v5
	s_mov_b32 s0, -1
	s_cbranch_vccz .LBB15_930
; %bb.926:
	v_bfe_u32 v3, v2, 16, 1
	v_cmp_o_f32_e32 vcc_lo, v2, v2
	s_mov_b32 s0, 0
	s_mov_b32 s17, 0
	s_delay_alu instid0(VALU_DEP_2) | instskip(NEXT) | instid1(VALU_DEP_1)
	v_add3_u32 v3, v2, v3, 0x7fff
	v_lshrrev_b32_e32 v3, 16, v3
	s_delay_alu instid0(VALU_DEP_1)
	v_cndmask_b32_e32 v3, 0x7fc0, v3, vcc_lo
	global_store_b32 v[0:1], v3, off
	s_branch .LBB15_931
.LBB15_927:
	s_mov_b32 s17, -1
	s_mov_b32 s0, s14
	s_branch .LBB15_998
.LBB15_928:
	s_trap 2
	s_sendmsg_rtn_b32 s0, sendmsg(MSG_RTN_GET_DOORBELL)
	s_mov_b32 ttmp2, m0
	s_waitcnt lgkmcnt(0)
	s_and_b32 s0, s0, 0x3ff
	s_delay_alu instid0(SALU_CYCLE_1) | instskip(NEXT) | instid1(SALU_CYCLE_1)
	s_bitset1_b32 s0, 10
	s_mov_b32 m0, s0
	s_sendmsg sendmsg(MSG_INTERRUPT)
	s_mov_b32 m0, ttmp2
.LBB15_929:                             ; =>This Inner Loop Header: Depth=1
	s_sethalt 5
	s_branch .LBB15_929
.LBB15_930:
	s_mov_b32 s17, 0
.LBB15_931:
	s_delay_alu instid0(SALU_CYCLE_1)
	s_and_b32 vcc_lo, exec_lo, s17
	s_cbranch_vccz .LBB15_936
; %bb.932:
	v_cmp_eq_u16_e32 vcc_lo, 44, v5
	s_mov_b32 s0, -1
	s_cbranch_vccz .LBB15_936
; %bb.933:
	v_bfe_u32 v4, v2, 23, 8
	v_mov_b32_e32 v3, 0xff
	s_mov_b32 s17, exec_lo
	s_delay_alu instid0(VALU_DEP_2)
	v_cmpx_ne_u32_e32 0xff, v4
; %bb.934:
	v_and_b32_e32 v3, 0x400000, v2
	v_and_or_b32 v4, 0x3fffff, v2, v4
	s_delay_alu instid0(VALU_DEP_2) | instskip(NEXT) | instid1(VALU_DEP_2)
	v_cmp_ne_u32_e32 vcc_lo, 0, v3
	v_cmp_ne_u32_e64 s0, 0, v4
	v_lshrrev_b32_e32 v3, 23, v2
	s_delay_alu instid0(VALU_DEP_2) | instskip(NEXT) | instid1(SALU_CYCLE_1)
	s_and_b32 s0, vcc_lo, s0
	v_cndmask_b32_e64 v4, 0, 1, s0
	s_delay_alu instid0(VALU_DEP_1)
	v_add_nc_u32_e32 v3, v3, v4
; %bb.935:
	s_or_b32 exec_lo, exec_lo, s17
	s_mov_b32 s0, 0
	global_store_b8 v[0:1], v3, off
.LBB15_936:
	s_mov_b32 s17, 0
.LBB15_937:
	s_delay_alu instid0(SALU_CYCLE_1)
	s_and_b32 vcc_lo, exec_lo, s17
	s_cbranch_vccz .LBB15_940
; %bb.938:
	v_cmp_eq_u16_e32 vcc_lo, 29, v5
	s_mov_b32 s0, -1
	s_cbranch_vccz .LBB15_940
; %bb.939:
	v_trunc_f32_e32 v3, v2
	s_mov_b32 s0, 0
	s_mov_b32 s17, 0
	s_delay_alu instid0(VALU_DEP_1) | instskip(NEXT) | instid1(VALU_DEP_1)
	v_mul_f32_e32 v4, 0x2f800000, v3
	v_floor_f32_e32 v4, v4
	s_delay_alu instid0(VALU_DEP_1) | instskip(SKIP_1) | instid1(VALU_DEP_2)
	v_fmamk_f32 v3, v4, 0xcf800000, v3
	v_cvt_u32_f32_e32 v4, v4
	v_cvt_u32_f32_e32 v3, v3
	global_store_b64 v[0:1], v[3:4], off
	s_branch .LBB15_941
.LBB15_940:
	s_mov_b32 s17, 0
.LBB15_941:
	s_delay_alu instid0(SALU_CYCLE_1)
	s_and_b32 vcc_lo, exec_lo, s17
	s_cbranch_vccz .LBB15_956
; %bb.942:
	v_cmp_gt_i16_e32 vcc_lo, 27, v5
	s_mov_b32 s17, -1
	s_cbranch_vccnz .LBB15_948
; %bb.943:
	v_cmp_lt_i16_e32 vcc_lo, 27, v5
	v_cvt_u32_f32_e32 v3, v2
	s_cbranch_vccz .LBB15_945
; %bb.944:
	s_mov_b32 s17, 0
	global_store_b32 v[0:1], v3, off
.LBB15_945:
	s_and_not1_b32 vcc_lo, exec_lo, s17
	s_cbranch_vccnz .LBB15_947
; %bb.946:
	global_store_b16 v[0:1], v3, off
.LBB15_947:
	s_mov_b32 s17, 0
.LBB15_948:
	s_delay_alu instid0(SALU_CYCLE_1)
	s_and_not1_b32 vcc_lo, exec_lo, s17
	s_cbranch_vccnz .LBB15_956
; %bb.949:
	v_and_b32_e32 v3, 0x7fffffff, v2
	v_mov_b32_e32 v4, 0x80
	s_mov_b32 s17, exec_lo
	s_delay_alu instid0(VALU_DEP_2)
	v_cmpx_gt_u32_e32 0x43800000, v3
	s_cbranch_execz .LBB15_955
; %bb.950:
	v_cmp_lt_u32_e32 vcc_lo, 0x3bffffff, v3
                                        ; implicit-def: $vgpr3
	s_and_saveexec_b32 s19, vcc_lo
	s_delay_alu instid0(SALU_CYCLE_1)
	s_xor_b32 s19, exec_lo, s19
	s_cbranch_execz .LBB15_1192
; %bb.951:
	v_bfe_u32 v3, v2, 20, 1
	s_mov_b32 s18, exec_lo
	s_delay_alu instid0(VALU_DEP_1) | instskip(NEXT) | instid1(VALU_DEP_1)
	v_add3_u32 v3, v2, v3, 0x487ffff
	v_lshrrev_b32_e32 v3, 20, v3
	s_or_saveexec_b32 s19, s19
                                        ; implicit-def: $sgpr20
	s_delay_alu instid0(SALU_CYCLE_1)
	s_xor_b32 exec_lo, exec_lo, s19
	s_cbranch_execnz .LBB15_1193
.LBB15_952:
	s_or_b32 exec_lo, exec_lo, s19
	v_mov_b32_e32 v4, s20
	s_and_saveexec_b32 s19, s18
.LBB15_953:
	v_lshrrev_b32_e32 v4, 24, v2
	s_delay_alu instid0(VALU_DEP_1)
	v_and_or_b32 v4, 0x80, v4, v3
.LBB15_954:
	s_or_b32 exec_lo, exec_lo, s19
.LBB15_955:
	s_delay_alu instid0(SALU_CYCLE_1)
	s_or_b32 exec_lo, exec_lo, s17
	global_store_b8 v[0:1], v4, off
.LBB15_956:
	s_mov_b32 s17, 0
.LBB15_957:
	s_delay_alu instid0(SALU_CYCLE_1)
	s_and_b32 vcc_lo, exec_lo, s17
	s_mov_b32 s17, 0
	s_cbranch_vccz .LBB15_997
; %bb.958:
	v_cmp_lt_i16_e32 vcc_lo, 22, v5
	s_mov_b32 s18, -1
	s_cbranch_vccz .LBB15_990
; %bb.959:
	v_cmp_gt_i16_e32 vcc_lo, 24, v5
	s_cbranch_vccnz .LBB15_979
; %bb.960:
	v_cmp_lt_i16_e32 vcc_lo, 24, v5
	s_cbranch_vccz .LBB15_968
; %bb.961:
	v_and_b32_e32 v3, 0x7fffffff, v2
	v_mov_b32_e32 v4, 0x80
	s_mov_b32 s18, exec_lo
	s_delay_alu instid0(VALU_DEP_2)
	v_cmpx_gt_u32_e32 0x47800000, v3
	s_cbranch_execz .LBB15_967
; %bb.962:
	v_cmp_lt_u32_e32 vcc_lo, 0x37ffffff, v3
	s_mov_b32 s19, 0
                                        ; implicit-def: $vgpr3
	s_and_saveexec_b32 s20, vcc_lo
	s_delay_alu instid0(SALU_CYCLE_1)
	s_xor_b32 s20, exec_lo, s20
	s_cbranch_execz .LBB15_1236
; %bb.963:
	v_bfe_u32 v3, v2, 21, 1
	s_mov_b32 s19, exec_lo
	s_delay_alu instid0(VALU_DEP_1) | instskip(NEXT) | instid1(VALU_DEP_1)
	v_add3_u32 v3, v2, v3, 0x88fffff
	v_lshrrev_b32_e32 v3, 21, v3
	s_or_saveexec_b32 s20, s20
                                        ; implicit-def: $sgpr21
	s_delay_alu instid0(SALU_CYCLE_1)
	s_xor_b32 exec_lo, exec_lo, s20
	s_cbranch_execnz .LBB15_1237
.LBB15_964:
	s_or_b32 exec_lo, exec_lo, s20
	v_mov_b32_e32 v4, s21
	s_and_saveexec_b32 s20, s19
.LBB15_965:
	v_lshrrev_b32_e32 v4, 24, v2
	s_delay_alu instid0(VALU_DEP_1)
	v_and_or_b32 v4, 0x80, v4, v3
.LBB15_966:
	s_or_b32 exec_lo, exec_lo, s20
.LBB15_967:
	s_delay_alu instid0(SALU_CYCLE_1)
	s_or_b32 exec_lo, exec_lo, s18
	s_mov_b32 s18, 0
	global_store_b8 v[0:1], v4, off
.LBB15_968:
	s_and_b32 vcc_lo, exec_lo, s18
	s_cbranch_vccz .LBB15_978
; %bb.969:
	v_and_b32_e32 v4, 0x7fffffff, v2
	s_mov_b32 s18, exec_lo
                                        ; implicit-def: $vgpr3
	s_delay_alu instid0(VALU_DEP_1)
	v_cmpx_gt_u32_e32 0x43f00000, v4
	s_xor_b32 s18, exec_lo, s18
	s_cbranch_execz .LBB15_975
; %bb.970:
	s_mov_b32 s19, exec_lo
                                        ; implicit-def: $vgpr3
	v_cmpx_lt_u32_e32 0x3c7fffff, v4
	s_xor_b32 s19, exec_lo, s19
; %bb.971:
	v_bfe_u32 v3, v2, 20, 1
	s_delay_alu instid0(VALU_DEP_1) | instskip(NEXT) | instid1(VALU_DEP_1)
	v_add3_u32 v3, v2, v3, 0x407ffff
	v_and_b32_e32 v4, 0xff00000, v3
	v_lshrrev_b32_e32 v3, 20, v3
	s_delay_alu instid0(VALU_DEP_2) | instskip(NEXT) | instid1(VALU_DEP_2)
	v_cmp_ne_u32_e32 vcc_lo, 0x7f00000, v4
	v_cndmask_b32_e32 v3, 0x7e, v3, vcc_lo
; %bb.972:
	s_and_not1_saveexec_b32 s19, s19
; %bb.973:
	v_add_f32_e64 v3, 0x46800000, |v2|
; %bb.974:
	s_or_b32 exec_lo, exec_lo, s19
                                        ; implicit-def: $vgpr4
.LBB15_975:
	s_and_not1_saveexec_b32 s18, s18
; %bb.976:
	v_mov_b32_e32 v3, 0x7f
	v_cmp_lt_u32_e32 vcc_lo, 0x7f800000, v4
	s_delay_alu instid0(VALU_DEP_2)
	v_cndmask_b32_e32 v3, 0x7e, v3, vcc_lo
; %bb.977:
	s_or_b32 exec_lo, exec_lo, s18
	v_lshrrev_b32_e32 v4, 24, v2
	s_delay_alu instid0(VALU_DEP_1)
	v_and_or_b32 v3, 0x80, v4, v3
	global_store_b8 v[0:1], v3, off
.LBB15_978:
	s_mov_b32 s18, 0
.LBB15_979:
	s_delay_alu instid0(SALU_CYCLE_1)
	s_and_not1_b32 vcc_lo, exec_lo, s18
	s_cbranch_vccnz .LBB15_989
; %bb.980:
	v_and_b32_e32 v4, 0x7fffffff, v2
	s_mov_b32 s18, exec_lo
                                        ; implicit-def: $vgpr3
	s_delay_alu instid0(VALU_DEP_1)
	v_cmpx_gt_u32_e32 0x47800000, v4
	s_xor_b32 s18, exec_lo, s18
	s_cbranch_execz .LBB15_986
; %bb.981:
	s_mov_b32 s19, exec_lo
                                        ; implicit-def: $vgpr3
	v_cmpx_lt_u32_e32 0x387fffff, v4
	s_xor_b32 s19, exec_lo, s19
; %bb.982:
	v_bfe_u32 v3, v2, 21, 1
	s_delay_alu instid0(VALU_DEP_1) | instskip(NEXT) | instid1(VALU_DEP_1)
	v_add3_u32 v3, v2, v3, 0x80fffff
	v_lshrrev_b32_e32 v3, 21, v3
; %bb.983:
	s_and_not1_saveexec_b32 s19, s19
; %bb.984:
	v_add_f32_e64 v3, 0x43000000, |v2|
; %bb.985:
	s_or_b32 exec_lo, exec_lo, s19
                                        ; implicit-def: $vgpr4
.LBB15_986:
	s_and_not1_saveexec_b32 s18, s18
; %bb.987:
	v_mov_b32_e32 v3, 0x7f
	v_cmp_lt_u32_e32 vcc_lo, 0x7f800000, v4
	s_delay_alu instid0(VALU_DEP_2)
	v_cndmask_b32_e32 v3, 0x7c, v3, vcc_lo
; %bb.988:
	s_or_b32 exec_lo, exec_lo, s18
	v_lshrrev_b32_e32 v4, 24, v2
	s_delay_alu instid0(VALU_DEP_1)
	v_and_or_b32 v3, 0x80, v4, v3
	global_store_b8 v[0:1], v3, off
.LBB15_989:
	s_mov_b32 s18, 0
.LBB15_990:
	s_delay_alu instid0(SALU_CYCLE_1)
	s_and_not1_b32 vcc_lo, exec_lo, s18
	s_mov_b32 s18, 0
	s_cbranch_vccnz .LBB15_998
; %bb.991:
	v_cmp_lt_i16_e32 vcc_lo, 14, v5
	s_mov_b32 s18, -1
	s_cbranch_vccz .LBB15_995
; %bb.992:
	v_cmp_eq_u16_e32 vcc_lo, 15, v5
	s_mov_b32 s0, -1
	s_cbranch_vccz .LBB15_994
; %bb.993:
	v_bfe_u32 v3, v2, 16, 1
	v_cmp_o_f32_e32 vcc_lo, v2, v2
	s_mov_b32 s0, 0
	s_delay_alu instid0(VALU_DEP_2) | instskip(NEXT) | instid1(VALU_DEP_1)
	v_add3_u32 v3, v2, v3, 0x7fff
	v_lshrrev_b32_e32 v3, 16, v3
	s_delay_alu instid0(VALU_DEP_1)
	v_cndmask_b32_e32 v3, 0x7fc0, v3, vcc_lo
	global_store_b16 v[0:1], v3, off
.LBB15_994:
	s_mov_b32 s18, 0
.LBB15_995:
	s_delay_alu instid0(SALU_CYCLE_1)
	s_and_b32 vcc_lo, exec_lo, s18
	s_mov_b32 s18, 0
	s_cbranch_vccz .LBB15_998
; %bb.996:
	v_cmp_ne_u16_e32 vcc_lo, 11, v5
	s_and_not1_b32 s0, s0, exec_lo
	s_mov_b32 s18, -1
	s_and_b32 s19, vcc_lo, exec_lo
	s_delay_alu instid0(SALU_CYCLE_1)
	s_or_b32 s0, s0, s19
	s_branch .LBB15_998
.LBB15_997:
	s_mov_b32 s18, 0
.LBB15_998:
	s_and_not1_b32 s14, s14, exec_lo
	s_and_b32 s0, s0, exec_lo
	s_and_b32 s17, s17, exec_lo
	;; [unrolled: 1-line block ×3, first 2 shown]
	s_or_b32 s14, s14, s0
.LBB15_999:
	s_or_b32 exec_lo, exec_lo, s15
	s_and_saveexec_b32 s0, s14
	s_cbranch_execnz .LBB15_1061
; %bb.1000:
	s_or_b32 exec_lo, exec_lo, s0
	s_and_saveexec_b32 s0, s18
	s_delay_alu instid0(SALU_CYCLE_1)
	s_xor_b32 s0, exec_lo, s0
	s_cbranch_execz .LBB15_1002
.LBB15_1001:
	s_waitcnt vmcnt(0)
	v_cmp_neq_f32_e32 vcc_lo, 0, v2
	v_cndmask_b32_e64 v3, 0, 1, vcc_lo
	global_store_b8 v[0:1], v3, off
.LBB15_1002:
	s_or_b32 exec_lo, exec_lo, s0
	s_and_saveexec_b32 s0, s17
	s_delay_alu instid0(SALU_CYCLE_1)
	s_xor_b32 s0, exec_lo, s0
	s_cbranch_execz .LBB15_1040
; %bb.1003:
	v_cmp_gt_i16_e32 vcc_lo, 5, v5
	s_mov_b32 s14, -1
	s_cbranch_vccnz .LBB15_1024
; %bb.1004:
	v_cmp_gt_i16_e32 vcc_lo, 8, v5
	s_cbranch_vccnz .LBB15_1014
; %bb.1005:
	v_cmp_gt_i16_e32 vcc_lo, 9, v5
	s_cbranch_vccnz .LBB15_1011
; %bb.1006:
	v_cmp_lt_i16_e32 vcc_lo, 9, v5
	s_cbranch_vccz .LBB15_1008
; %bb.1007:
	s_waitcnt vmcnt(0)
	v_cvt_f64_f32_e32 v[6:7], v2
	v_mov_b32_e32 v8, 0
	s_mov_b32 s14, 0
	s_delay_alu instid0(VALU_DEP_1)
	v_mov_b32_e32 v9, v8
	global_store_b128 v[0:1], v[6:9], off
.LBB15_1008:
	s_and_not1_b32 vcc_lo, exec_lo, s14
	s_cbranch_vccnz .LBB15_1010
; %bb.1009:
	s_waitcnt vmcnt(0)
	v_mov_b32_e32 v3, 0
	global_store_b64 v[0:1], v[2:3], off
.LBB15_1010:
	s_mov_b32 s14, 0
.LBB15_1011:
	s_delay_alu instid0(SALU_CYCLE_1)
	s_and_not1_b32 vcc_lo, exec_lo, s14
	s_cbranch_vccnz .LBB15_1013
; %bb.1012:
	s_waitcnt vmcnt(0)
	v_cvt_f16_f32_e32 v3, v2
	s_delay_alu instid0(VALU_DEP_1)
	v_and_b32_e32 v3, 0xffff, v3
	global_store_b32 v[0:1], v3, off
.LBB15_1013:
	s_mov_b32 s14, 0
.LBB15_1014:
	s_delay_alu instid0(SALU_CYCLE_1)
	s_and_not1_b32 vcc_lo, exec_lo, s14
	s_cbranch_vccnz .LBB15_1023
; %bb.1015:
	v_cmp_gt_i16_e32 vcc_lo, 6, v5
	s_mov_b32 s14, -1
	s_cbranch_vccnz .LBB15_1021
; %bb.1016:
	v_cmp_lt_i16_e32 vcc_lo, 6, v5
	s_cbranch_vccz .LBB15_1018
; %bb.1017:
	s_waitcnt vmcnt(0)
	v_cvt_f64_f32_e32 v[3:4], v2
	s_mov_b32 s14, 0
	global_store_b64 v[0:1], v[3:4], off
.LBB15_1018:
	s_and_not1_b32 vcc_lo, exec_lo, s14
	s_cbranch_vccnz .LBB15_1020
; %bb.1019:
	s_waitcnt vmcnt(0)
	global_store_b32 v[0:1], v2, off
.LBB15_1020:
	s_mov_b32 s14, 0
.LBB15_1021:
	s_delay_alu instid0(SALU_CYCLE_1)
	s_and_not1_b32 vcc_lo, exec_lo, s14
	s_cbranch_vccnz .LBB15_1023
; %bb.1022:
	s_waitcnt vmcnt(0)
	v_cvt_f16_f32_e32 v3, v2
	global_store_b16 v[0:1], v3, off
.LBB15_1023:
	s_mov_b32 s14, 0
.LBB15_1024:
	s_delay_alu instid0(SALU_CYCLE_1)
	s_and_not1_b32 vcc_lo, exec_lo, s14
	s_cbranch_vccnz .LBB15_1040
; %bb.1025:
	v_cmp_gt_i16_e32 vcc_lo, 2, v5
	s_mov_b32 s14, -1
	s_cbranch_vccnz .LBB15_1035
; %bb.1026:
	v_cmp_gt_i16_e32 vcc_lo, 3, v5
	s_cbranch_vccnz .LBB15_1032
; %bb.1027:
	v_cmp_lt_i16_e32 vcc_lo, 3, v5
	s_cbranch_vccz .LBB15_1029
; %bb.1028:
	s_waitcnt vmcnt(0)
	v_trunc_f32_e32 v3, v2
	s_mov_b32 s14, 0
	s_delay_alu instid0(VALU_DEP_1) | instskip(SKIP_1) | instid1(VALU_DEP_2)
	v_mul_f32_e64 v4, 0x2f800000, |v3|
	v_ashrrev_i32_e32 v7, 31, v3
	v_floor_f32_e32 v4, v4
	s_delay_alu instid0(VALU_DEP_1) | instskip(SKIP_1) | instid1(VALU_DEP_2)
	v_fma_f32 v6, 0xcf800000, v4, |v3|
	v_cvt_u32_f32_e32 v4, v4
	v_cvt_u32_f32_e32 v3, v6
	s_delay_alu instid0(VALU_DEP_2) | instskip(NEXT) | instid1(VALU_DEP_2)
	v_xor_b32_e32 v4, v4, v7
	v_xor_b32_e32 v3, v3, v7
	s_delay_alu instid0(VALU_DEP_1) | instskip(NEXT) | instid1(VALU_DEP_3)
	v_sub_co_u32 v3, vcc_lo, v3, v7
	v_sub_co_ci_u32_e32 v4, vcc_lo, v4, v7, vcc_lo
	global_store_b64 v[0:1], v[3:4], off
.LBB15_1029:
	s_and_not1_b32 vcc_lo, exec_lo, s14
	s_cbranch_vccnz .LBB15_1031
; %bb.1030:
	s_waitcnt vmcnt(0)
	v_cvt_i32_f32_e32 v3, v2
	global_store_b32 v[0:1], v3, off
.LBB15_1031:
	s_mov_b32 s14, 0
.LBB15_1032:
	s_delay_alu instid0(SALU_CYCLE_1)
	s_and_not1_b32 vcc_lo, exec_lo, s14
	s_cbranch_vccnz .LBB15_1034
; %bb.1033:
	s_waitcnt vmcnt(0)
	v_cvt_i32_f32_e32 v3, v2
	global_store_b16 v[0:1], v3, off
.LBB15_1034:
	s_mov_b32 s14, 0
.LBB15_1035:
	s_delay_alu instid0(SALU_CYCLE_1)
	s_and_not1_b32 vcc_lo, exec_lo, s14
	s_cbranch_vccnz .LBB15_1040
; %bb.1036:
	v_cmp_lt_i16_e32 vcc_lo, 0, v5
	s_mov_b32 s14, -1
	s_cbranch_vccz .LBB15_1038
; %bb.1037:
	s_waitcnt vmcnt(0)
	v_cvt_i32_f32_e32 v3, v2
	s_mov_b32 s14, 0
	global_store_b8 v[0:1], v3, off
.LBB15_1038:
	s_and_not1_b32 vcc_lo, exec_lo, s14
	s_cbranch_vccnz .LBB15_1040
; %bb.1039:
	s_waitcnt vmcnt(0)
	v_trunc_f32_e32 v2, v2
	s_delay_alu instid0(VALU_DEP_1) | instskip(NEXT) | instid1(VALU_DEP_1)
	v_mul_f32_e64 v3, 0x2f800000, |v2|
	v_floor_f32_e32 v3, v3
	s_delay_alu instid0(VALU_DEP_1) | instskip(SKIP_1) | instid1(VALU_DEP_2)
	v_fma_f32 v3, 0xcf800000, v3, |v2|
	v_ashrrev_i32_e32 v2, 31, v2
	v_cvt_u32_f32_e32 v3, v3
	s_delay_alu instid0(VALU_DEP_1) | instskip(NEXT) | instid1(VALU_DEP_1)
	v_xor_b32_e32 v3, v3, v2
	v_sub_nc_u32_e32 v2, v3, v2
	global_store_b8 v[0:1], v2, off
.LBB15_1040:
	s_or_b32 exec_lo, exec_lo, s0
	s_delay_alu instid0(SALU_CYCLE_1)
	s_and_b32 s14, s16, exec_lo
                                        ; implicit-def: $vgpr4
                                        ; implicit-def: $vgpr5
.LBB15_1041:
	s_or_saveexec_b32 s13, s13
	s_mov_b32 s0, 0
                                        ; implicit-def: $vgpr6
                                        ; implicit-def: $vgpr0_vgpr1
                                        ; implicit-def: $vgpr2
	s_xor_b32 exec_lo, exec_lo, s13
	s_cbranch_execz .LBB15_2014
; %bb.1042:
	v_mul_lo_u32 v6, s3, v4
	v_cmp_gt_i16_e32 vcc_lo, 11, v5
	s_delay_alu instid0(VALU_DEP_2) | instskip(SKIP_1) | instid1(VALU_DEP_1)
	v_ashrrev_i32_e32 v1, 31, v6
	v_add_co_u32 v0, s0, s6, v6
	v_add_co_ci_u32_e64 v1, s0, s7, v1, s0
	s_cbranch_vccnz .LBB15_1049
; %bb.1043:
	v_cmp_lt_i16_e32 vcc_lo, 25, v5
	s_mov_b32 s15, 0
	s_cbranch_vccz .LBB15_1055
; %bb.1044:
	v_cmp_lt_i16_e32 vcc_lo, 28, v5
	s_cbranch_vccz .LBB15_1057
; %bb.1045:
	v_cmp_lt_i16_e32 vcc_lo, 43, v5
	s_cbranch_vccz .LBB15_1059
; %bb.1046:
	v_cmp_lt_i16_e32 vcc_lo, 45, v5
	s_cbranch_vccz .LBB15_1063
; %bb.1047:
	v_cmp_eq_u16_e32 vcc_lo, 46, v5
	s_cbranch_vccz .LBB15_1103
; %bb.1048:
	global_load_b32 v2, v[0:1], off
	s_mov_b32 s0, 0
	s_mov_b32 s16, -1
	s_waitcnt vmcnt(0)
	v_lshlrev_b32_e32 v2, 16, v2
	s_branch .LBB15_1105
.LBB15_1049:
	s_mov_b32 s16, 0
	s_mov_b32 s1, s14
                                        ; implicit-def: $vgpr2
	s_cbranch_execz .LBB15_1168
; %bb.1050:
	v_cmp_gt_i16_e32 vcc_lo, 5, v5
	s_cbranch_vccnz .LBB15_1056
; %bb.1051:
	v_cmp_gt_i16_e32 vcc_lo, 8, v5
	s_cbranch_vccnz .LBB15_1058
	;; [unrolled: 3-line block ×3, first 2 shown]
; %bb.1053:
	v_cmp_lt_i16_e32 vcc_lo, 9, v5
	s_cbranch_vccz .LBB15_1064
; %bb.1054:
	global_load_b64 v[2:3], v[0:1], off
	s_mov_b32 s0, 0
	s_waitcnt vmcnt(0)
	v_cvt_f32_f64_e32 v2, v[2:3]
	s_branch .LBB15_1065
.LBB15_1055:
	s_mov_b32 s16, 0
	s_mov_b32 s0, 0
                                        ; implicit-def: $vgpr2
	s_cbranch_execnz .LBB15_1133
	s_branch .LBB15_1164
.LBB15_1056:
                                        ; implicit-def: $vgpr2
	s_branch .LBB15_1082
.LBB15_1057:
	s_mov_b32 s1, -1
	s_mov_b32 s16, 0
	s_mov_b32 s0, 0
                                        ; implicit-def: $vgpr2
	s_branch .LBB15_1114
.LBB15_1058:
                                        ; implicit-def: $vgpr2
	s_branch .LBB15_1071
.LBB15_1059:
	s_mov_b32 s16, 0
	s_mov_b32 s0, 0
                                        ; implicit-def: $vgpr2
	s_cbranch_execnz .LBB15_1110
	s_branch .LBB15_1113
.LBB15_1060:
	s_mov_b32 s0, -1
                                        ; implicit-def: $vgpr2
	s_branch .LBB15_1068
.LBB15_1061:
	s_cbranch_execnz .LBB15_1101
; %bb.1062:
	s_or_b32 s16, s16, exec_lo
	s_and_not1_b32 s18, s18, exec_lo
	s_or_b32 exec_lo, exec_lo, s0
	s_and_saveexec_b32 s0, s18
	s_delay_alu instid0(SALU_CYCLE_1)
	s_xor_b32 s0, exec_lo, s0
	s_cbranch_execnz .LBB15_1001
	s_branch .LBB15_1002
.LBB15_1063:
	s_mov_b32 s1, -1
	s_mov_b32 s16, 0
	s_mov_b32 s0, 0
	s_branch .LBB15_1104
.LBB15_1064:
	s_mov_b32 s0, -1
                                        ; implicit-def: $vgpr2
.LBB15_1065:
	s_delay_alu instid0(SALU_CYCLE_1)
	s_and_not1_b32 vcc_lo, exec_lo, s0
	s_cbranch_vccnz .LBB15_1067
; %bb.1066:
	global_load_b32 v2, v[0:1], off
.LBB15_1067:
	s_mov_b32 s0, 0
.LBB15_1068:
	s_delay_alu instid0(SALU_CYCLE_1)
	s_and_not1_b32 vcc_lo, exec_lo, s0
	s_cbranch_vccnz .LBB15_1070
; %bb.1069:
	global_load_b32 v2, v[0:1], off
	s_waitcnt vmcnt(0)
	v_cvt_f32_f16_e32 v2, v2
.LBB15_1070:
	s_cbranch_execnz .LBB15_1081
.LBB15_1071:
	v_cmp_gt_i16_e32 vcc_lo, 6, v5
	s_cbranch_vccnz .LBB15_1074
; %bb.1072:
	v_cmp_lt_i16_e32 vcc_lo, 6, v5
	s_cbranch_vccz .LBB15_1075
; %bb.1073:
	global_load_b64 v[2:3], v[0:1], off
	s_mov_b32 s0, 0
	s_waitcnt vmcnt(0)
	v_cvt_f32_f64_e32 v2, v[2:3]
	s_branch .LBB15_1076
.LBB15_1074:
	s_mov_b32 s0, -1
                                        ; implicit-def: $vgpr2
	s_branch .LBB15_1079
.LBB15_1075:
	s_mov_b32 s0, -1
                                        ; implicit-def: $vgpr2
.LBB15_1076:
	s_delay_alu instid0(SALU_CYCLE_1)
	s_and_not1_b32 vcc_lo, exec_lo, s0
	s_cbranch_vccnz .LBB15_1078
; %bb.1077:
	global_load_b32 v2, v[0:1], off
.LBB15_1078:
	s_mov_b32 s0, 0
.LBB15_1079:
	s_delay_alu instid0(SALU_CYCLE_1)
	s_and_not1_b32 vcc_lo, exec_lo, s0
	s_cbranch_vccnz .LBB15_1081
; %bb.1080:
	global_load_u16 v2, v[0:1], off
	s_waitcnt vmcnt(0)
	v_cvt_f32_f16_e32 v2, v2
.LBB15_1081:
	s_cbranch_execnz .LBB15_1100
.LBB15_1082:
	v_cmp_gt_i16_e32 vcc_lo, 2, v5
	s_cbranch_vccnz .LBB15_1086
; %bb.1083:
	v_cmp_gt_i16_e32 vcc_lo, 3, v5
	s_cbranch_vccnz .LBB15_1087
; %bb.1084:
	v_cmp_lt_i16_e32 vcc_lo, 3, v5
	s_cbranch_vccz .LBB15_1088
; %bb.1085:
	global_load_b64 v[2:3], v[0:1], off
	s_mov_b32 s0, 0
	s_waitcnt vmcnt(0)
	v_xor_b32_e32 v7, v2, v3
	v_cls_i32_e32 v8, v3
	s_delay_alu instid0(VALU_DEP_2) | instskip(NEXT) | instid1(VALU_DEP_2)
	v_ashrrev_i32_e32 v7, 31, v7
	v_add_nc_u32_e32 v8, -1, v8
	s_delay_alu instid0(VALU_DEP_2) | instskip(NEXT) | instid1(VALU_DEP_1)
	v_add_nc_u32_e32 v7, 32, v7
	v_min_u32_e32 v7, v8, v7
	s_delay_alu instid0(VALU_DEP_1) | instskip(NEXT) | instid1(VALU_DEP_1)
	v_lshlrev_b64 v[2:3], v7, v[2:3]
	v_min_u32_e32 v2, 1, v2
	s_delay_alu instid0(VALU_DEP_1) | instskip(SKIP_1) | instid1(VALU_DEP_2)
	v_or_b32_e32 v2, v3, v2
	v_sub_nc_u32_e32 v3, 32, v7
	v_cvt_f32_i32_e32 v2, v2
	s_delay_alu instid0(VALU_DEP_1)
	v_ldexp_f32 v2, v2, v3
	s_branch .LBB15_1089
.LBB15_1086:
                                        ; implicit-def: $vgpr2
	s_branch .LBB15_1095
.LBB15_1087:
	s_mov_b32 s0, -1
                                        ; implicit-def: $vgpr2
	s_branch .LBB15_1092
.LBB15_1088:
	s_mov_b32 s0, -1
                                        ; implicit-def: $vgpr2
.LBB15_1089:
	s_delay_alu instid0(SALU_CYCLE_1)
	s_and_not1_b32 vcc_lo, exec_lo, s0
	s_cbranch_vccnz .LBB15_1091
; %bb.1090:
	global_load_b32 v2, v[0:1], off
	s_waitcnt vmcnt(0)
	v_cvt_f32_i32_e32 v2, v2
.LBB15_1091:
	s_mov_b32 s0, 0
.LBB15_1092:
	s_delay_alu instid0(SALU_CYCLE_1)
	s_and_not1_b32 vcc_lo, exec_lo, s0
	s_cbranch_vccnz .LBB15_1094
; %bb.1093:
	global_load_i16 v2, v[0:1], off
	s_waitcnt vmcnt(0)
	v_cvt_f32_i32_e32 v2, v2
.LBB15_1094:
	s_cbranch_execnz .LBB15_1100
.LBB15_1095:
	v_cmp_lt_i16_e32 vcc_lo, 0, v5
	s_mov_b32 s0, 0
	s_cbranch_vccz .LBB15_1097
; %bb.1096:
	global_load_i8 v2, v[0:1], off
	s_waitcnt vmcnt(0)
	v_cvt_f32_i32_e32 v2, v2
	s_branch .LBB15_1098
.LBB15_1097:
	s_mov_b32 s0, -1
                                        ; implicit-def: $vgpr2
.LBB15_1098:
	s_delay_alu instid0(SALU_CYCLE_1)
	s_and_not1_b32 vcc_lo, exec_lo, s0
	s_cbranch_vccnz .LBB15_1100
; %bb.1099:
	global_load_u8 v0, v[0:1], off
	s_waitcnt vmcnt(0)
	v_cvt_f32_ubyte0_e32 v2, v0
.LBB15_1100:
	s_branch .LBB15_1169
.LBB15_1101:
	s_trap 2
	s_sendmsg_rtn_b32 s0, sendmsg(MSG_RTN_GET_DOORBELL)
	s_mov_b32 ttmp2, m0
	s_waitcnt lgkmcnt(0)
	s_and_b32 s0, s0, 0x3ff
	s_delay_alu instid0(SALU_CYCLE_1) | instskip(NEXT) | instid1(SALU_CYCLE_1)
	s_bitset1_b32 s0, 10
	s_mov_b32 m0, s0
	s_sendmsg sendmsg(MSG_INTERRUPT)
	s_mov_b32 m0, ttmp2
.LBB15_1102:                            ; =>This Inner Loop Header: Depth=1
	s_sethalt 5
	s_branch .LBB15_1102
.LBB15_1103:
	s_mov_b32 s0, -1
	s_mov_b32 s16, 0
.LBB15_1104:
                                        ; implicit-def: $vgpr2
.LBB15_1105:
	s_and_b32 vcc_lo, exec_lo, s1
	s_cbranch_vccz .LBB15_1108
; %bb.1106:
	v_cmp_eq_u16_e32 vcc_lo, 44, v5
	s_cbranch_vccz .LBB15_1109
; %bb.1107:
	global_load_u8 v2, v[0:1], off
	s_mov_b32 s0, 0
	s_mov_b32 s16, -1
	s_waitcnt vmcnt(0)
	v_lshlrev_b32_e32 v3, 23, v2
	v_cmp_ne_u32_e32 vcc_lo, 0xff, v2
	s_delay_alu instid0(VALU_DEP_2) | instskip(SKIP_1) | instid1(VALU_DEP_2)
	v_cndmask_b32_e32 v3, 0x7f800001, v3, vcc_lo
	v_cmp_ne_u32_e32 vcc_lo, 0, v2
	v_cndmask_b32_e32 v2, 0x400000, v3, vcc_lo
.LBB15_1108:
	s_branch .LBB15_1113
.LBB15_1109:
	s_mov_b32 s0, -1
                                        ; implicit-def: $vgpr2
	s_branch .LBB15_1113
.LBB15_1110:
	v_cmp_eq_u16_e32 vcc_lo, 29, v5
	s_cbranch_vccz .LBB15_1112
; %bb.1111:
	global_load_b64 v[2:3], v[0:1], off
	s_mov_b32 s0, 0
	s_mov_b32 s16, -1
	s_mov_b32 s1, 0
	s_waitcnt vmcnt(0)
	v_clz_i32_u32_e32 v7, v3
	s_delay_alu instid0(VALU_DEP_1) | instskip(NEXT) | instid1(VALU_DEP_1)
	v_min_u32_e32 v7, 32, v7
	v_lshlrev_b64 v[2:3], v7, v[2:3]
	s_delay_alu instid0(VALU_DEP_1) | instskip(NEXT) | instid1(VALU_DEP_1)
	v_min_u32_e32 v2, 1, v2
	v_or_b32_e32 v2, v3, v2
	v_sub_nc_u32_e32 v3, 32, v7
	s_delay_alu instid0(VALU_DEP_2) | instskip(NEXT) | instid1(VALU_DEP_1)
	v_cvt_f32_u32_e32 v2, v2
	v_ldexp_f32 v2, v2, v3
	s_branch .LBB15_1114
.LBB15_1112:
	s_mov_b32 s0, -1
                                        ; implicit-def: $vgpr2
.LBB15_1113:
	s_mov_b32 s1, 0
.LBB15_1114:
	s_delay_alu instid0(SALU_CYCLE_1)
	s_and_b32 vcc_lo, exec_lo, s1
	s_cbranch_vccz .LBB15_1132
; %bb.1115:
	v_cmp_gt_i16_e32 vcc_lo, 27, v5
	s_cbranch_vccnz .LBB15_1118
; %bb.1116:
	v_cmp_lt_i16_e32 vcc_lo, 27, v5
	s_cbranch_vccz .LBB15_1119
; %bb.1117:
	global_load_b32 v2, v[0:1], off
	s_mov_b32 s1, 0
	s_waitcnt vmcnt(0)
	v_cvt_f32_u32_e32 v2, v2
	s_branch .LBB15_1120
.LBB15_1118:
	s_mov_b32 s1, -1
                                        ; implicit-def: $vgpr2
	s_branch .LBB15_1123
.LBB15_1119:
	s_mov_b32 s1, -1
                                        ; implicit-def: $vgpr2
.LBB15_1120:
	s_delay_alu instid0(SALU_CYCLE_1)
	s_and_not1_b32 vcc_lo, exec_lo, s1
	s_cbranch_vccnz .LBB15_1122
; %bb.1121:
	global_load_u16 v2, v[0:1], off
	s_waitcnt vmcnt(0)
	v_cvt_f32_u32_e32 v2, v2
.LBB15_1122:
	s_mov_b32 s1, 0
.LBB15_1123:
	s_delay_alu instid0(SALU_CYCLE_1)
	s_and_not1_b32 vcc_lo, exec_lo, s1
	s_cbranch_vccnz .LBB15_1131
; %bb.1124:
	global_load_u8 v3, v[0:1], off
	s_mov_b32 s1, 0
	s_mov_b32 s17, exec_lo
                                        ; implicit-def: $sgpr16
	s_waitcnt vmcnt(0)
	v_cmpx_lt_i16_e32 0x7f, v3
	s_xor_b32 s17, exec_lo, s17
	s_cbranch_execz .LBB15_1144
; %bb.1125:
	s_mov_b32 s1, -1
	s_mov_b32 s18, exec_lo
                                        ; implicit-def: $sgpr16
	v_cmpx_eq_u16_e32 0x80, v3
; %bb.1126:
	s_mov_b32 s16, 0x7f800001
	s_xor_b32 s1, exec_lo, -1
; %bb.1127:
	s_or_b32 exec_lo, exec_lo, s18
	s_delay_alu instid0(SALU_CYCLE_1)
	s_and_b32 s1, s1, exec_lo
	s_or_saveexec_b32 s17, s17
	v_mov_b32_e32 v2, s16
	s_xor_b32 exec_lo, exec_lo, s17
	s_cbranch_execnz .LBB15_1145
.LBB15_1128:
	s_or_b32 exec_lo, exec_lo, s17
	s_and_saveexec_b32 s16, s1
	s_cbranch_execz .LBB15_1130
.LBB15_1129:
	v_and_b32_e32 v2, 0xffff, v3
	v_lshlrev_b32_e32 v3, 24, v3
	s_delay_alu instid0(VALU_DEP_2) | instskip(NEXT) | instid1(VALU_DEP_2)
	v_and_b32_e32 v7, 7, v2
	v_and_b32_e32 v3, 0x80000000, v3
	s_delay_alu instid0(VALU_DEP_2) | instskip(NEXT) | instid1(VALU_DEP_1)
	v_clz_i32_u32_e32 v8, v7
	v_min_u32_e32 v8, 32, v8
	s_delay_alu instid0(VALU_DEP_1) | instskip(SKIP_1) | instid1(VALU_DEP_2)
	v_subrev_nc_u32_e32 v9, 28, v8
	v_sub_nc_u32_e32 v8, 29, v8
	v_lshlrev_b32_e32 v9, v9, v2
	v_bfe_u32 v2, v2, 3, 4
	s_delay_alu instid0(VALU_DEP_2) | instskip(NEXT) | instid1(VALU_DEP_2)
	v_and_b32_e32 v9, 7, v9
	v_cmp_eq_u32_e32 vcc_lo, 0, v2
	s_delay_alu instid0(VALU_DEP_2) | instskip(NEXT) | instid1(VALU_DEP_1)
	v_dual_cndmask_b32 v2, v2, v8 :: v_dual_cndmask_b32 v7, v7, v9
	v_lshl_add_u32 v2, v2, 23, 0x3b800000
	s_delay_alu instid0(VALU_DEP_2) | instskip(NEXT) | instid1(VALU_DEP_1)
	v_lshlrev_b32_e32 v7, 20, v7
	v_or3_b32 v2, v3, v2, v7
.LBB15_1130:
	s_or_b32 exec_lo, exec_lo, s16
.LBB15_1131:
	s_mov_b32 s16, -1
.LBB15_1132:
	s_branch .LBB15_1164
.LBB15_1133:
	v_cmp_lt_i16_e32 vcc_lo, 22, v5
	s_cbranch_vccz .LBB15_1143
; %bb.1134:
	v_cmp_gt_i16_e32 vcc_lo, 24, v5
	s_cbranch_vccnz .LBB15_1146
; %bb.1135:
	v_cmp_lt_i16_e32 vcc_lo, 24, v5
	s_cbranch_vccz .LBB15_1147
; %bb.1136:
	global_load_u8 v3, v[0:1], off
	s_mov_b32 s1, 0
	s_mov_b32 s16, exec_lo
                                        ; implicit-def: $sgpr15
	s_waitcnt vmcnt(0)
	v_cmpx_lt_i16_e32 0x7f, v3
	s_xor_b32 s16, exec_lo, s16
	s_cbranch_execz .LBB15_1158
; %bb.1137:
	s_mov_b32 s1, -1
	s_mov_b32 s17, exec_lo
                                        ; implicit-def: $sgpr15
	v_cmpx_eq_u16_e32 0x80, v3
; %bb.1138:
	s_mov_b32 s15, 0x7f800001
	s_xor_b32 s1, exec_lo, -1
; %bb.1139:
	s_or_b32 exec_lo, exec_lo, s17
	s_delay_alu instid0(SALU_CYCLE_1)
	s_and_b32 s1, s1, exec_lo
	s_or_saveexec_b32 s16, s16
	v_mov_b32_e32 v2, s15
	s_xor_b32 exec_lo, exec_lo, s16
	s_cbranch_execnz .LBB15_1159
.LBB15_1140:
	s_or_b32 exec_lo, exec_lo, s16
	s_and_saveexec_b32 s15, s1
	s_cbranch_execz .LBB15_1142
.LBB15_1141:
	v_and_b32_e32 v2, 0xffff, v3
	v_lshlrev_b32_e32 v3, 24, v3
	s_delay_alu instid0(VALU_DEP_2) | instskip(NEXT) | instid1(VALU_DEP_2)
	v_and_b32_e32 v7, 3, v2
	v_and_b32_e32 v3, 0x80000000, v3
	s_delay_alu instid0(VALU_DEP_2) | instskip(NEXT) | instid1(VALU_DEP_1)
	v_clz_i32_u32_e32 v8, v7
	v_min_u32_e32 v8, 32, v8
	s_delay_alu instid0(VALU_DEP_1) | instskip(SKIP_1) | instid1(VALU_DEP_2)
	v_subrev_nc_u32_e32 v9, 29, v8
	v_sub_nc_u32_e32 v8, 30, v8
	v_lshlrev_b32_e32 v9, v9, v2
	v_bfe_u32 v2, v2, 2, 5
	s_delay_alu instid0(VALU_DEP_2) | instskip(NEXT) | instid1(VALU_DEP_2)
	v_and_b32_e32 v9, 3, v9
	v_cmp_eq_u32_e32 vcc_lo, 0, v2
	s_delay_alu instid0(VALU_DEP_2) | instskip(NEXT) | instid1(VALU_DEP_1)
	v_dual_cndmask_b32 v2, v2, v8 :: v_dual_cndmask_b32 v7, v7, v9
	v_lshl_add_u32 v2, v2, 23, 0x37800000
	s_delay_alu instid0(VALU_DEP_2) | instskip(NEXT) | instid1(VALU_DEP_1)
	v_lshlrev_b32_e32 v7, 21, v7
	v_or3_b32 v2, v3, v2, v7
.LBB15_1142:
	s_or_b32 exec_lo, exec_lo, s15
	s_mov_b32 s1, 0
	s_branch .LBB15_1148
.LBB15_1143:
                                        ; implicit-def: $vgpr2
	s_mov_b32 s15, 0
	s_branch .LBB15_1154
.LBB15_1144:
	s_or_saveexec_b32 s17, s17
	v_mov_b32_e32 v2, s16
	s_xor_b32 exec_lo, exec_lo, s17
	s_cbranch_execz .LBB15_1128
.LBB15_1145:
	v_cmp_ne_u16_e32 vcc_lo, 0, v3
	v_mov_b32_e32 v2, 0
	s_and_not1_b32 s1, s1, exec_lo
	s_and_b32 s16, vcc_lo, exec_lo
	s_delay_alu instid0(SALU_CYCLE_1)
	s_or_b32 s1, s1, s16
	s_or_b32 exec_lo, exec_lo, s17
	s_and_saveexec_b32 s16, s1
	s_cbranch_execnz .LBB15_1129
	s_branch .LBB15_1130
.LBB15_1146:
	s_mov_b32 s1, -1
                                        ; implicit-def: $vgpr2
	s_branch .LBB15_1151
.LBB15_1147:
	s_mov_b32 s1, -1
                                        ; implicit-def: $vgpr2
.LBB15_1148:
	s_delay_alu instid0(SALU_CYCLE_1)
	s_and_b32 vcc_lo, exec_lo, s1
	s_cbranch_vccz .LBB15_1150
; %bb.1149:
	global_load_u8 v2, v[0:1], off
	s_waitcnt vmcnt(0)
	v_lshlrev_b32_e32 v2, 24, v2
	s_delay_alu instid0(VALU_DEP_1) | instskip(NEXT) | instid1(VALU_DEP_1)
	v_and_b32_e32 v3, 0x7f000000, v2
	v_clz_i32_u32_e32 v7, v3
	v_add_nc_u32_e32 v9, 0x1000000, v3
	v_cmp_ne_u32_e32 vcc_lo, 0, v3
	s_delay_alu instid0(VALU_DEP_3) | instskip(NEXT) | instid1(VALU_DEP_1)
	v_min_u32_e32 v7, 32, v7
	v_sub_nc_u32_e64 v7, v7, 4 clamp
	s_delay_alu instid0(VALU_DEP_1) | instskip(SKIP_1) | instid1(VALU_DEP_2)
	v_lshlrev_b32_e32 v8, v7, v3
	v_lshlrev_b32_e32 v7, 23, v7
	v_lshrrev_b32_e32 v8, 4, v8
	s_delay_alu instid0(VALU_DEP_1) | instskip(SKIP_1) | instid1(VALU_DEP_2)
	v_sub_nc_u32_e32 v7, v8, v7
	v_ashrrev_i32_e32 v8, 8, v9
	v_add_nc_u32_e32 v7, 0x3c000000, v7
	s_delay_alu instid0(VALU_DEP_1) | instskip(NEXT) | instid1(VALU_DEP_1)
	v_and_or_b32 v7, 0x7f800000, v8, v7
	v_cndmask_b32_e32 v3, 0, v7, vcc_lo
	s_delay_alu instid0(VALU_DEP_1)
	v_and_or_b32 v2, 0x80000000, v2, v3
.LBB15_1150:
	s_mov_b32 s1, 0
.LBB15_1151:
	s_delay_alu instid0(SALU_CYCLE_1)
	s_and_not1_b32 vcc_lo, exec_lo, s1
	s_cbranch_vccnz .LBB15_1153
; %bb.1152:
	global_load_u8 v2, v[0:1], off
	s_waitcnt vmcnt(0)
	v_lshlrev_b32_e32 v3, 25, v2
	v_lshlrev_b16 v2, 8, v2
	s_delay_alu instid0(VALU_DEP_1) | instskip(SKIP_1) | instid1(VALU_DEP_2)
	v_and_or_b32 v8, 0x7f00, v2, 0.5
	v_bfe_i32 v2, v2, 0, 16
	v_add_f32_e32 v8, -0.5, v8
	v_lshrrev_b32_e32 v7, 4, v3
	v_cmp_gt_u32_e32 vcc_lo, 0x8000000, v3
	s_delay_alu instid0(VALU_DEP_2) | instskip(NEXT) | instid1(VALU_DEP_1)
	v_or_b32_e32 v7, 0x70000000, v7
	v_mul_f32_e32 v7, 0x7800000, v7
	s_delay_alu instid0(VALU_DEP_1) | instskip(NEXT) | instid1(VALU_DEP_1)
	v_cndmask_b32_e32 v3, v7, v8, vcc_lo
	v_and_or_b32 v2, 0x80000000, v2, v3
.LBB15_1153:
	s_mov_b32 s16, -1
	s_mov_b32 s15, 0
	s_cbranch_execnz .LBB15_1164
.LBB15_1154:
	v_cmp_lt_i16_e32 vcc_lo, 14, v5
	s_cbranch_vccz .LBB15_1157
; %bb.1155:
	v_cmp_eq_u16_e32 vcc_lo, 15, v5
	s_cbranch_vccz .LBB15_1160
; %bb.1156:
	global_load_u16 v2, v[0:1], off
	s_mov_b32 s0, 0
	s_mov_b32 s16, -1
	s_waitcnt vmcnt(0)
	v_lshlrev_b32_e32 v2, 16, v2
	s_branch .LBB15_1161
.LBB15_1157:
	s_mov_b32 s1, -1
                                        ; implicit-def: $vgpr2
	s_branch .LBB15_1162
.LBB15_1158:
	s_or_saveexec_b32 s16, s16
	v_mov_b32_e32 v2, s15
	s_xor_b32 exec_lo, exec_lo, s16
	s_cbranch_execz .LBB15_1140
.LBB15_1159:
	v_cmp_ne_u16_e32 vcc_lo, 0, v3
	v_mov_b32_e32 v2, 0
	s_and_not1_b32 s1, s1, exec_lo
	s_and_b32 s15, vcc_lo, exec_lo
	s_delay_alu instid0(SALU_CYCLE_1)
	s_or_b32 s1, s1, s15
	s_or_b32 exec_lo, exec_lo, s16
	s_and_saveexec_b32 s15, s1
	s_cbranch_execnz .LBB15_1141
	s_branch .LBB15_1142
.LBB15_1160:
	s_mov_b32 s0, -1
                                        ; implicit-def: $vgpr2
.LBB15_1161:
	s_mov_b32 s1, 0
.LBB15_1162:
	s_delay_alu instid0(SALU_CYCLE_1)
	s_and_b32 vcc_lo, exec_lo, s1
	s_cbranch_vccz .LBB15_1164
; %bb.1163:
	v_cmp_ne_u16_e64 s0, 11, v5
	s_mov_b32 s15, -1
                                        ; implicit-def: $vgpr2
.LBB15_1164:
	s_delay_alu instid0(VALU_DEP_1)
	s_and_b32 vcc_lo, exec_lo, s0
	s_mov_b32 s1, s14
	s_cbranch_vccnz .LBB15_1190
; %bb.1165:
	s_and_not1_b32 vcc_lo, exec_lo, s15
	s_cbranch_vccnz .LBB15_1167
.LBB15_1166:
	global_load_u8 v2, v[0:1], off
	s_mov_b32 s16, -1
	s_waitcnt vmcnt(0)
	v_cmp_ne_u16_e32 vcc_lo, 0, v2
	v_cndmask_b32_e64 v2, 0, 1.0, vcc_lo
.LBB15_1167:
.LBB15_1168:
	s_and_not1_b32 vcc_lo, exec_lo, s16
	s_cbranch_vccnz .LBB15_2012
.LBB15_1169:
	s_mov_b32 s0, exec_lo
	s_waitcnt vmcnt(0)
	s_delay_alu instid0(VALU_DEP_1)
	v_cmpx_nlg_f32_e64 0x7f800000, |v2|
	s_cbranch_execz .LBB15_1171
; %bb.1170:
	v_dual_mov_b32 v0, 0 :: v_dual_mov_b32 v1, 1.0
	global_store_b32 v0, v1, s[8:9]
.LBB15_1171:
	s_or_b32 exec_lo, exec_lo, s0
	v_mov_b32_e32 v0, 0
	s_lshl_b32 s3, s3, 7
	v_cmp_gt_i16_e32 vcc_lo, 11, v5
	v_add_nc_u32_e32 v6, s3, v6
	global_load_b32 v3, v0, s[10:11]
	v_ashrrev_i32_e32 v1, 31, v6
	v_add_co_u32 v0, s0, s6, v6
	s_delay_alu instid0(VALU_DEP_1)
	v_add_co_ci_u32_e64 v1, s0, s7, v1, s0
	s_cbranch_vccnz .LBB15_1178
; %bb.1172:
	v_cmp_lt_i16_e32 vcc_lo, 25, v5
	s_mov_b32 s15, 0
	s_cbranch_vccz .LBB15_1184
; %bb.1173:
	v_cmp_lt_i16_e32 vcc_lo, 28, v5
	s_cbranch_vccz .LBB15_1186
; %bb.1174:
	v_cmp_lt_i16_e32 vcc_lo, 43, v5
	;; [unrolled: 3-line block ×3, first 2 shown]
	s_cbranch_vccz .LBB15_1194
; %bb.1176:
	v_cmp_eq_u16_e32 vcc_lo, 46, v5
	s_mov_b32 s17, 0
	s_cbranch_vccz .LBB15_1238
; %bb.1177:
	global_load_b32 v7, v[0:1], off
	s_mov_b32 s0, 0
	s_mov_b32 s16, -1
	s_waitcnt vmcnt(0)
	v_lshlrev_b32_e32 v7, 16, v7
	s_branch .LBB15_1240
.LBB15_1178:
	s_mov_b32 s16, 0
                                        ; implicit-def: $vgpr7
	s_cbranch_execz .LBB15_1305
; %bb.1179:
	v_cmp_gt_i16_e32 vcc_lo, 5, v5
	s_cbranch_vccnz .LBB15_1185
; %bb.1180:
	v_cmp_gt_i16_e32 vcc_lo, 8, v5
	s_cbranch_vccnz .LBB15_1187
	;; [unrolled: 3-line block ×3, first 2 shown]
; %bb.1182:
	v_cmp_lt_i16_e32 vcc_lo, 9, v5
	s_cbranch_vccz .LBB15_1195
; %bb.1183:
	global_load_b64 v[7:8], v[0:1], off
	s_mov_b32 s0, 0
	s_waitcnt vmcnt(0)
	v_cvt_f32_f64_e32 v7, v[7:8]
	s_branch .LBB15_1196
.LBB15_1184:
	s_mov_b32 s16, 0
	s_mov_b32 s0, 0
                                        ; implicit-def: $vgpr7
	s_cbranch_execnz .LBB15_1269
	s_branch .LBB15_1301
.LBB15_1185:
                                        ; implicit-def: $vgpr7
	s_branch .LBB15_1214
.LBB15_1186:
	s_mov_b32 s17, -1
	s_mov_b32 s16, 0
	s_mov_b32 s0, 0
                                        ; implicit-def: $vgpr7
	s_branch .LBB15_1250
.LBB15_1187:
	s_mov_b32 s0, -1
                                        ; implicit-def: $vgpr7
	s_branch .LBB15_1202
.LBB15_1188:
	s_mov_b32 s17, -1
	s_mov_b32 s16, 0
	s_mov_b32 s0, 0
                                        ; implicit-def: $vgpr7
	s_branch .LBB15_1245
.LBB15_1189:
	s_mov_b32 s0, -1
                                        ; implicit-def: $vgpr7
	s_branch .LBB15_1199
.LBB15_1190:
	s_cbranch_execnz .LBB15_1234
; %bb.1191:
	s_or_b32 s1, s14, exec_lo
                                        ; implicit-def: $vgpr2
	s_cbranch_execz .LBB15_1166
	s_branch .LBB15_1167
.LBB15_1192:
	s_or_saveexec_b32 s19, s19
                                        ; implicit-def: $sgpr20
	s_delay_alu instid0(SALU_CYCLE_1)
	s_xor_b32 exec_lo, exec_lo, s19
	s_cbranch_execz .LBB15_952
.LBB15_1193:
	v_add_f32_e64 v3, 0x46000000, |v2|
	s_and_not1_b32 s18, s18, exec_lo
	s_mov_b32 s20, 0
	s_delay_alu instid0(VALU_DEP_1) | instskip(NEXT) | instid1(VALU_DEP_1)
	v_and_b32_e32 v3, 0xff, v3
	v_cmp_ne_u32_e32 vcc_lo, 0, v3
	s_and_b32 s21, vcc_lo, exec_lo
	s_delay_alu instid0(SALU_CYCLE_1)
	s_or_b32 s18, s18, s21
	s_or_b32 exec_lo, exec_lo, s19
	v_mov_b32_e32 v4, s20
	s_and_saveexec_b32 s19, s18
	s_cbranch_execnz .LBB15_953
	s_branch .LBB15_954
.LBB15_1194:
	s_mov_b32 s17, -1
	s_mov_b32 s16, 0
	s_mov_b32 s0, 0
	s_branch .LBB15_1239
.LBB15_1195:
	s_mov_b32 s0, -1
                                        ; implicit-def: $vgpr7
.LBB15_1196:
	s_delay_alu instid0(SALU_CYCLE_1)
	s_and_not1_b32 vcc_lo, exec_lo, s0
	s_cbranch_vccnz .LBB15_1198
; %bb.1197:
	global_load_b32 v7, v[0:1], off
.LBB15_1198:
	s_mov_b32 s0, 0
.LBB15_1199:
	s_delay_alu instid0(SALU_CYCLE_1)
	s_and_not1_b32 vcc_lo, exec_lo, s0
	s_cbranch_vccnz .LBB15_1201
; %bb.1200:
	global_load_b32 v7, v[0:1], off
	s_waitcnt vmcnt(0)
	v_cvt_f32_f16_e32 v7, v7
.LBB15_1201:
	s_mov_b32 s0, 0
.LBB15_1202:
	s_delay_alu instid0(SALU_CYCLE_1)
	s_and_not1_b32 vcc_lo, exec_lo, s0
	s_cbranch_vccnz .LBB15_1213
; %bb.1203:
	v_cmp_gt_i16_e32 vcc_lo, 6, v5
	s_cbranch_vccnz .LBB15_1206
; %bb.1204:
	v_cmp_lt_i16_e32 vcc_lo, 6, v5
	s_cbranch_vccz .LBB15_1207
; %bb.1205:
	global_load_b64 v[7:8], v[0:1], off
	s_mov_b32 s0, 0
	s_waitcnt vmcnt(0)
	v_cvt_f32_f64_e32 v7, v[7:8]
	s_branch .LBB15_1208
.LBB15_1206:
	s_mov_b32 s0, -1
                                        ; implicit-def: $vgpr7
	s_branch .LBB15_1211
.LBB15_1207:
	s_mov_b32 s0, -1
                                        ; implicit-def: $vgpr7
.LBB15_1208:
	s_delay_alu instid0(SALU_CYCLE_1)
	s_and_not1_b32 vcc_lo, exec_lo, s0
	s_cbranch_vccnz .LBB15_1210
; %bb.1209:
	global_load_b32 v7, v[0:1], off
.LBB15_1210:
	s_mov_b32 s0, 0
.LBB15_1211:
	s_delay_alu instid0(SALU_CYCLE_1)
	s_and_not1_b32 vcc_lo, exec_lo, s0
	s_cbranch_vccnz .LBB15_1213
; %bb.1212:
	global_load_u16 v7, v[0:1], off
	s_waitcnt vmcnt(0)
	v_cvt_f32_f16_e32 v7, v7
.LBB15_1213:
	s_cbranch_execnz .LBB15_1233
.LBB15_1214:
	v_cmp_gt_i16_e32 vcc_lo, 2, v5
	s_cbranch_vccnz .LBB15_1218
; %bb.1215:
	v_cmp_gt_i16_e32 vcc_lo, 3, v5
	s_cbranch_vccnz .LBB15_1219
; %bb.1216:
	v_cmp_lt_i16_e32 vcc_lo, 3, v5
	s_cbranch_vccz .LBB15_1220
; %bb.1217:
	global_load_b64 v[7:8], v[0:1], off
	s_mov_b32 s0, 0
	s_waitcnt vmcnt(0)
	v_xor_b32_e32 v9, v7, v8
	v_cls_i32_e32 v10, v8
	s_delay_alu instid0(VALU_DEP_2) | instskip(NEXT) | instid1(VALU_DEP_2)
	v_ashrrev_i32_e32 v9, 31, v9
	v_add_nc_u32_e32 v10, -1, v10
	s_delay_alu instid0(VALU_DEP_2) | instskip(NEXT) | instid1(VALU_DEP_1)
	v_add_nc_u32_e32 v9, 32, v9
	v_min_u32_e32 v9, v10, v9
	s_delay_alu instid0(VALU_DEP_1) | instskip(NEXT) | instid1(VALU_DEP_1)
	v_lshlrev_b64 v[7:8], v9, v[7:8]
	v_min_u32_e32 v7, 1, v7
	s_delay_alu instid0(VALU_DEP_1) | instskip(SKIP_1) | instid1(VALU_DEP_2)
	v_or_b32_e32 v7, v8, v7
	v_sub_nc_u32_e32 v8, 32, v9
	v_cvt_f32_i32_e32 v7, v7
	s_delay_alu instid0(VALU_DEP_1)
	v_ldexp_f32 v7, v7, v8
	s_branch .LBB15_1221
.LBB15_1218:
	s_mov_b32 s0, -1
                                        ; implicit-def: $vgpr7
	s_branch .LBB15_1227
.LBB15_1219:
	s_mov_b32 s0, -1
                                        ; implicit-def: $vgpr7
	s_branch .LBB15_1224
.LBB15_1220:
	s_mov_b32 s0, -1
                                        ; implicit-def: $vgpr7
.LBB15_1221:
	s_delay_alu instid0(SALU_CYCLE_1)
	s_and_not1_b32 vcc_lo, exec_lo, s0
	s_cbranch_vccnz .LBB15_1223
; %bb.1222:
	global_load_b32 v7, v[0:1], off
	s_waitcnt vmcnt(0)
	v_cvt_f32_i32_e32 v7, v7
.LBB15_1223:
	s_mov_b32 s0, 0
.LBB15_1224:
	s_delay_alu instid0(SALU_CYCLE_1)
	s_and_not1_b32 vcc_lo, exec_lo, s0
	s_cbranch_vccnz .LBB15_1226
; %bb.1225:
	global_load_i16 v7, v[0:1], off
	s_waitcnt vmcnt(0)
	v_cvt_f32_i32_e32 v7, v7
.LBB15_1226:
	s_mov_b32 s0, 0
.LBB15_1227:
	s_delay_alu instid0(SALU_CYCLE_1)
	s_and_not1_b32 vcc_lo, exec_lo, s0
	s_cbranch_vccnz .LBB15_1233
; %bb.1228:
	v_cmp_lt_i16_e32 vcc_lo, 0, v5
	s_mov_b32 s0, 0
	s_cbranch_vccz .LBB15_1230
; %bb.1229:
	global_load_i8 v7, v[0:1], off
	s_waitcnt vmcnt(0)
	v_cvt_f32_i32_e32 v7, v7
	s_branch .LBB15_1231
.LBB15_1230:
	s_mov_b32 s0, -1
                                        ; implicit-def: $vgpr7
.LBB15_1231:
	s_delay_alu instid0(SALU_CYCLE_1)
	s_and_not1_b32 vcc_lo, exec_lo, s0
	s_cbranch_vccnz .LBB15_1233
; %bb.1232:
	global_load_u8 v0, v[0:1], off
	s_waitcnt vmcnt(0)
	v_cvt_f32_ubyte0_e32 v7, v0
.LBB15_1233:
	s_branch .LBB15_1306
.LBB15_1234:
	s_trap 2
	s_sendmsg_rtn_b32 s0, sendmsg(MSG_RTN_GET_DOORBELL)
	s_mov_b32 ttmp2, m0
	s_waitcnt lgkmcnt(0)
	s_and_b32 s0, s0, 0x3ff
	s_delay_alu instid0(SALU_CYCLE_1) | instskip(NEXT) | instid1(SALU_CYCLE_1)
	s_bitset1_b32 s0, 10
	s_mov_b32 m0, s0
	s_sendmsg sendmsg(MSG_INTERRUPT)
	s_mov_b32 m0, ttmp2
.LBB15_1235:                            ; =>This Inner Loop Header: Depth=1
	s_sethalt 5
	s_branch .LBB15_1235
.LBB15_1236:
	s_or_saveexec_b32 s20, s20
                                        ; implicit-def: $sgpr21
	s_delay_alu instid0(SALU_CYCLE_1)
	s_xor_b32 exec_lo, exec_lo, s20
	s_cbranch_execz .LBB15_964
.LBB15_1237:
	v_add_f32_e64 v3, 0x42800000, |v2|
	s_and_not1_b32 s19, s19, exec_lo
	s_mov_b32 s21, 0
	s_delay_alu instid0(VALU_DEP_1) | instskip(NEXT) | instid1(VALU_DEP_1)
	v_and_b32_e32 v3, 0xff, v3
	v_cmp_ne_u32_e32 vcc_lo, 0, v3
	s_and_b32 s22, vcc_lo, exec_lo
	s_delay_alu instid0(SALU_CYCLE_1)
	s_or_b32 s19, s19, s22
	s_or_b32 exec_lo, exec_lo, s20
	v_mov_b32_e32 v4, s21
	s_and_saveexec_b32 s20, s19
	s_cbranch_execnz .LBB15_965
	s_branch .LBB15_966
.LBB15_1238:
	s_mov_b32 s0, -1
	s_mov_b32 s16, 0
.LBB15_1239:
                                        ; implicit-def: $vgpr7
.LBB15_1240:
	s_and_b32 vcc_lo, exec_lo, s17
	s_cbranch_vccz .LBB15_1244
; %bb.1241:
	v_cmp_eq_u16_e32 vcc_lo, 44, v5
	s_cbranch_vccz .LBB15_1243
; %bb.1242:
	global_load_u8 v7, v[0:1], off
	s_mov_b32 s0, 0
	s_mov_b32 s16, -1
	s_waitcnt vmcnt(0)
	v_lshlrev_b32_e32 v8, 23, v7
	v_cmp_ne_u32_e32 vcc_lo, 0xff, v7
	s_delay_alu instid0(VALU_DEP_2) | instskip(SKIP_1) | instid1(VALU_DEP_2)
	v_cndmask_b32_e32 v8, 0x7f800001, v8, vcc_lo
	v_cmp_ne_u32_e32 vcc_lo, 0, v7
	v_cndmask_b32_e32 v7, 0x400000, v8, vcc_lo
	s_branch .LBB15_1244
.LBB15_1243:
	s_mov_b32 s0, -1
                                        ; implicit-def: $vgpr7
.LBB15_1244:
	s_mov_b32 s17, 0
.LBB15_1245:
	s_delay_alu instid0(SALU_CYCLE_1)
	s_and_b32 vcc_lo, exec_lo, s17
	s_cbranch_vccz .LBB15_1249
; %bb.1246:
	v_cmp_eq_u16_e32 vcc_lo, 29, v5
	s_cbranch_vccz .LBB15_1248
; %bb.1247:
	global_load_b64 v[7:8], v[0:1], off
	s_mov_b32 s0, 0
	s_mov_b32 s16, -1
	s_mov_b32 s17, 0
	s_waitcnt vmcnt(0)
	v_clz_i32_u32_e32 v9, v8
	s_delay_alu instid0(VALU_DEP_1) | instskip(NEXT) | instid1(VALU_DEP_1)
	v_min_u32_e32 v9, 32, v9
	v_lshlrev_b64 v[7:8], v9, v[7:8]
	s_delay_alu instid0(VALU_DEP_1) | instskip(NEXT) | instid1(VALU_DEP_1)
	v_min_u32_e32 v7, 1, v7
	v_or_b32_e32 v7, v8, v7
	v_sub_nc_u32_e32 v8, 32, v9
	s_delay_alu instid0(VALU_DEP_2) | instskip(NEXT) | instid1(VALU_DEP_1)
	v_cvt_f32_u32_e32 v7, v7
	v_ldexp_f32 v7, v7, v8
	s_branch .LBB15_1250
.LBB15_1248:
	s_mov_b32 s0, -1
                                        ; implicit-def: $vgpr7
.LBB15_1249:
	s_mov_b32 s17, 0
.LBB15_1250:
	s_delay_alu instid0(SALU_CYCLE_1)
	s_and_b32 vcc_lo, exec_lo, s17
	s_cbranch_vccz .LBB15_1268
; %bb.1251:
	v_cmp_gt_i16_e32 vcc_lo, 27, v5
	s_cbranch_vccnz .LBB15_1254
; %bb.1252:
	v_cmp_lt_i16_e32 vcc_lo, 27, v5
	s_cbranch_vccz .LBB15_1255
; %bb.1253:
	global_load_b32 v7, v[0:1], off
	s_mov_b32 s16, 0
	s_waitcnt vmcnt(0)
	v_cvt_f32_u32_e32 v7, v7
	s_branch .LBB15_1256
.LBB15_1254:
	s_mov_b32 s16, -1
                                        ; implicit-def: $vgpr7
	s_branch .LBB15_1259
.LBB15_1255:
	s_mov_b32 s16, -1
                                        ; implicit-def: $vgpr7
.LBB15_1256:
	s_delay_alu instid0(SALU_CYCLE_1)
	s_and_not1_b32 vcc_lo, exec_lo, s16
	s_cbranch_vccnz .LBB15_1258
; %bb.1257:
	global_load_u16 v7, v[0:1], off
	s_waitcnt vmcnt(0)
	v_cvt_f32_u32_e32 v7, v7
.LBB15_1258:
	s_mov_b32 s16, 0
.LBB15_1259:
	s_delay_alu instid0(SALU_CYCLE_1)
	s_and_not1_b32 vcc_lo, exec_lo, s16
	s_cbranch_vccnz .LBB15_1267
; %bb.1260:
	global_load_u8 v8, v[0:1], off
	s_mov_b32 s16, 0
	s_mov_b32 s18, exec_lo
                                        ; implicit-def: $sgpr17
	s_waitcnt vmcnt(0)
	v_cmpx_lt_i16_e32 0x7f, v8
	s_xor_b32 s18, exec_lo, s18
	s_cbranch_execz .LBB15_1280
; %bb.1261:
	s_mov_b32 s16, -1
	s_mov_b32 s19, exec_lo
                                        ; implicit-def: $sgpr17
	v_cmpx_eq_u16_e32 0x80, v8
; %bb.1262:
	s_mov_b32 s17, 0x7f800001
	s_xor_b32 s16, exec_lo, -1
; %bb.1263:
	s_or_b32 exec_lo, exec_lo, s19
	s_delay_alu instid0(SALU_CYCLE_1)
	s_and_b32 s16, s16, exec_lo
	s_or_saveexec_b32 s18, s18
	v_mov_b32_e32 v7, s17
	s_xor_b32 exec_lo, exec_lo, s18
	s_cbranch_execnz .LBB15_1281
.LBB15_1264:
	s_or_b32 exec_lo, exec_lo, s18
	s_and_saveexec_b32 s17, s16
	s_cbranch_execz .LBB15_1266
.LBB15_1265:
	v_and_b32_e32 v7, 0xffff, v8
	s_delay_alu instid0(VALU_DEP_1) | instskip(NEXT) | instid1(VALU_DEP_1)
	v_and_b32_e32 v9, 7, v7
	v_clz_i32_u32_e32 v10, v9
	s_delay_alu instid0(VALU_DEP_1) | instskip(NEXT) | instid1(VALU_DEP_1)
	v_min_u32_e32 v10, 32, v10
	v_subrev_nc_u32_e32 v11, 28, v10
	v_sub_nc_u32_e32 v10, 29, v10
	s_delay_alu instid0(VALU_DEP_2) | instskip(SKIP_1) | instid1(VALU_DEP_2)
	v_lshlrev_b32_e32 v11, v11, v7
	v_bfe_u32 v7, v7, 3, 4
	v_and_b32_e32 v11, 7, v11
	s_delay_alu instid0(VALU_DEP_2) | instskip(SKIP_1) | instid1(VALU_DEP_1)
	v_cmp_eq_u32_e32 vcc_lo, 0, v7
	v_dual_cndmask_b32 v7, v7, v10 :: v_dual_lshlrev_b32 v8, 24, v8
	v_dual_cndmask_b32 v9, v9, v11 :: v_dual_and_b32 v8, 0x80000000, v8
	s_delay_alu instid0(VALU_DEP_2) | instskip(NEXT) | instid1(VALU_DEP_2)
	v_lshl_add_u32 v7, v7, 23, 0x3b800000
	v_lshlrev_b32_e32 v9, 20, v9
	s_delay_alu instid0(VALU_DEP_1)
	v_or3_b32 v7, v8, v7, v9
.LBB15_1266:
	s_or_b32 exec_lo, exec_lo, s17
.LBB15_1267:
	s_mov_b32 s16, -1
.LBB15_1268:
	s_branch .LBB15_1301
.LBB15_1269:
	v_cmp_lt_i16_e32 vcc_lo, 22, v5
	s_cbranch_vccz .LBB15_1279
; %bb.1270:
	v_cmp_gt_i16_e32 vcc_lo, 24, v5
	s_cbranch_vccnz .LBB15_1282
; %bb.1271:
	v_cmp_lt_i16_e32 vcc_lo, 24, v5
	s_cbranch_vccz .LBB15_1283
; %bb.1272:
	global_load_u8 v8, v[0:1], off
	s_mov_b32 s17, exec_lo
                                        ; implicit-def: $sgpr16
	s_waitcnt vmcnt(0)
	v_cmpx_lt_i16_e32 0x7f, v8
	s_xor_b32 s17, exec_lo, s17
	s_cbranch_execz .LBB15_1295
; %bb.1273:
	s_mov_b32 s15, -1
	s_mov_b32 s18, exec_lo
                                        ; implicit-def: $sgpr16
	v_cmpx_eq_u16_e32 0x80, v8
; %bb.1274:
	s_mov_b32 s16, 0x7f800001
	s_xor_b32 s15, exec_lo, -1
; %bb.1275:
	s_or_b32 exec_lo, exec_lo, s18
	s_delay_alu instid0(SALU_CYCLE_1)
	s_and_b32 s15, s15, exec_lo
	s_or_saveexec_b32 s17, s17
	v_mov_b32_e32 v7, s16
	s_xor_b32 exec_lo, exec_lo, s17
	s_cbranch_execnz .LBB15_1296
.LBB15_1276:
	s_or_b32 exec_lo, exec_lo, s17
	s_and_saveexec_b32 s16, s15
	s_cbranch_execz .LBB15_1278
.LBB15_1277:
	v_and_b32_e32 v7, 0xffff, v8
	s_delay_alu instid0(VALU_DEP_1) | instskip(NEXT) | instid1(VALU_DEP_1)
	v_and_b32_e32 v9, 3, v7
	v_clz_i32_u32_e32 v10, v9
	s_delay_alu instid0(VALU_DEP_1) | instskip(NEXT) | instid1(VALU_DEP_1)
	v_min_u32_e32 v10, 32, v10
	v_subrev_nc_u32_e32 v11, 29, v10
	v_sub_nc_u32_e32 v10, 30, v10
	s_delay_alu instid0(VALU_DEP_2) | instskip(SKIP_1) | instid1(VALU_DEP_2)
	v_lshlrev_b32_e32 v11, v11, v7
	v_bfe_u32 v7, v7, 2, 5
	v_and_b32_e32 v11, 3, v11
	s_delay_alu instid0(VALU_DEP_2) | instskip(SKIP_1) | instid1(VALU_DEP_1)
	v_cmp_eq_u32_e32 vcc_lo, 0, v7
	v_dual_cndmask_b32 v7, v7, v10 :: v_dual_lshlrev_b32 v8, 24, v8
	v_dual_cndmask_b32 v9, v9, v11 :: v_dual_and_b32 v8, 0x80000000, v8
	s_delay_alu instid0(VALU_DEP_2) | instskip(NEXT) | instid1(VALU_DEP_2)
	v_lshl_add_u32 v7, v7, 23, 0x37800000
	v_lshlrev_b32_e32 v9, 21, v9
	s_delay_alu instid0(VALU_DEP_1)
	v_or3_b32 v7, v8, v7, v9
.LBB15_1278:
	s_or_b32 exec_lo, exec_lo, s16
	s_mov_b32 s15, 0
	s_branch .LBB15_1284
.LBB15_1279:
	s_mov_b32 s15, -1
                                        ; implicit-def: $vgpr7
	s_branch .LBB15_1290
.LBB15_1280:
	s_or_saveexec_b32 s18, s18
	v_mov_b32_e32 v7, s17
	s_xor_b32 exec_lo, exec_lo, s18
	s_cbranch_execz .LBB15_1264
.LBB15_1281:
	v_cmp_ne_u16_e32 vcc_lo, 0, v8
	v_mov_b32_e32 v7, 0
	s_and_not1_b32 s16, s16, exec_lo
	s_and_b32 s17, vcc_lo, exec_lo
	s_delay_alu instid0(SALU_CYCLE_1)
	s_or_b32 s16, s16, s17
	s_or_b32 exec_lo, exec_lo, s18
	s_and_saveexec_b32 s17, s16
	s_cbranch_execnz .LBB15_1265
	s_branch .LBB15_1266
.LBB15_1282:
	s_mov_b32 s15, -1
                                        ; implicit-def: $vgpr7
	s_branch .LBB15_1287
.LBB15_1283:
	s_mov_b32 s15, -1
                                        ; implicit-def: $vgpr7
.LBB15_1284:
	s_delay_alu instid0(SALU_CYCLE_1)
	s_and_b32 vcc_lo, exec_lo, s15
	s_cbranch_vccz .LBB15_1286
; %bb.1285:
	global_load_u8 v7, v[0:1], off
	s_waitcnt vmcnt(0)
	v_lshlrev_b32_e32 v7, 24, v7
	s_delay_alu instid0(VALU_DEP_1) | instskip(NEXT) | instid1(VALU_DEP_1)
	v_and_b32_e32 v8, 0x7f000000, v7
	v_clz_i32_u32_e32 v9, v8
	v_add_nc_u32_e32 v11, 0x1000000, v8
	v_cmp_ne_u32_e32 vcc_lo, 0, v8
	s_delay_alu instid0(VALU_DEP_3) | instskip(NEXT) | instid1(VALU_DEP_1)
	v_min_u32_e32 v9, 32, v9
	v_sub_nc_u32_e64 v9, v9, 4 clamp
	s_delay_alu instid0(VALU_DEP_1) | instskip(SKIP_1) | instid1(VALU_DEP_2)
	v_lshlrev_b32_e32 v10, v9, v8
	v_lshlrev_b32_e32 v9, 23, v9
	v_lshrrev_b32_e32 v10, 4, v10
	s_delay_alu instid0(VALU_DEP_1) | instskip(SKIP_1) | instid1(VALU_DEP_2)
	v_sub_nc_u32_e32 v9, v10, v9
	v_ashrrev_i32_e32 v10, 8, v11
	v_add_nc_u32_e32 v9, 0x3c000000, v9
	s_delay_alu instid0(VALU_DEP_1) | instskip(NEXT) | instid1(VALU_DEP_1)
	v_and_or_b32 v9, 0x7f800000, v10, v9
	v_cndmask_b32_e32 v8, 0, v9, vcc_lo
	s_delay_alu instid0(VALU_DEP_1)
	v_and_or_b32 v7, 0x80000000, v7, v8
.LBB15_1286:
	s_mov_b32 s15, 0
.LBB15_1287:
	s_delay_alu instid0(SALU_CYCLE_1)
	s_and_not1_b32 vcc_lo, exec_lo, s15
	s_cbranch_vccnz .LBB15_1289
; %bb.1288:
	global_load_u8 v7, v[0:1], off
	s_waitcnt vmcnt(0)
	v_lshlrev_b32_e32 v8, 25, v7
	v_lshlrev_b16 v7, 8, v7
	s_delay_alu instid0(VALU_DEP_2) | instskip(NEXT) | instid1(VALU_DEP_2)
	v_lshrrev_b32_e32 v9, 4, v8
	v_and_or_b32 v10, 0x7f00, v7, 0.5
	v_bfe_i32 v7, v7, 0, 16
	s_delay_alu instid0(VALU_DEP_3) | instskip(NEXT) | instid1(VALU_DEP_1)
	v_or_b32_e32 v9, 0x70000000, v9
	v_dual_add_f32 v10, -0.5, v10 :: v_dual_mul_f32 v9, 0x7800000, v9
	v_cmp_gt_u32_e32 vcc_lo, 0x8000000, v8
	s_delay_alu instid0(VALU_DEP_2) | instskip(NEXT) | instid1(VALU_DEP_1)
	v_cndmask_b32_e32 v8, v9, v10, vcc_lo
	v_and_or_b32 v7, 0x80000000, v7, v8
.LBB15_1289:
	s_mov_b32 s15, 0
	s_mov_b32 s16, -1
.LBB15_1290:
	s_and_not1_b32 vcc_lo, exec_lo, s15
	s_mov_b32 s15, 0
	s_cbranch_vccnz .LBB15_1301
; %bb.1291:
	v_cmp_lt_i16_e32 vcc_lo, 14, v5
	s_cbranch_vccz .LBB15_1294
; %bb.1292:
	v_cmp_eq_u16_e32 vcc_lo, 15, v5
	s_cbranch_vccz .LBB15_1297
; %bb.1293:
	global_load_u16 v7, v[0:1], off
	s_mov_b32 s0, 0
	s_mov_b32 s16, -1
	s_waitcnt vmcnt(0)
	v_lshlrev_b32_e32 v7, 16, v7
	s_branch .LBB15_1299
.LBB15_1294:
	s_mov_b32 s15, -1
	s_branch .LBB15_1298
.LBB15_1295:
	s_or_saveexec_b32 s17, s17
	v_mov_b32_e32 v7, s16
	s_xor_b32 exec_lo, exec_lo, s17
	s_cbranch_execz .LBB15_1276
.LBB15_1296:
	v_cmp_ne_u16_e32 vcc_lo, 0, v8
	v_mov_b32_e32 v7, 0
	s_and_not1_b32 s15, s15, exec_lo
	s_and_b32 s16, vcc_lo, exec_lo
	s_delay_alu instid0(SALU_CYCLE_1)
	s_or_b32 s15, s15, s16
	s_or_b32 exec_lo, exec_lo, s17
	s_and_saveexec_b32 s16, s15
	s_cbranch_execnz .LBB15_1277
	s_branch .LBB15_1278
.LBB15_1297:
	s_mov_b32 s0, -1
.LBB15_1298:
                                        ; implicit-def: $vgpr7
.LBB15_1299:
	s_and_b32 vcc_lo, exec_lo, s15
	s_mov_b32 s15, 0
	s_cbranch_vccz .LBB15_1301
; %bb.1300:
	v_cmp_ne_u16_e64 s0, 11, v5
	s_mov_b32 s15, -1
                                        ; implicit-def: $vgpr7
.LBB15_1301:
	s_delay_alu instid0(VALU_DEP_1)
	s_and_b32 vcc_lo, exec_lo, s0
	s_cbranch_vccnz .LBB15_1327
; %bb.1302:
	s_and_not1_b32 vcc_lo, exec_lo, s15
	s_cbranch_vccnz .LBB15_1304
.LBB15_1303:
	global_load_u8 v7, v[0:1], off
	s_mov_b32 s16, -1
	s_waitcnt vmcnt(0)
	v_cmp_ne_u16_e32 vcc_lo, 0, v7
	v_cndmask_b32_e64 v7, 0, 1.0, vcc_lo
.LBB15_1304:
.LBB15_1305:
	s_and_not1_b32 vcc_lo, exec_lo, s16
	s_cbranch_vccnz .LBB15_2012
.LBB15_1306:
	s_waitcnt vmcnt(0)
	v_mov_b32_e32 v10, v3
	s_mov_b32 s0, exec_lo
	s_delay_alu instid0(VALU_DEP_2)
	v_cmpx_nlg_f32_e64 0x7f800000, |v7|
	s_cbranch_execz .LBB15_1308
; %bb.1307:
	v_dual_mov_b32 v0, 0 :: v_dual_mov_b32 v1, 1.0
	global_store_b32 v0, v1, s[8:9]
	global_load_b32 v10, v0, s[10:11]
.LBB15_1308:
	s_or_b32 exec_lo, exec_lo, s0
	v_add_nc_u32_e32 v6, s3, v6
	v_cmp_gt_i16_e32 vcc_lo, 11, v5
	s_delay_alu instid0(VALU_DEP_2) | instskip(SKIP_1) | instid1(VALU_DEP_1)
	v_ashrrev_i32_e32 v1, 31, v6
	v_add_co_u32 v0, s0, s6, v6
	v_add_co_ci_u32_e64 v1, s0, s7, v1, s0
	s_cbranch_vccnz .LBB15_1315
; %bb.1309:
	v_cmp_lt_i16_e32 vcc_lo, 25, v5
	s_mov_b32 s15, 0
	s_cbranch_vccz .LBB15_1321
; %bb.1310:
	v_cmp_lt_i16_e32 vcc_lo, 28, v5
	s_cbranch_vccz .LBB15_1323
; %bb.1311:
	v_cmp_lt_i16_e32 vcc_lo, 43, v5
	;; [unrolled: 3-line block ×3, first 2 shown]
	s_cbranch_vccz .LBB15_1329
; %bb.1313:
	v_cmp_eq_u16_e32 vcc_lo, 46, v5
	s_mov_b32 s17, 0
	s_cbranch_vccz .LBB15_1372
; %bb.1314:
	global_load_b32 v8, v[0:1], off
	s_mov_b32 s0, 0
	s_mov_b32 s16, -1
	s_waitcnt vmcnt(0)
	v_lshlrev_b32_e32 v8, 16, v8
	s_branch .LBB15_1374
.LBB15_1315:
	s_mov_b32 s16, 0
                                        ; implicit-def: $vgpr8
	s_cbranch_execz .LBB15_1440
; %bb.1316:
	v_cmp_gt_i16_e32 vcc_lo, 5, v5
	s_cbranch_vccnz .LBB15_1322
; %bb.1317:
	v_cmp_gt_i16_e32 vcc_lo, 8, v5
	s_cbranch_vccnz .LBB15_1324
; %bb.1318:
	v_cmp_gt_i16_e32 vcc_lo, 9, v5
	s_cbranch_vccnz .LBB15_1326
; %bb.1319:
	v_cmp_lt_i16_e32 vcc_lo, 9, v5
	s_cbranch_vccz .LBB15_1330
; %bb.1320:
	global_load_b64 v[8:9], v[0:1], off
	s_mov_b32 s0, 0
	s_waitcnt vmcnt(0)
	v_cvt_f32_f64_e32 v8, v[8:9]
	s_branch .LBB15_1331
.LBB15_1321:
	s_mov_b32 s17, -1
	s_mov_b32 s16, 0
	s_mov_b32 s0, 0
                                        ; implicit-def: $vgpr8
	s_branch .LBB15_1403
.LBB15_1322:
	s_mov_b32 s0, -1
                                        ; implicit-def: $vgpr8
	s_branch .LBB15_1349
.LBB15_1323:
	s_mov_b32 s17, -1
	s_mov_b32 s16, 0
	s_mov_b32 s0, 0
                                        ; implicit-def: $vgpr8
	s_branch .LBB15_1384
.LBB15_1324:
	s_mov_b32 s0, -1
                                        ; implicit-def: $vgpr8
	s_branch .LBB15_1337
.LBB15_1325:
	s_mov_b32 s17, -1
	s_mov_b32 s16, 0
	s_mov_b32 s0, 0
                                        ; implicit-def: $vgpr8
	s_branch .LBB15_1379
.LBB15_1326:
	s_mov_b32 s0, -1
                                        ; implicit-def: $vgpr8
	s_branch .LBB15_1334
.LBB15_1327:
	s_cbranch_execnz .LBB15_1370
; %bb.1328:
	s_or_b32 s1, s1, exec_lo
                                        ; implicit-def: $vgpr7
	s_cbranch_execz .LBB15_1303
	s_branch .LBB15_1304
.LBB15_1329:
	s_mov_b32 s17, -1
	s_mov_b32 s16, 0
	s_mov_b32 s0, 0
	s_branch .LBB15_1373
.LBB15_1330:
	s_mov_b32 s0, -1
                                        ; implicit-def: $vgpr8
.LBB15_1331:
	s_delay_alu instid0(SALU_CYCLE_1)
	s_and_not1_b32 vcc_lo, exec_lo, s0
	s_cbranch_vccnz .LBB15_1333
; %bb.1332:
	global_load_b32 v8, v[0:1], off
.LBB15_1333:
	s_mov_b32 s0, 0
.LBB15_1334:
	s_delay_alu instid0(SALU_CYCLE_1)
	s_and_not1_b32 vcc_lo, exec_lo, s0
	s_cbranch_vccnz .LBB15_1336
; %bb.1335:
	global_load_b32 v8, v[0:1], off
	s_waitcnt vmcnt(0)
	v_cvt_f32_f16_e32 v8, v8
.LBB15_1336:
	s_mov_b32 s0, 0
.LBB15_1337:
	s_delay_alu instid0(SALU_CYCLE_1)
	s_and_not1_b32 vcc_lo, exec_lo, s0
	s_cbranch_vccnz .LBB15_1348
; %bb.1338:
	v_cmp_gt_i16_e32 vcc_lo, 6, v5
	s_cbranch_vccnz .LBB15_1341
; %bb.1339:
	v_cmp_lt_i16_e32 vcc_lo, 6, v5
	s_cbranch_vccz .LBB15_1342
; %bb.1340:
	global_load_b64 v[8:9], v[0:1], off
	s_mov_b32 s0, 0
	s_waitcnt vmcnt(0)
	v_cvt_f32_f64_e32 v8, v[8:9]
	s_branch .LBB15_1343
.LBB15_1341:
	s_mov_b32 s0, -1
                                        ; implicit-def: $vgpr8
	s_branch .LBB15_1346
.LBB15_1342:
	s_mov_b32 s0, -1
                                        ; implicit-def: $vgpr8
.LBB15_1343:
	s_delay_alu instid0(SALU_CYCLE_1)
	s_and_not1_b32 vcc_lo, exec_lo, s0
	s_cbranch_vccnz .LBB15_1345
; %bb.1344:
	global_load_b32 v8, v[0:1], off
.LBB15_1345:
	s_mov_b32 s0, 0
.LBB15_1346:
	s_delay_alu instid0(SALU_CYCLE_1)
	s_and_not1_b32 vcc_lo, exec_lo, s0
	s_cbranch_vccnz .LBB15_1348
; %bb.1347:
	global_load_u16 v8, v[0:1], off
	s_waitcnt vmcnt(0)
	v_cvt_f32_f16_e32 v8, v8
.LBB15_1348:
	s_mov_b32 s0, 0
.LBB15_1349:
	s_delay_alu instid0(SALU_CYCLE_1)
	s_and_not1_b32 vcc_lo, exec_lo, s0
	s_cbranch_vccnz .LBB15_1369
; %bb.1350:
	v_cmp_gt_i16_e32 vcc_lo, 2, v5
	s_cbranch_vccnz .LBB15_1354
; %bb.1351:
	v_cmp_gt_i16_e32 vcc_lo, 3, v5
	s_cbranch_vccnz .LBB15_1355
; %bb.1352:
	v_cmp_lt_i16_e32 vcc_lo, 3, v5
	s_cbranch_vccz .LBB15_1356
; %bb.1353:
	global_load_b64 v[8:9], v[0:1], off
	s_mov_b32 s0, 0
	s_waitcnt vmcnt(0)
	v_xor_b32_e32 v11, v8, v9
	v_cls_i32_e32 v12, v9
	s_delay_alu instid0(VALU_DEP_2) | instskip(NEXT) | instid1(VALU_DEP_2)
	v_ashrrev_i32_e32 v11, 31, v11
	v_add_nc_u32_e32 v12, -1, v12
	s_delay_alu instid0(VALU_DEP_2) | instskip(NEXT) | instid1(VALU_DEP_1)
	v_add_nc_u32_e32 v11, 32, v11
	v_min_u32_e32 v11, v12, v11
	s_delay_alu instid0(VALU_DEP_1) | instskip(NEXT) | instid1(VALU_DEP_1)
	v_lshlrev_b64 v[8:9], v11, v[8:9]
	v_min_u32_e32 v8, 1, v8
	s_delay_alu instid0(VALU_DEP_1) | instskip(SKIP_1) | instid1(VALU_DEP_2)
	v_or_b32_e32 v8, v9, v8
	v_sub_nc_u32_e32 v9, 32, v11
	v_cvt_f32_i32_e32 v8, v8
	s_delay_alu instid0(VALU_DEP_1)
	v_ldexp_f32 v8, v8, v9
	s_branch .LBB15_1357
.LBB15_1354:
	s_mov_b32 s0, -1
                                        ; implicit-def: $vgpr8
	s_branch .LBB15_1363
.LBB15_1355:
	s_mov_b32 s0, -1
                                        ; implicit-def: $vgpr8
	s_branch .LBB15_1360
.LBB15_1356:
	s_mov_b32 s0, -1
                                        ; implicit-def: $vgpr8
.LBB15_1357:
	s_delay_alu instid0(SALU_CYCLE_1)
	s_and_not1_b32 vcc_lo, exec_lo, s0
	s_cbranch_vccnz .LBB15_1359
; %bb.1358:
	global_load_b32 v8, v[0:1], off
	s_waitcnt vmcnt(0)
	v_cvt_f32_i32_e32 v8, v8
.LBB15_1359:
	s_mov_b32 s0, 0
.LBB15_1360:
	s_delay_alu instid0(SALU_CYCLE_1)
	s_and_not1_b32 vcc_lo, exec_lo, s0
	s_cbranch_vccnz .LBB15_1362
; %bb.1361:
	global_load_i16 v8, v[0:1], off
	s_waitcnt vmcnt(0)
	v_cvt_f32_i32_e32 v8, v8
.LBB15_1362:
	s_mov_b32 s0, 0
.LBB15_1363:
	s_delay_alu instid0(SALU_CYCLE_1)
	s_and_not1_b32 vcc_lo, exec_lo, s0
	s_cbranch_vccnz .LBB15_1369
; %bb.1364:
	v_cmp_lt_i16_e32 vcc_lo, 0, v5
	s_mov_b32 s0, 0
	s_cbranch_vccz .LBB15_1366
; %bb.1365:
	global_load_i8 v8, v[0:1], off
	s_waitcnt vmcnt(0)
	v_cvt_f32_i32_e32 v8, v8
	s_branch .LBB15_1367
.LBB15_1366:
	s_mov_b32 s0, -1
                                        ; implicit-def: $vgpr8
.LBB15_1367:
	s_delay_alu instid0(SALU_CYCLE_1)
	s_and_not1_b32 vcc_lo, exec_lo, s0
	s_cbranch_vccnz .LBB15_1369
; %bb.1368:
	global_load_u8 v0, v[0:1], off
	s_waitcnt vmcnt(0)
	v_cvt_f32_ubyte0_e32 v8, v0
.LBB15_1369:
	s_branch .LBB15_1441
.LBB15_1370:
	s_trap 2
	s_sendmsg_rtn_b32 s0, sendmsg(MSG_RTN_GET_DOORBELL)
	s_mov_b32 ttmp2, m0
	s_waitcnt lgkmcnt(0)
	s_and_b32 s0, s0, 0x3ff
	s_delay_alu instid0(SALU_CYCLE_1) | instskip(NEXT) | instid1(SALU_CYCLE_1)
	s_bitset1_b32 s0, 10
	s_mov_b32 m0, s0
	s_sendmsg sendmsg(MSG_INTERRUPT)
	s_mov_b32 m0, ttmp2
.LBB15_1371:                            ; =>This Inner Loop Header: Depth=1
	s_sethalt 5
	s_branch .LBB15_1371
.LBB15_1372:
	s_mov_b32 s0, -1
	s_mov_b32 s16, 0
.LBB15_1373:
                                        ; implicit-def: $vgpr8
.LBB15_1374:
	s_and_b32 vcc_lo, exec_lo, s17
	s_cbranch_vccz .LBB15_1378
; %bb.1375:
	v_cmp_eq_u16_e32 vcc_lo, 44, v5
	s_cbranch_vccz .LBB15_1377
; %bb.1376:
	global_load_u8 v8, v[0:1], off
	s_mov_b32 s0, 0
	s_mov_b32 s16, -1
	s_waitcnt vmcnt(0)
	v_lshlrev_b32_e32 v9, 23, v8
	v_cmp_ne_u32_e32 vcc_lo, 0xff, v8
	s_delay_alu instid0(VALU_DEP_2) | instskip(SKIP_1) | instid1(VALU_DEP_2)
	v_cndmask_b32_e32 v9, 0x7f800001, v9, vcc_lo
	v_cmp_ne_u32_e32 vcc_lo, 0, v8
	v_cndmask_b32_e32 v8, 0x400000, v9, vcc_lo
	s_branch .LBB15_1378
.LBB15_1377:
	s_mov_b32 s0, -1
                                        ; implicit-def: $vgpr8
.LBB15_1378:
	s_mov_b32 s17, 0
.LBB15_1379:
	s_delay_alu instid0(SALU_CYCLE_1)
	s_and_b32 vcc_lo, exec_lo, s17
	s_cbranch_vccz .LBB15_1383
; %bb.1380:
	v_cmp_eq_u16_e32 vcc_lo, 29, v5
	s_cbranch_vccz .LBB15_1382
; %bb.1381:
	global_load_b64 v[8:9], v[0:1], off
	s_mov_b32 s0, 0
	s_mov_b32 s16, -1
	s_mov_b32 s17, 0
	s_waitcnt vmcnt(0)
	v_clz_i32_u32_e32 v11, v9
	s_delay_alu instid0(VALU_DEP_1) | instskip(NEXT) | instid1(VALU_DEP_1)
	v_min_u32_e32 v11, 32, v11
	v_lshlrev_b64 v[8:9], v11, v[8:9]
	s_delay_alu instid0(VALU_DEP_1) | instskip(NEXT) | instid1(VALU_DEP_1)
	v_min_u32_e32 v8, 1, v8
	v_or_b32_e32 v8, v9, v8
	v_sub_nc_u32_e32 v9, 32, v11
	s_delay_alu instid0(VALU_DEP_2) | instskip(NEXT) | instid1(VALU_DEP_1)
	v_cvt_f32_u32_e32 v8, v8
	v_ldexp_f32 v8, v8, v9
	s_branch .LBB15_1384
.LBB15_1382:
	s_mov_b32 s0, -1
                                        ; implicit-def: $vgpr8
.LBB15_1383:
	s_mov_b32 s17, 0
.LBB15_1384:
	s_delay_alu instid0(SALU_CYCLE_1)
	s_and_b32 vcc_lo, exec_lo, s17
	s_cbranch_vccz .LBB15_1402
; %bb.1385:
	v_cmp_gt_i16_e32 vcc_lo, 27, v5
	s_cbranch_vccnz .LBB15_1388
; %bb.1386:
	v_cmp_lt_i16_e32 vcc_lo, 27, v5
	s_cbranch_vccz .LBB15_1389
; %bb.1387:
	global_load_b32 v8, v[0:1], off
	s_mov_b32 s16, 0
	s_waitcnt vmcnt(0)
	v_cvt_f32_u32_e32 v8, v8
	s_branch .LBB15_1390
.LBB15_1388:
	s_mov_b32 s16, -1
                                        ; implicit-def: $vgpr8
	s_branch .LBB15_1393
.LBB15_1389:
	s_mov_b32 s16, -1
                                        ; implicit-def: $vgpr8
.LBB15_1390:
	s_delay_alu instid0(SALU_CYCLE_1)
	s_and_not1_b32 vcc_lo, exec_lo, s16
	s_cbranch_vccnz .LBB15_1392
; %bb.1391:
	global_load_u16 v8, v[0:1], off
	s_waitcnt vmcnt(0)
	v_cvt_f32_u32_e32 v8, v8
.LBB15_1392:
	s_mov_b32 s16, 0
.LBB15_1393:
	s_delay_alu instid0(SALU_CYCLE_1)
	s_and_not1_b32 vcc_lo, exec_lo, s16
	s_cbranch_vccnz .LBB15_1401
; %bb.1394:
	global_load_u8 v9, v[0:1], off
	s_mov_b32 s16, 0
	s_mov_b32 s18, exec_lo
                                        ; implicit-def: $sgpr17
	s_waitcnt vmcnt(0)
	v_cmpx_lt_i16_e32 0x7f, v9
	s_xor_b32 s18, exec_lo, s18
	s_cbranch_execz .LBB15_1415
; %bb.1395:
	s_mov_b32 s16, -1
	s_mov_b32 s19, exec_lo
                                        ; implicit-def: $sgpr17
	v_cmpx_eq_u16_e32 0x80, v9
; %bb.1396:
	s_mov_b32 s17, 0x7f800001
	s_xor_b32 s16, exec_lo, -1
; %bb.1397:
	s_or_b32 exec_lo, exec_lo, s19
	s_delay_alu instid0(SALU_CYCLE_1)
	s_and_b32 s16, s16, exec_lo
	s_or_saveexec_b32 s18, s18
	v_mov_b32_e32 v8, s17
	s_xor_b32 exec_lo, exec_lo, s18
	s_cbranch_execnz .LBB15_1416
.LBB15_1398:
	s_or_b32 exec_lo, exec_lo, s18
	s_and_saveexec_b32 s17, s16
	s_cbranch_execz .LBB15_1400
.LBB15_1399:
	v_and_b32_e32 v8, 0xffff, v9
	v_lshlrev_b32_e32 v9, 24, v9
	s_delay_alu instid0(VALU_DEP_2) | instskip(NEXT) | instid1(VALU_DEP_2)
	v_and_b32_e32 v11, 7, v8
	v_and_b32_e32 v9, 0x80000000, v9
	s_delay_alu instid0(VALU_DEP_2) | instskip(NEXT) | instid1(VALU_DEP_1)
	v_clz_i32_u32_e32 v12, v11
	v_min_u32_e32 v12, 32, v12
	s_delay_alu instid0(VALU_DEP_1) | instskip(SKIP_1) | instid1(VALU_DEP_2)
	v_subrev_nc_u32_e32 v13, 28, v12
	v_sub_nc_u32_e32 v12, 29, v12
	v_lshlrev_b32_e32 v13, v13, v8
	v_bfe_u32 v8, v8, 3, 4
	s_delay_alu instid0(VALU_DEP_1) | instskip(NEXT) | instid1(VALU_DEP_3)
	v_cmp_eq_u32_e32 vcc_lo, 0, v8
	v_dual_cndmask_b32 v8, v8, v12 :: v_dual_and_b32 v13, 7, v13
	s_delay_alu instid0(VALU_DEP_1) | instskip(NEXT) | instid1(VALU_DEP_2)
	v_cndmask_b32_e32 v11, v11, v13, vcc_lo
	v_lshl_add_u32 v8, v8, 23, 0x3b800000
	s_delay_alu instid0(VALU_DEP_2) | instskip(NEXT) | instid1(VALU_DEP_1)
	v_lshlrev_b32_e32 v11, 20, v11
	v_or3_b32 v8, v9, v8, v11
.LBB15_1400:
	s_or_b32 exec_lo, exec_lo, s17
.LBB15_1401:
	s_mov_b32 s16, -1
.LBB15_1402:
	s_mov_b32 s17, 0
.LBB15_1403:
	s_delay_alu instid0(SALU_CYCLE_1)
	s_and_b32 vcc_lo, exec_lo, s17
	s_cbranch_vccz .LBB15_1436
; %bb.1404:
	v_cmp_lt_i16_e32 vcc_lo, 22, v5
	s_cbranch_vccz .LBB15_1414
; %bb.1405:
	v_cmp_gt_i16_e32 vcc_lo, 24, v5
	s_cbranch_vccnz .LBB15_1417
; %bb.1406:
	v_cmp_lt_i16_e32 vcc_lo, 24, v5
	s_cbranch_vccz .LBB15_1418
; %bb.1407:
	global_load_u8 v9, v[0:1], off
	s_mov_b32 s17, exec_lo
                                        ; implicit-def: $sgpr16
	s_waitcnt vmcnt(0)
	v_cmpx_lt_i16_e32 0x7f, v9
	s_xor_b32 s17, exec_lo, s17
	s_cbranch_execz .LBB15_1430
; %bb.1408:
	s_mov_b32 s15, -1
	s_mov_b32 s18, exec_lo
                                        ; implicit-def: $sgpr16
	v_cmpx_eq_u16_e32 0x80, v9
; %bb.1409:
	s_mov_b32 s16, 0x7f800001
	s_xor_b32 s15, exec_lo, -1
; %bb.1410:
	s_or_b32 exec_lo, exec_lo, s18
	s_delay_alu instid0(SALU_CYCLE_1)
	s_and_b32 s15, s15, exec_lo
	s_or_saveexec_b32 s17, s17
	v_mov_b32_e32 v8, s16
	s_xor_b32 exec_lo, exec_lo, s17
	s_cbranch_execnz .LBB15_1431
.LBB15_1411:
	s_or_b32 exec_lo, exec_lo, s17
	s_and_saveexec_b32 s16, s15
	s_cbranch_execz .LBB15_1413
.LBB15_1412:
	v_and_b32_e32 v8, 0xffff, v9
	v_lshlrev_b32_e32 v9, 24, v9
	s_delay_alu instid0(VALU_DEP_2) | instskip(NEXT) | instid1(VALU_DEP_2)
	v_and_b32_e32 v11, 3, v8
	v_and_b32_e32 v9, 0x80000000, v9
	s_delay_alu instid0(VALU_DEP_2) | instskip(NEXT) | instid1(VALU_DEP_1)
	v_clz_i32_u32_e32 v12, v11
	v_min_u32_e32 v12, 32, v12
	s_delay_alu instid0(VALU_DEP_1) | instskip(SKIP_1) | instid1(VALU_DEP_2)
	v_subrev_nc_u32_e32 v13, 29, v12
	v_sub_nc_u32_e32 v12, 30, v12
	v_lshlrev_b32_e32 v13, v13, v8
	v_bfe_u32 v8, v8, 2, 5
	s_delay_alu instid0(VALU_DEP_1) | instskip(NEXT) | instid1(VALU_DEP_3)
	v_cmp_eq_u32_e32 vcc_lo, 0, v8
	v_dual_cndmask_b32 v8, v8, v12 :: v_dual_and_b32 v13, 3, v13
	s_delay_alu instid0(VALU_DEP_1) | instskip(NEXT) | instid1(VALU_DEP_2)
	v_cndmask_b32_e32 v11, v11, v13, vcc_lo
	v_lshl_add_u32 v8, v8, 23, 0x37800000
	s_delay_alu instid0(VALU_DEP_2) | instskip(NEXT) | instid1(VALU_DEP_1)
	v_lshlrev_b32_e32 v11, 21, v11
	v_or3_b32 v8, v9, v8, v11
.LBB15_1413:
	s_or_b32 exec_lo, exec_lo, s16
	s_mov_b32 s15, 0
	s_branch .LBB15_1419
.LBB15_1414:
	s_mov_b32 s15, -1
                                        ; implicit-def: $vgpr8
	s_branch .LBB15_1425
.LBB15_1415:
	s_or_saveexec_b32 s18, s18
	v_mov_b32_e32 v8, s17
	s_xor_b32 exec_lo, exec_lo, s18
	s_cbranch_execz .LBB15_1398
.LBB15_1416:
	v_cmp_ne_u16_e32 vcc_lo, 0, v9
	v_mov_b32_e32 v8, 0
	s_and_not1_b32 s16, s16, exec_lo
	s_and_b32 s17, vcc_lo, exec_lo
	s_delay_alu instid0(SALU_CYCLE_1)
	s_or_b32 s16, s16, s17
	s_or_b32 exec_lo, exec_lo, s18
	s_and_saveexec_b32 s17, s16
	s_cbranch_execnz .LBB15_1399
	s_branch .LBB15_1400
.LBB15_1417:
	s_mov_b32 s15, -1
                                        ; implicit-def: $vgpr8
	s_branch .LBB15_1422
.LBB15_1418:
	s_mov_b32 s15, -1
                                        ; implicit-def: $vgpr8
.LBB15_1419:
	s_delay_alu instid0(SALU_CYCLE_1)
	s_and_b32 vcc_lo, exec_lo, s15
	s_cbranch_vccz .LBB15_1421
; %bb.1420:
	global_load_u8 v8, v[0:1], off
	s_waitcnt vmcnt(0)
	v_lshlrev_b32_e32 v8, 24, v8
	s_delay_alu instid0(VALU_DEP_1) | instskip(NEXT) | instid1(VALU_DEP_1)
	v_and_b32_e32 v9, 0x7f000000, v8
	v_clz_i32_u32_e32 v11, v9
	v_add_nc_u32_e32 v13, 0x1000000, v9
	v_cmp_ne_u32_e32 vcc_lo, 0, v9
	s_delay_alu instid0(VALU_DEP_3) | instskip(NEXT) | instid1(VALU_DEP_1)
	v_min_u32_e32 v11, 32, v11
	v_sub_nc_u32_e64 v11, v11, 4 clamp
	s_delay_alu instid0(VALU_DEP_1) | instskip(SKIP_1) | instid1(VALU_DEP_2)
	v_lshlrev_b32_e32 v12, v11, v9
	v_lshlrev_b32_e32 v11, 23, v11
	v_lshrrev_b32_e32 v12, 4, v12
	s_delay_alu instid0(VALU_DEP_1) | instskip(SKIP_1) | instid1(VALU_DEP_2)
	v_sub_nc_u32_e32 v11, v12, v11
	v_ashrrev_i32_e32 v12, 8, v13
	v_add_nc_u32_e32 v11, 0x3c000000, v11
	s_delay_alu instid0(VALU_DEP_1) | instskip(NEXT) | instid1(VALU_DEP_1)
	v_and_or_b32 v11, 0x7f800000, v12, v11
	v_cndmask_b32_e32 v9, 0, v11, vcc_lo
	s_delay_alu instid0(VALU_DEP_1)
	v_and_or_b32 v8, 0x80000000, v8, v9
.LBB15_1421:
	s_mov_b32 s15, 0
.LBB15_1422:
	s_delay_alu instid0(SALU_CYCLE_1)
	s_and_not1_b32 vcc_lo, exec_lo, s15
	s_cbranch_vccnz .LBB15_1424
; %bb.1423:
	global_load_u8 v8, v[0:1], off
	s_waitcnt vmcnt(0)
	v_lshlrev_b32_e32 v9, 25, v8
	v_lshlrev_b16 v8, 8, v8
	s_delay_alu instid0(VALU_DEP_2) | instskip(NEXT) | instid1(VALU_DEP_2)
	v_lshrrev_b32_e32 v11, 4, v9
	v_and_or_b32 v12, 0x7f00, v8, 0.5
	v_cmp_gt_u32_e32 vcc_lo, 0x8000000, v9
	v_bfe_i32 v8, v8, 0, 16
	s_delay_alu instid0(VALU_DEP_4) | instskip(NEXT) | instid1(VALU_DEP_1)
	v_or_b32_e32 v11, 0x70000000, v11
	v_dual_add_f32 v12, -0.5, v12 :: v_dual_mul_f32 v11, 0x7800000, v11
	s_delay_alu instid0(VALU_DEP_1) | instskip(NEXT) | instid1(VALU_DEP_1)
	v_cndmask_b32_e32 v9, v11, v12, vcc_lo
	v_and_or_b32 v8, 0x80000000, v8, v9
.LBB15_1424:
	s_mov_b32 s15, 0
	s_mov_b32 s16, -1
.LBB15_1425:
	s_and_not1_b32 vcc_lo, exec_lo, s15
	s_mov_b32 s15, 0
	s_cbranch_vccnz .LBB15_1436
; %bb.1426:
	v_cmp_lt_i16_e32 vcc_lo, 14, v5
	s_cbranch_vccz .LBB15_1429
; %bb.1427:
	v_cmp_eq_u16_e32 vcc_lo, 15, v5
	s_cbranch_vccz .LBB15_1432
; %bb.1428:
	global_load_u16 v8, v[0:1], off
	s_mov_b32 s0, 0
	s_mov_b32 s16, -1
	s_waitcnt vmcnt(0)
	v_lshlrev_b32_e32 v8, 16, v8
	s_branch .LBB15_1434
.LBB15_1429:
	s_mov_b32 s15, -1
	s_branch .LBB15_1433
.LBB15_1430:
	s_or_saveexec_b32 s17, s17
	v_mov_b32_e32 v8, s16
	s_xor_b32 exec_lo, exec_lo, s17
	s_cbranch_execz .LBB15_1411
.LBB15_1431:
	v_cmp_ne_u16_e32 vcc_lo, 0, v9
	v_mov_b32_e32 v8, 0
	s_and_not1_b32 s15, s15, exec_lo
	s_and_b32 s16, vcc_lo, exec_lo
	s_delay_alu instid0(SALU_CYCLE_1)
	s_or_b32 s15, s15, s16
	s_or_b32 exec_lo, exec_lo, s17
	s_and_saveexec_b32 s16, s15
	s_cbranch_execnz .LBB15_1412
	s_branch .LBB15_1413
.LBB15_1432:
	s_mov_b32 s0, -1
.LBB15_1433:
                                        ; implicit-def: $vgpr8
.LBB15_1434:
	s_and_b32 vcc_lo, exec_lo, s15
	s_mov_b32 s15, 0
	s_cbranch_vccz .LBB15_1436
; %bb.1435:
	v_cmp_ne_u16_e64 s0, 11, v5
	s_mov_b32 s15, -1
                                        ; implicit-def: $vgpr8
.LBB15_1436:
	s_delay_alu instid0(VALU_DEP_1)
	s_and_b32 vcc_lo, exec_lo, s0
	s_cbranch_vccnz .LBB15_1454
; %bb.1437:
	s_and_not1_b32 vcc_lo, exec_lo, s15
	s_cbranch_vccnz .LBB15_1439
.LBB15_1438:
	global_load_u8 v8, v[0:1], off
	s_mov_b32 s16, -1
	s_waitcnt vmcnt(0)
	v_cmp_ne_u16_e32 vcc_lo, 0, v8
	v_cndmask_b32_e64 v8, 0, 1.0, vcc_lo
.LBB15_1439:
.LBB15_1440:
	s_and_not1_b32 vcc_lo, exec_lo, s16
	s_cbranch_vccnz .LBB15_2012
.LBB15_1441:
	s_waitcnt vmcnt(0)
	v_mov_b32_e32 v11, v10
	s_mov_b32 s0, exec_lo
	s_delay_alu instid0(VALU_DEP_2)
	v_cmpx_nlg_f32_e64 0x7f800000, |v8|
	s_cbranch_execz .LBB15_1443
; %bb.1442:
	v_dual_mov_b32 v0, 0 :: v_dual_mov_b32 v1, 1.0
	global_store_b32 v0, v1, s[8:9]
	global_load_b32 v11, v0, s[10:11]
.LBB15_1443:
	s_or_b32 exec_lo, exec_lo, s0
	v_add_nc_u32_e32 v0, s3, v6
	v_cmp_gt_i16_e32 vcc_lo, 11, v5
	s_delay_alu instid0(VALU_DEP_2) | instskip(SKIP_1) | instid1(VALU_DEP_1)
	v_ashrrev_i32_e32 v1, 31, v0
	v_add_co_u32 v0, s0, s6, v0
	v_add_co_ci_u32_e64 v1, s0, s7, v1, s0
	s_cbranch_vccnz .LBB15_1450
; %bb.1444:
	v_cmp_lt_i16_e32 vcc_lo, 25, v5
	s_mov_b32 s3, 0
	s_cbranch_vccz .LBB15_1451
; %bb.1445:
	v_cmp_lt_i16_e32 vcc_lo, 28, v5
	s_cbranch_vccz .LBB15_1452
; %bb.1446:
	v_cmp_lt_i16_e32 vcc_lo, 43, v5
	;; [unrolled: 3-line block ×3, first 2 shown]
	s_cbranch_vccz .LBB15_1456
; %bb.1448:
	v_cmp_eq_u16_e32 vcc_lo, 46, v5
	s_mov_b32 s7, 0
	s_cbranch_vccz .LBB15_1459
; %bb.1449:
	global_load_b32 v6, v[0:1], off
	s_mov_b32 s0, 0
	s_mov_b32 s6, -1
	s_waitcnt vmcnt(0)
	v_lshlrev_b32_e32 v9, 16, v6
	s_branch .LBB15_1461
.LBB15_1450:
	s_mov_b32 s0, -1
	s_mov_b32 s6, 0
                                        ; implicit-def: $vgpr9
	s_branch .LBB15_1527
.LBB15_1451:
	s_mov_b32 s7, -1
	s_mov_b32 s6, 0
	s_mov_b32 s0, 0
                                        ; implicit-def: $vgpr9
	s_branch .LBB15_1490
.LBB15_1452:
	s_mov_b32 s7, -1
	s_mov_b32 s6, 0
	s_mov_b32 s0, 0
                                        ; implicit-def: $vgpr9
	s_branch .LBB15_1471
.LBB15_1453:
	s_mov_b32 s7, -1
	s_mov_b32 s6, 0
	s_mov_b32 s0, 0
                                        ; implicit-def: $vgpr9
	s_branch .LBB15_1466
.LBB15_1454:
	s_cbranch_execnz .LBB15_1457
; %bb.1455:
	s_or_b32 s1, s1, exec_lo
                                        ; implicit-def: $vgpr8
	s_cbranch_execz .LBB15_1438
	s_branch .LBB15_1439
.LBB15_1456:
	s_mov_b32 s7, -1
	s_mov_b32 s6, 0
	s_mov_b32 s0, 0
	s_branch .LBB15_1460
.LBB15_1457:
	s_trap 2
	s_sendmsg_rtn_b32 s0, sendmsg(MSG_RTN_GET_DOORBELL)
	s_mov_b32 ttmp2, m0
	s_waitcnt lgkmcnt(0)
	s_and_b32 s0, s0, 0x3ff
	s_delay_alu instid0(SALU_CYCLE_1) | instskip(NEXT) | instid1(SALU_CYCLE_1)
	s_bitset1_b32 s0, 10
	s_mov_b32 m0, s0
	s_sendmsg sendmsg(MSG_INTERRUPT)
	s_mov_b32 m0, ttmp2
.LBB15_1458:                            ; =>This Inner Loop Header: Depth=1
	s_sethalt 5
	s_branch .LBB15_1458
.LBB15_1459:
	s_mov_b32 s0, -1
	s_mov_b32 s6, 0
.LBB15_1460:
                                        ; implicit-def: $vgpr9
.LBB15_1461:
	s_and_b32 vcc_lo, exec_lo, s7
	s_cbranch_vccz .LBB15_1465
; %bb.1462:
	v_cmp_eq_u16_e32 vcc_lo, 44, v5
	s_cbranch_vccz .LBB15_1464
; %bb.1463:
	global_load_u8 v6, v[0:1], off
	s_mov_b32 s0, 0
	s_mov_b32 s6, -1
	s_waitcnt vmcnt(0)
	v_lshlrev_b32_e32 v9, 23, v6
	v_cmp_ne_u32_e32 vcc_lo, 0xff, v6
	s_delay_alu instid0(VALU_DEP_2) | instskip(SKIP_1) | instid1(VALU_DEP_2)
	v_cndmask_b32_e32 v9, 0x7f800001, v9, vcc_lo
	v_cmp_ne_u32_e32 vcc_lo, 0, v6
	v_cndmask_b32_e32 v9, 0x400000, v9, vcc_lo
	s_branch .LBB15_1465
.LBB15_1464:
	s_mov_b32 s0, -1
                                        ; implicit-def: $vgpr9
.LBB15_1465:
	s_mov_b32 s7, 0
.LBB15_1466:
	s_delay_alu instid0(SALU_CYCLE_1)
	s_and_b32 vcc_lo, exec_lo, s7
	s_cbranch_vccz .LBB15_1470
; %bb.1467:
	v_cmp_eq_u16_e32 vcc_lo, 29, v5
	s_cbranch_vccz .LBB15_1469
; %bb.1468:
	global_load_b64 v[12:13], v[0:1], off
	s_mov_b32 s0, 0
	s_mov_b32 s6, -1
	s_mov_b32 s7, 0
	s_waitcnt vmcnt(0)
	v_clz_i32_u32_e32 v6, v13
	s_delay_alu instid0(VALU_DEP_1) | instskip(NEXT) | instid1(VALU_DEP_1)
	v_min_u32_e32 v6, 32, v6
	v_lshlrev_b64 v[12:13], v6, v[12:13]
	v_sub_nc_u32_e32 v6, 32, v6
	s_delay_alu instid0(VALU_DEP_2) | instskip(NEXT) | instid1(VALU_DEP_1)
	v_min_u32_e32 v9, 1, v12
	v_or_b32_e32 v9, v13, v9
	s_delay_alu instid0(VALU_DEP_1) | instskip(NEXT) | instid1(VALU_DEP_1)
	v_cvt_f32_u32_e32 v9, v9
	v_ldexp_f32 v9, v9, v6
	s_branch .LBB15_1471
.LBB15_1469:
	s_mov_b32 s0, -1
                                        ; implicit-def: $vgpr9
.LBB15_1470:
	s_mov_b32 s7, 0
.LBB15_1471:
	s_delay_alu instid0(SALU_CYCLE_1)
	s_and_b32 vcc_lo, exec_lo, s7
	s_cbranch_vccz .LBB15_1489
; %bb.1472:
	v_cmp_gt_i16_e32 vcc_lo, 27, v5
	s_cbranch_vccnz .LBB15_1475
; %bb.1473:
	v_cmp_lt_i16_e32 vcc_lo, 27, v5
	s_cbranch_vccz .LBB15_1476
; %bb.1474:
	global_load_b32 v6, v[0:1], off
	s_mov_b32 s6, 0
	s_waitcnt vmcnt(0)
	v_cvt_f32_u32_e32 v9, v6
	s_branch .LBB15_1477
.LBB15_1475:
	s_mov_b32 s6, -1
                                        ; implicit-def: $vgpr9
	s_branch .LBB15_1480
.LBB15_1476:
	s_mov_b32 s6, -1
                                        ; implicit-def: $vgpr9
.LBB15_1477:
	s_delay_alu instid0(SALU_CYCLE_1)
	s_and_not1_b32 vcc_lo, exec_lo, s6
	s_cbranch_vccnz .LBB15_1479
; %bb.1478:
	global_load_u16 v6, v[0:1], off
	s_waitcnt vmcnt(0)
	v_cvt_f32_u32_e32 v9, v6
.LBB15_1479:
	s_mov_b32 s6, 0
.LBB15_1480:
	s_delay_alu instid0(SALU_CYCLE_1)
	s_and_not1_b32 vcc_lo, exec_lo, s6
	s_cbranch_vccnz .LBB15_1488
; %bb.1481:
	global_load_u8 v6, v[0:1], off
	s_mov_b32 s6, 0
	s_mov_b32 s15, exec_lo
                                        ; implicit-def: $sgpr7
	s_waitcnt vmcnt(0)
	v_cmpx_lt_i16_e32 0x7f, v6
	s_xor_b32 s15, exec_lo, s15
	s_cbranch_execz .LBB15_1502
; %bb.1482:
	s_mov_b32 s6, -1
	s_mov_b32 s16, exec_lo
                                        ; implicit-def: $sgpr7
	v_cmpx_eq_u16_e32 0x80, v6
; %bb.1483:
	s_mov_b32 s7, 0x7f800001
	s_xor_b32 s6, exec_lo, -1
; %bb.1484:
	s_or_b32 exec_lo, exec_lo, s16
	s_delay_alu instid0(SALU_CYCLE_1)
	s_and_b32 s6, s6, exec_lo
	s_or_saveexec_b32 s15, s15
	v_mov_b32_e32 v9, s7
	s_xor_b32 exec_lo, exec_lo, s15
	s_cbranch_execnz .LBB15_1503
.LBB15_1485:
	s_or_b32 exec_lo, exec_lo, s15
	s_and_saveexec_b32 s7, s6
	s_cbranch_execz .LBB15_1487
.LBB15_1486:
	v_and_b32_e32 v9, 0xffff, v6
	v_lshlrev_b32_e32 v6, 24, v6
	s_delay_alu instid0(VALU_DEP_2) | instskip(NEXT) | instid1(VALU_DEP_2)
	v_and_b32_e32 v12, 7, v9
	v_and_b32_e32 v6, 0x80000000, v6
	s_delay_alu instid0(VALU_DEP_2) | instskip(NEXT) | instid1(VALU_DEP_1)
	v_clz_i32_u32_e32 v13, v12
	v_min_u32_e32 v13, 32, v13
	s_delay_alu instid0(VALU_DEP_1) | instskip(SKIP_1) | instid1(VALU_DEP_2)
	v_subrev_nc_u32_e32 v14, 28, v13
	v_sub_nc_u32_e32 v13, 29, v13
	v_lshlrev_b32_e32 v14, v14, v9
	v_bfe_u32 v9, v9, 3, 4
	s_delay_alu instid0(VALU_DEP_1) | instskip(NEXT) | instid1(VALU_DEP_3)
	v_cmp_eq_u32_e32 vcc_lo, 0, v9
	v_dual_cndmask_b32 v9, v9, v13 :: v_dual_and_b32 v14, 7, v14
	s_delay_alu instid0(VALU_DEP_1) | instskip(NEXT) | instid1(VALU_DEP_2)
	v_cndmask_b32_e32 v12, v12, v14, vcc_lo
	v_lshl_add_u32 v9, v9, 23, 0x3b800000
	s_delay_alu instid0(VALU_DEP_2) | instskip(NEXT) | instid1(VALU_DEP_1)
	v_lshlrev_b32_e32 v12, 20, v12
	v_or3_b32 v9, v6, v9, v12
.LBB15_1487:
	s_or_b32 exec_lo, exec_lo, s7
.LBB15_1488:
	s_mov_b32 s6, -1
.LBB15_1489:
	s_mov_b32 s7, 0
.LBB15_1490:
	s_delay_alu instid0(SALU_CYCLE_1)
	s_and_b32 vcc_lo, exec_lo, s7
	s_cbranch_vccz .LBB15_1523
; %bb.1491:
	v_cmp_lt_i16_e32 vcc_lo, 22, v5
	s_cbranch_vccz .LBB15_1501
; %bb.1492:
	v_cmp_gt_i16_e32 vcc_lo, 24, v5
	s_cbranch_vccnz .LBB15_1504
; %bb.1493:
	v_cmp_lt_i16_e32 vcc_lo, 24, v5
	s_cbranch_vccz .LBB15_1505
; %bb.1494:
	global_load_u8 v6, v[0:1], off
	s_mov_b32 s7, exec_lo
                                        ; implicit-def: $sgpr6
	s_waitcnt vmcnt(0)
	v_cmpx_lt_i16_e32 0x7f, v6
	s_xor_b32 s7, exec_lo, s7
	s_cbranch_execz .LBB15_1517
; %bb.1495:
	s_mov_b32 s3, -1
	s_mov_b32 s15, exec_lo
                                        ; implicit-def: $sgpr6
	v_cmpx_eq_u16_e32 0x80, v6
; %bb.1496:
	s_mov_b32 s6, 0x7f800001
	s_xor_b32 s3, exec_lo, -1
; %bb.1497:
	s_or_b32 exec_lo, exec_lo, s15
	s_delay_alu instid0(SALU_CYCLE_1)
	s_and_b32 s3, s3, exec_lo
	s_or_saveexec_b32 s7, s7
	v_mov_b32_e32 v9, s6
	s_xor_b32 exec_lo, exec_lo, s7
	s_cbranch_execnz .LBB15_1518
.LBB15_1498:
	s_or_b32 exec_lo, exec_lo, s7
	s_and_saveexec_b32 s6, s3
	s_cbranch_execz .LBB15_1500
.LBB15_1499:
	v_and_b32_e32 v9, 0xffff, v6
	v_lshlrev_b32_e32 v6, 24, v6
	s_delay_alu instid0(VALU_DEP_2) | instskip(NEXT) | instid1(VALU_DEP_2)
	v_and_b32_e32 v12, 3, v9
	v_and_b32_e32 v6, 0x80000000, v6
	s_delay_alu instid0(VALU_DEP_2) | instskip(NEXT) | instid1(VALU_DEP_1)
	v_clz_i32_u32_e32 v13, v12
	v_min_u32_e32 v13, 32, v13
	s_delay_alu instid0(VALU_DEP_1) | instskip(SKIP_1) | instid1(VALU_DEP_2)
	v_subrev_nc_u32_e32 v14, 29, v13
	v_sub_nc_u32_e32 v13, 30, v13
	v_lshlrev_b32_e32 v14, v14, v9
	v_bfe_u32 v9, v9, 2, 5
	s_delay_alu instid0(VALU_DEP_1) | instskip(NEXT) | instid1(VALU_DEP_3)
	v_cmp_eq_u32_e32 vcc_lo, 0, v9
	v_dual_cndmask_b32 v9, v9, v13 :: v_dual_and_b32 v14, 3, v14
	s_delay_alu instid0(VALU_DEP_1) | instskip(NEXT) | instid1(VALU_DEP_2)
	v_cndmask_b32_e32 v12, v12, v14, vcc_lo
	v_lshl_add_u32 v9, v9, 23, 0x37800000
	s_delay_alu instid0(VALU_DEP_2) | instskip(NEXT) | instid1(VALU_DEP_1)
	v_lshlrev_b32_e32 v12, 21, v12
	v_or3_b32 v9, v6, v9, v12
.LBB15_1500:
	s_or_b32 exec_lo, exec_lo, s6
	s_mov_b32 s3, 0
	s_branch .LBB15_1506
.LBB15_1501:
	s_mov_b32 s3, -1
                                        ; implicit-def: $vgpr9
	s_branch .LBB15_1512
.LBB15_1502:
	s_or_saveexec_b32 s15, s15
	v_mov_b32_e32 v9, s7
	s_xor_b32 exec_lo, exec_lo, s15
	s_cbranch_execz .LBB15_1485
.LBB15_1503:
	v_cmp_ne_u16_e32 vcc_lo, 0, v6
	v_mov_b32_e32 v9, 0
	s_and_not1_b32 s6, s6, exec_lo
	s_and_b32 s7, vcc_lo, exec_lo
	s_delay_alu instid0(SALU_CYCLE_1)
	s_or_b32 s6, s6, s7
	s_or_b32 exec_lo, exec_lo, s15
	s_and_saveexec_b32 s7, s6
	s_cbranch_execnz .LBB15_1486
	s_branch .LBB15_1487
.LBB15_1504:
	s_mov_b32 s3, -1
                                        ; implicit-def: $vgpr9
	s_branch .LBB15_1509
.LBB15_1505:
	s_mov_b32 s3, -1
                                        ; implicit-def: $vgpr9
.LBB15_1506:
	s_delay_alu instid0(SALU_CYCLE_1)
	s_and_b32 vcc_lo, exec_lo, s3
	s_cbranch_vccz .LBB15_1508
; %bb.1507:
	global_load_u8 v6, v[0:1], off
	s_waitcnt vmcnt(0)
	v_lshlrev_b32_e32 v6, 24, v6
	s_delay_alu instid0(VALU_DEP_1) | instskip(NEXT) | instid1(VALU_DEP_1)
	v_and_b32_e32 v9, 0x7f000000, v6
	v_clz_i32_u32_e32 v12, v9
	v_add_nc_u32_e32 v14, 0x1000000, v9
	v_cmp_ne_u32_e32 vcc_lo, 0, v9
	s_delay_alu instid0(VALU_DEP_3) | instskip(NEXT) | instid1(VALU_DEP_1)
	v_min_u32_e32 v12, 32, v12
	v_sub_nc_u32_e64 v12, v12, 4 clamp
	s_delay_alu instid0(VALU_DEP_1) | instskip(SKIP_1) | instid1(VALU_DEP_2)
	v_lshlrev_b32_e32 v13, v12, v9
	v_lshlrev_b32_e32 v12, 23, v12
	v_lshrrev_b32_e32 v13, 4, v13
	s_delay_alu instid0(VALU_DEP_1) | instskip(SKIP_1) | instid1(VALU_DEP_2)
	v_sub_nc_u32_e32 v12, v13, v12
	v_ashrrev_i32_e32 v13, 8, v14
	v_add_nc_u32_e32 v12, 0x3c000000, v12
	s_delay_alu instid0(VALU_DEP_1) | instskip(NEXT) | instid1(VALU_DEP_1)
	v_and_or_b32 v12, 0x7f800000, v13, v12
	v_cndmask_b32_e32 v9, 0, v12, vcc_lo
	s_delay_alu instid0(VALU_DEP_1)
	v_and_or_b32 v9, 0x80000000, v6, v9
.LBB15_1508:
	s_mov_b32 s3, 0
.LBB15_1509:
	s_delay_alu instid0(SALU_CYCLE_1)
	s_and_not1_b32 vcc_lo, exec_lo, s3
	s_cbranch_vccnz .LBB15_1511
; %bb.1510:
	global_load_u8 v6, v[0:1], off
	s_waitcnt vmcnt(0)
	v_lshlrev_b32_e32 v9, 25, v6
	v_lshlrev_b16 v6, 8, v6
	s_delay_alu instid0(VALU_DEP_2) | instskip(NEXT) | instid1(VALU_DEP_2)
	v_lshrrev_b32_e32 v12, 4, v9
	v_and_or_b32 v13, 0x7f00, v6, 0.5
	v_bfe_i32 v6, v6, 0, 16
	s_delay_alu instid0(VALU_DEP_3) | instskip(NEXT) | instid1(VALU_DEP_1)
	v_or_b32_e32 v12, 0x70000000, v12
	v_dual_add_f32 v13, -0.5, v13 :: v_dual_mul_f32 v12, 0x7800000, v12
	v_cmp_gt_u32_e32 vcc_lo, 0x8000000, v9
	s_delay_alu instid0(VALU_DEP_2) | instskip(NEXT) | instid1(VALU_DEP_1)
	v_cndmask_b32_e32 v9, v12, v13, vcc_lo
	v_and_or_b32 v9, 0x80000000, v6, v9
.LBB15_1511:
	s_mov_b32 s3, 0
	s_mov_b32 s6, -1
.LBB15_1512:
	s_and_not1_b32 vcc_lo, exec_lo, s3
	s_mov_b32 s3, 0
	s_cbranch_vccnz .LBB15_1523
; %bb.1513:
	v_cmp_lt_i16_e32 vcc_lo, 14, v5
	s_cbranch_vccz .LBB15_1516
; %bb.1514:
	v_cmp_eq_u16_e32 vcc_lo, 15, v5
	s_cbranch_vccz .LBB15_1519
; %bb.1515:
	global_load_u16 v6, v[0:1], off
	s_mov_b32 s0, 0
	s_mov_b32 s6, -1
	s_waitcnt vmcnt(0)
	v_lshlrev_b32_e32 v9, 16, v6
	s_branch .LBB15_1521
.LBB15_1516:
	s_mov_b32 s3, -1
	s_branch .LBB15_1520
.LBB15_1517:
	s_or_saveexec_b32 s7, s7
	v_mov_b32_e32 v9, s6
	s_xor_b32 exec_lo, exec_lo, s7
	s_cbranch_execz .LBB15_1498
.LBB15_1518:
	v_cmp_ne_u16_e32 vcc_lo, 0, v6
	v_mov_b32_e32 v9, 0
	s_and_not1_b32 s3, s3, exec_lo
	s_and_b32 s6, vcc_lo, exec_lo
	s_delay_alu instid0(SALU_CYCLE_1)
	s_or_b32 s3, s3, s6
	s_or_b32 exec_lo, exec_lo, s7
	s_and_saveexec_b32 s6, s3
	s_cbranch_execnz .LBB15_1499
	s_branch .LBB15_1500
.LBB15_1519:
	s_mov_b32 s0, -1
.LBB15_1520:
                                        ; implicit-def: $vgpr9
.LBB15_1521:
	s_and_b32 vcc_lo, exec_lo, s3
	s_mov_b32 s3, 0
	s_cbranch_vccz .LBB15_1523
; %bb.1522:
	v_cmp_ne_u16_e64 s0, 11, v5
	s_mov_b32 s3, -1
                                        ; implicit-def: $vgpr9
.LBB15_1523:
	s_delay_alu instid0(VALU_DEP_1)
	s_and_b32 vcc_lo, exec_lo, s0
	s_cbranch_vccnz .LBB15_2058
; %bb.1524:
	s_and_not1_b32 vcc_lo, exec_lo, s3
	s_cbranch_vccnz .LBB15_1526
.LBB15_1525:
	global_load_u8 v6, v[0:1], off
	s_mov_b32 s6, -1
	s_waitcnt vmcnt(0)
	v_cmp_ne_u16_e32 vcc_lo, 0, v6
	v_cndmask_b32_e64 v9, 0, 1.0, vcc_lo
.LBB15_1526:
	s_mov_b32 s0, 0
.LBB15_1527:
	s_delay_alu instid0(SALU_CYCLE_1)
	s_and_b32 vcc_lo, exec_lo, s0
	s_cbranch_vccz .LBB15_1576
; %bb.1528:
	v_cmp_gt_i16_e32 vcc_lo, 5, v5
	s_cbranch_vccnz .LBB15_1533
; %bb.1529:
	v_cmp_gt_i16_e32 vcc_lo, 8, v5
	s_cbranch_vccnz .LBB15_1534
	;; [unrolled: 3-line block ×3, first 2 shown]
; %bb.1531:
	v_cmp_lt_i16_e32 vcc_lo, 9, v5
	s_cbranch_vccz .LBB15_1536
; %bb.1532:
	global_load_b64 v[12:13], v[0:1], off
	s_mov_b32 s0, 0
	s_waitcnt vmcnt(0)
	v_cvt_f32_f64_e32 v9, v[12:13]
	s_branch .LBB15_1537
.LBB15_1533:
	s_mov_b32 s0, -1
                                        ; implicit-def: $vgpr9
	s_branch .LBB15_1555
.LBB15_1534:
	s_mov_b32 s0, -1
                                        ; implicit-def: $vgpr9
	s_branch .LBB15_1543
.LBB15_1535:
	s_mov_b32 s0, -1
                                        ; implicit-def: $vgpr9
	s_branch .LBB15_1540
.LBB15_1536:
	s_mov_b32 s0, -1
                                        ; implicit-def: $vgpr9
.LBB15_1537:
	s_delay_alu instid0(SALU_CYCLE_1)
	s_and_not1_b32 vcc_lo, exec_lo, s0
	s_cbranch_vccnz .LBB15_1539
; %bb.1538:
	global_load_b32 v9, v[0:1], off
.LBB15_1539:
	s_mov_b32 s0, 0
.LBB15_1540:
	s_delay_alu instid0(SALU_CYCLE_1)
	s_and_not1_b32 vcc_lo, exec_lo, s0
	s_cbranch_vccnz .LBB15_1542
; %bb.1541:
	global_load_b32 v6, v[0:1], off
	s_waitcnt vmcnt(0)
	v_cvt_f32_f16_e32 v9, v6
.LBB15_1542:
	s_mov_b32 s0, 0
.LBB15_1543:
	s_delay_alu instid0(SALU_CYCLE_1)
	s_and_not1_b32 vcc_lo, exec_lo, s0
	s_cbranch_vccnz .LBB15_1554
; %bb.1544:
	v_cmp_gt_i16_e32 vcc_lo, 6, v5
	s_cbranch_vccnz .LBB15_1547
; %bb.1545:
	v_cmp_lt_i16_e32 vcc_lo, 6, v5
	s_cbranch_vccz .LBB15_1548
; %bb.1546:
	global_load_b64 v[12:13], v[0:1], off
	s_mov_b32 s0, 0
	s_waitcnt vmcnt(0)
	v_cvt_f32_f64_e32 v9, v[12:13]
	s_branch .LBB15_1549
.LBB15_1547:
	s_mov_b32 s0, -1
                                        ; implicit-def: $vgpr9
	s_branch .LBB15_1552
.LBB15_1548:
	s_mov_b32 s0, -1
                                        ; implicit-def: $vgpr9
.LBB15_1549:
	s_delay_alu instid0(SALU_CYCLE_1)
	s_and_not1_b32 vcc_lo, exec_lo, s0
	s_cbranch_vccnz .LBB15_1551
; %bb.1550:
	global_load_b32 v9, v[0:1], off
.LBB15_1551:
	s_mov_b32 s0, 0
.LBB15_1552:
	s_delay_alu instid0(SALU_CYCLE_1)
	s_and_not1_b32 vcc_lo, exec_lo, s0
	s_cbranch_vccnz .LBB15_1554
; %bb.1553:
	global_load_u16 v6, v[0:1], off
	s_waitcnt vmcnt(0)
	v_cvt_f32_f16_e32 v9, v6
.LBB15_1554:
	s_mov_b32 s0, 0
.LBB15_1555:
	s_delay_alu instid0(SALU_CYCLE_1)
	s_and_not1_b32 vcc_lo, exec_lo, s0
	s_cbranch_vccnz .LBB15_1575
; %bb.1556:
	v_cmp_gt_i16_e32 vcc_lo, 2, v5
	s_cbranch_vccnz .LBB15_1560
; %bb.1557:
	v_cmp_gt_i16_e32 vcc_lo, 3, v5
	s_cbranch_vccnz .LBB15_1561
; %bb.1558:
	v_cmp_lt_i16_e32 vcc_lo, 3, v5
	s_cbranch_vccz .LBB15_1562
; %bb.1559:
	global_load_b64 v[12:13], v[0:1], off
	s_mov_b32 s0, 0
	s_waitcnt vmcnt(0)
	v_xor_b32_e32 v6, v12, v13
	v_cls_i32_e32 v9, v13
	s_delay_alu instid0(VALU_DEP_2) | instskip(NEXT) | instid1(VALU_DEP_2)
	v_ashrrev_i32_e32 v6, 31, v6
	v_add_nc_u32_e32 v9, -1, v9
	s_delay_alu instid0(VALU_DEP_2) | instskip(NEXT) | instid1(VALU_DEP_1)
	v_add_nc_u32_e32 v6, 32, v6
	v_min_u32_e32 v6, v9, v6
	s_delay_alu instid0(VALU_DEP_1) | instskip(SKIP_1) | instid1(VALU_DEP_2)
	v_lshlrev_b64 v[12:13], v6, v[12:13]
	v_sub_nc_u32_e32 v6, 32, v6
	v_min_u32_e32 v9, 1, v12
	s_delay_alu instid0(VALU_DEP_1) | instskip(NEXT) | instid1(VALU_DEP_1)
	v_or_b32_e32 v9, v13, v9
	v_cvt_f32_i32_e32 v9, v9
	s_delay_alu instid0(VALU_DEP_1)
	v_ldexp_f32 v9, v9, v6
	s_branch .LBB15_1563
.LBB15_1560:
	s_mov_b32 s0, -1
                                        ; implicit-def: $vgpr9
	s_branch .LBB15_1569
.LBB15_1561:
	s_mov_b32 s0, -1
                                        ; implicit-def: $vgpr9
	s_branch .LBB15_1566
.LBB15_1562:
	s_mov_b32 s0, -1
                                        ; implicit-def: $vgpr9
.LBB15_1563:
	s_delay_alu instid0(SALU_CYCLE_1)
	s_and_not1_b32 vcc_lo, exec_lo, s0
	s_cbranch_vccnz .LBB15_1565
; %bb.1564:
	global_load_b32 v6, v[0:1], off
	s_waitcnt vmcnt(0)
	v_cvt_f32_i32_e32 v9, v6
.LBB15_1565:
	s_mov_b32 s0, 0
.LBB15_1566:
	s_delay_alu instid0(SALU_CYCLE_1)
	s_and_not1_b32 vcc_lo, exec_lo, s0
	s_cbranch_vccnz .LBB15_1568
; %bb.1567:
	global_load_i16 v6, v[0:1], off
	s_waitcnt vmcnt(0)
	v_cvt_f32_i32_e32 v9, v6
.LBB15_1568:
	s_mov_b32 s0, 0
.LBB15_1569:
	s_delay_alu instid0(SALU_CYCLE_1)
	s_and_not1_b32 vcc_lo, exec_lo, s0
	s_cbranch_vccnz .LBB15_1575
; %bb.1570:
	v_cmp_lt_i16_e32 vcc_lo, 0, v5
	s_mov_b32 s0, 0
	s_cbranch_vccz .LBB15_1572
; %bb.1571:
	global_load_i8 v5, v[0:1], off
	s_waitcnt vmcnt(0)
	v_cvt_f32_i32_e32 v9, v5
	s_branch .LBB15_1573
.LBB15_1572:
	s_mov_b32 s0, -1
                                        ; implicit-def: $vgpr9
.LBB15_1573:
	s_delay_alu instid0(SALU_CYCLE_1)
	s_and_not1_b32 vcc_lo, exec_lo, s0
	s_cbranch_vccnz .LBB15_1575
; %bb.1574:
	global_load_u8 v0, v[0:1], off
	s_waitcnt vmcnt(0)
	v_cvt_f32_ubyte0_e32 v9, v0
.LBB15_1575:
	s_mov_b32 s6, -1
.LBB15_1576:
	s_delay_alu instid0(SALU_CYCLE_1)
	s_and_not1_b32 vcc_lo, exec_lo, s6
	s_cbranch_vccnz .LBB15_2012
; %bb.1577:
	s_waitcnt vmcnt(0)
	v_mov_b32_e32 v5, v11
	s_mov_b32 s0, exec_lo
	s_delay_alu instid0(VALU_DEP_2)
	v_cmpx_nlg_f32_e64 0x7f800000, |v9|
	s_cbranch_execz .LBB15_1579
; %bb.1578:
	v_dual_mov_b32 v0, 0 :: v_dual_mov_b32 v1, 1.0
	global_store_b32 v0, v1, s[8:9]
	global_load_b32 v5, v0, s[10:11]
.LBB15_1579:
	s_or_b32 exec_lo, exec_lo, s0
	v_mul_lo_u32 v4, s2, v4
	v_mul_f32_e32 v0, v2, v3
	v_and_b32_e64 v6, 0xff, s12
	v_cmp_eq_f32_e32 vcc_lo, 1.0, v3
	s_delay_alu instid0(VALU_DEP_3) | instskip(SKIP_1) | instid1(VALU_DEP_4)
	v_cndmask_b32_e32 v2, v0, v2, vcc_lo
	v_ashrrev_i32_e32 v1, 31, v4
	v_cmp_gt_i16_e32 vcc_lo, 11, v6
	v_add_co_u32 v0, s0, s4, v4
	s_delay_alu instid0(VALU_DEP_1)
	v_add_co_ci_u32_e64 v1, s0, s5, v1, s0
	s_cbranch_vccnz .LBB15_1657
; %bb.1580:
	v_cmp_lt_i16_e32 vcc_lo, 25, v6
	s_mov_b32 s7, -1
	s_mov_b32 s3, 0
	s_mov_b32 s6, 0
	;; [unrolled: 1-line block ×3, first 2 shown]
	s_cbranch_vccz .LBB15_1613
; %bb.1581:
	v_cmp_lt_i16_e32 vcc_lo, 28, v6
	s_cbranch_vccz .LBB15_1596
; %bb.1582:
	v_cmp_lt_i16_e32 vcc_lo, 43, v6
	;; [unrolled: 3-line block ×3, first 2 shown]
	s_cbranch_vccz .LBB15_1586
; %bb.1584:
	v_cmp_eq_u16_e32 vcc_lo, 46, v6
	s_mov_b32 s0, -1
	s_mov_b32 s7, 0
	s_cbranch_vccz .LBB15_1586
; %bb.1585:
	v_bfe_u32 v3, v2, 16, 1
	v_cmp_o_f32_e32 vcc_lo, v2, v2
	s_mov_b32 s0, 0
	s_mov_b32 s6, -1
	s_delay_alu instid0(VALU_DEP_2) | instskip(NEXT) | instid1(VALU_DEP_1)
	v_add3_u32 v3, v2, v3, 0x7fff
	v_lshrrev_b32_e32 v3, 16, v3
	s_delay_alu instid0(VALU_DEP_1)
	v_cndmask_b32_e32 v3, 0x7fc0, v3, vcc_lo
	global_store_b32 v[0:1], v3, off
.LBB15_1586:
	s_and_b32 vcc_lo, exec_lo, s7
	s_cbranch_vccz .LBB15_1591
; %bb.1587:
	v_cmp_eq_u16_e32 vcc_lo, 44, v6
	s_mov_b32 s0, -1
	s_cbranch_vccz .LBB15_1591
; %bb.1588:
	v_bfe_u32 v12, v2, 23, 8
	v_mov_b32_e32 v3, 0xff
	s_mov_b32 s6, exec_lo
	s_delay_alu instid0(VALU_DEP_2)
	v_cmpx_ne_u32_e32 0xff, v12
; %bb.1589:
	v_and_b32_e32 v3, 0x400000, v2
	v_and_or_b32 v12, 0x3fffff, v2, v12
	s_delay_alu instid0(VALU_DEP_2) | instskip(NEXT) | instid1(VALU_DEP_2)
	v_cmp_ne_u32_e32 vcc_lo, 0, v3
	v_cmp_ne_u32_e64 s0, 0, v12
	v_lshrrev_b32_e32 v3, 23, v2
	s_delay_alu instid0(VALU_DEP_2) | instskip(NEXT) | instid1(SALU_CYCLE_1)
	s_and_b32 s0, vcc_lo, s0
	v_cndmask_b32_e64 v12, 0, 1, s0
	s_delay_alu instid0(VALU_DEP_1)
	v_add_nc_u32_e32 v3, v3, v12
; %bb.1590:
	s_or_b32 exec_lo, exec_lo, s6
	s_mov_b32 s0, 0
	s_mov_b32 s6, -1
	global_store_b8 v[0:1], v3, off
.LBB15_1591:
	s_mov_b32 s7, 0
.LBB15_1592:
	s_delay_alu instid0(SALU_CYCLE_1)
	s_and_b32 vcc_lo, exec_lo, s7
	s_cbranch_vccz .LBB15_1595
; %bb.1593:
	v_cmp_eq_u16_e32 vcc_lo, 29, v6
	s_mov_b32 s0, -1
	s_cbranch_vccz .LBB15_1595
; %bb.1594:
	v_trunc_f32_e32 v3, v2
	s_mov_b32 s0, 0
	s_mov_b32 s6, -1
	s_delay_alu instid0(VALU_DEP_1) | instskip(NEXT) | instid1(VALU_DEP_1)
	v_mul_f32_e32 v12, 0x2f800000, v3
	v_floor_f32_e32 v12, v12
	s_delay_alu instid0(VALU_DEP_1) | instskip(SKIP_1) | instid1(VALU_DEP_2)
	v_fmamk_f32 v3, v12, 0xcf800000, v3
	v_cvt_u32_f32_e32 v13, v12
	v_cvt_u32_f32_e32 v12, v3
	global_store_b64 v[0:1], v[12:13], off
.LBB15_1595:
	s_mov_b32 s7, 0
.LBB15_1596:
	s_delay_alu instid0(SALU_CYCLE_1)
	s_and_b32 vcc_lo, exec_lo, s7
	s_cbranch_vccz .LBB15_1612
; %bb.1597:
	v_cmp_gt_i16_e32 vcc_lo, 27, v6
	s_mov_b32 s6, -1
	s_cbranch_vccnz .LBB15_1603
; %bb.1598:
	v_cmp_lt_i16_e32 vcc_lo, 27, v6
	v_cvt_u32_f32_e32 v3, v2
	s_cbranch_vccz .LBB15_1600
; %bb.1599:
	s_mov_b32 s6, 0
	global_store_b32 v[0:1], v3, off
.LBB15_1600:
	s_and_not1_b32 vcc_lo, exec_lo, s6
	s_cbranch_vccnz .LBB15_1602
; %bb.1601:
	global_store_b16 v[0:1], v3, off
.LBB15_1602:
	s_mov_b32 s6, 0
.LBB15_1603:
	s_delay_alu instid0(SALU_CYCLE_1)
	s_and_not1_b32 vcc_lo, exec_lo, s6
	s_cbranch_vccnz .LBB15_1611
; %bb.1604:
	v_and_b32_e32 v3, 0x7fffffff, v2
	v_mov_b32_e32 v12, 0x80
	s_mov_b32 s6, exec_lo
	s_delay_alu instid0(VALU_DEP_2)
	v_cmpx_gt_u32_e32 0x43800000, v3
	s_cbranch_execz .LBB15_1610
; %bb.1605:
	v_cmp_lt_u32_e32 vcc_lo, 0x3bffffff, v3
	s_mov_b32 s7, 0
                                        ; implicit-def: $vgpr3
	s_and_saveexec_b32 s8, vcc_lo
	s_delay_alu instid0(SALU_CYCLE_1)
	s_xor_b32 s8, exec_lo, s8
	s_cbranch_execz .LBB15_2060
; %bb.1606:
	v_bfe_u32 v3, v2, 20, 1
	s_mov_b32 s7, exec_lo
	s_delay_alu instid0(VALU_DEP_1) | instskip(NEXT) | instid1(VALU_DEP_1)
	v_add3_u32 v3, v2, v3, 0x487ffff
	v_lshrrev_b32_e32 v3, 20, v3
	s_or_saveexec_b32 s8, s8
                                        ; implicit-def: $sgpr9
	s_delay_alu instid0(SALU_CYCLE_1)
	s_xor_b32 exec_lo, exec_lo, s8
	s_cbranch_execnz .LBB15_2061
.LBB15_1607:
	s_or_b32 exec_lo, exec_lo, s8
	v_mov_b32_e32 v12, s9
	s_and_saveexec_b32 s8, s7
.LBB15_1608:
	v_lshrrev_b32_e32 v12, 24, v2
	s_delay_alu instid0(VALU_DEP_1)
	v_and_or_b32 v12, 0x80, v12, v3
.LBB15_1609:
	s_or_b32 exec_lo, exec_lo, s8
.LBB15_1610:
	s_delay_alu instid0(SALU_CYCLE_1)
	s_or_b32 exec_lo, exec_lo, s6
	global_store_b8 v[0:1], v12, off
.LBB15_1611:
	s_mov_b32 s6, -1
.LBB15_1612:
	s_mov_b32 s7, 0
.LBB15_1613:
	s_delay_alu instid0(SALU_CYCLE_1)
	s_and_b32 vcc_lo, exec_lo, s7
	s_cbranch_vccz .LBB15_1653
; %bb.1614:
	v_cmp_lt_i16_e32 vcc_lo, 22, v6
	s_mov_b32 s3, -1
	s_cbranch_vccz .LBB15_1646
; %bb.1615:
	v_cmp_gt_i16_e32 vcc_lo, 24, v6
	s_cbranch_vccnz .LBB15_1635
; %bb.1616:
	v_cmp_lt_i16_e32 vcc_lo, 24, v6
	s_cbranch_vccz .LBB15_1624
; %bb.1617:
	v_and_b32_e32 v3, 0x7fffffff, v2
	v_mov_b32_e32 v12, 0x80
	s_mov_b32 s3, exec_lo
	s_delay_alu instid0(VALU_DEP_2)
	v_cmpx_gt_u32_e32 0x47800000, v3
	s_cbranch_execz .LBB15_1623
; %bb.1618:
	v_cmp_lt_u32_e32 vcc_lo, 0x37ffffff, v3
	s_mov_b32 s6, 0
                                        ; implicit-def: $vgpr3
	s_and_saveexec_b32 s7, vcc_lo
	s_delay_alu instid0(SALU_CYCLE_1)
	s_xor_b32 s7, exec_lo, s7
	s_cbranch_execz .LBB15_2066
; %bb.1619:
	v_bfe_u32 v3, v2, 21, 1
	s_mov_b32 s6, exec_lo
	s_delay_alu instid0(VALU_DEP_1) | instskip(NEXT) | instid1(VALU_DEP_1)
	v_add3_u32 v3, v2, v3, 0x88fffff
	v_lshrrev_b32_e32 v3, 21, v3
	s_or_saveexec_b32 s7, s7
                                        ; implicit-def: $sgpr8
	s_delay_alu instid0(SALU_CYCLE_1)
	s_xor_b32 exec_lo, exec_lo, s7
	s_cbranch_execnz .LBB15_2067
.LBB15_1620:
	s_or_b32 exec_lo, exec_lo, s7
	v_mov_b32_e32 v12, s8
	s_and_saveexec_b32 s7, s6
.LBB15_1621:
	v_lshrrev_b32_e32 v12, 24, v2
	s_delay_alu instid0(VALU_DEP_1)
	v_and_or_b32 v12, 0x80, v12, v3
.LBB15_1622:
	s_or_b32 exec_lo, exec_lo, s7
.LBB15_1623:
	s_delay_alu instid0(SALU_CYCLE_1)
	s_or_b32 exec_lo, exec_lo, s3
	s_mov_b32 s3, 0
	global_store_b8 v[0:1], v12, off
.LBB15_1624:
	s_and_b32 vcc_lo, exec_lo, s3
	s_cbranch_vccz .LBB15_1634
; %bb.1625:
	v_and_b32_e32 v12, 0x7fffffff, v2
	s_mov_b32 s3, exec_lo
                                        ; implicit-def: $vgpr3
	s_delay_alu instid0(VALU_DEP_1)
	v_cmpx_gt_u32_e32 0x43f00000, v12
	s_xor_b32 s3, exec_lo, s3
	s_cbranch_execz .LBB15_1631
; %bb.1626:
	s_mov_b32 s6, exec_lo
                                        ; implicit-def: $vgpr3
	v_cmpx_lt_u32_e32 0x3c7fffff, v12
	s_xor_b32 s6, exec_lo, s6
; %bb.1627:
	v_bfe_u32 v3, v2, 20, 1
	s_delay_alu instid0(VALU_DEP_1) | instskip(NEXT) | instid1(VALU_DEP_1)
	v_add3_u32 v3, v2, v3, 0x407ffff
	v_and_b32_e32 v12, 0xff00000, v3
	v_lshrrev_b32_e32 v3, 20, v3
	s_delay_alu instid0(VALU_DEP_2) | instskip(NEXT) | instid1(VALU_DEP_2)
	v_cmp_ne_u32_e32 vcc_lo, 0x7f00000, v12
	v_cndmask_b32_e32 v3, 0x7e, v3, vcc_lo
; %bb.1628:
	s_and_not1_saveexec_b32 s6, s6
; %bb.1629:
	v_add_f32_e64 v3, 0x46800000, |v2|
; %bb.1630:
	s_or_b32 exec_lo, exec_lo, s6
                                        ; implicit-def: $vgpr12
.LBB15_1631:
	s_and_not1_saveexec_b32 s3, s3
; %bb.1632:
	v_mov_b32_e32 v3, 0x7f
	v_cmp_lt_u32_e32 vcc_lo, 0x7f800000, v12
	s_delay_alu instid0(VALU_DEP_2)
	v_cndmask_b32_e32 v3, 0x7e, v3, vcc_lo
; %bb.1633:
	s_or_b32 exec_lo, exec_lo, s3
	v_lshrrev_b32_e32 v12, 24, v2
	s_delay_alu instid0(VALU_DEP_1)
	v_and_or_b32 v3, 0x80, v12, v3
	global_store_b8 v[0:1], v3, off
.LBB15_1634:
	s_mov_b32 s3, 0
.LBB15_1635:
	s_delay_alu instid0(SALU_CYCLE_1)
	s_and_not1_b32 vcc_lo, exec_lo, s3
	s_cbranch_vccnz .LBB15_1645
; %bb.1636:
	v_and_b32_e32 v12, 0x7fffffff, v2
	s_mov_b32 s3, exec_lo
                                        ; implicit-def: $vgpr3
	s_delay_alu instid0(VALU_DEP_1)
	v_cmpx_gt_u32_e32 0x47800000, v12
	s_xor_b32 s3, exec_lo, s3
	s_cbranch_execz .LBB15_1642
; %bb.1637:
	s_mov_b32 s6, exec_lo
                                        ; implicit-def: $vgpr3
	v_cmpx_lt_u32_e32 0x387fffff, v12
	s_xor_b32 s6, exec_lo, s6
; %bb.1638:
	v_bfe_u32 v3, v2, 21, 1
	s_delay_alu instid0(VALU_DEP_1) | instskip(NEXT) | instid1(VALU_DEP_1)
	v_add3_u32 v3, v2, v3, 0x80fffff
	v_lshrrev_b32_e32 v3, 21, v3
; %bb.1639:
	s_and_not1_saveexec_b32 s6, s6
; %bb.1640:
	v_add_f32_e64 v3, 0x43000000, |v2|
; %bb.1641:
	s_or_b32 exec_lo, exec_lo, s6
                                        ; implicit-def: $vgpr12
.LBB15_1642:
	s_and_not1_saveexec_b32 s3, s3
; %bb.1643:
	v_mov_b32_e32 v3, 0x7f
	v_cmp_lt_u32_e32 vcc_lo, 0x7f800000, v12
	s_delay_alu instid0(VALU_DEP_2)
	v_cndmask_b32_e32 v3, 0x7c, v3, vcc_lo
; %bb.1644:
	s_or_b32 exec_lo, exec_lo, s3
	v_lshrrev_b32_e32 v12, 24, v2
	s_delay_alu instid0(VALU_DEP_1)
	v_and_or_b32 v3, 0x80, v12, v3
	global_store_b8 v[0:1], v3, off
.LBB15_1645:
	s_mov_b32 s3, 0
	s_mov_b32 s6, -1
.LBB15_1646:
	s_and_not1_b32 vcc_lo, exec_lo, s3
	s_mov_b32 s3, 0
	s_cbranch_vccnz .LBB15_1653
; %bb.1647:
	v_cmp_lt_i16_e32 vcc_lo, 14, v6
	s_mov_b32 s3, -1
	s_cbranch_vccz .LBB15_1651
; %bb.1648:
	v_cmp_eq_u16_e32 vcc_lo, 15, v6
	s_mov_b32 s0, -1
	s_cbranch_vccz .LBB15_1650
; %bb.1649:
	v_bfe_u32 v3, v2, 16, 1
	v_cmp_o_f32_e32 vcc_lo, v2, v2
	s_mov_b32 s0, 0
	s_mov_b32 s6, -1
	s_delay_alu instid0(VALU_DEP_2) | instskip(NEXT) | instid1(VALU_DEP_1)
	v_add3_u32 v3, v2, v3, 0x7fff
	v_lshrrev_b32_e32 v3, 16, v3
	s_delay_alu instid0(VALU_DEP_1)
	v_cndmask_b32_e32 v3, 0x7fc0, v3, vcc_lo
	global_store_b16 v[0:1], v3, off
.LBB15_1650:
	s_mov_b32 s3, 0
.LBB15_1651:
	s_delay_alu instid0(SALU_CYCLE_1)
	s_and_b32 vcc_lo, exec_lo, s3
	s_mov_b32 s3, 0
	s_cbranch_vccz .LBB15_1653
; %bb.1652:
	v_cmp_ne_u16_e64 s0, 11, v6
	s_mov_b32 s3, -1
.LBB15_1653:
	s_delay_alu instid0(VALU_DEP_1)
	s_and_b32 vcc_lo, exec_lo, s0
	s_cbranch_vccnz .LBB15_2064
; %bb.1654:
	s_and_not1_b32 vcc_lo, exec_lo, s3
	s_cbranch_vccnz .LBB15_1656
.LBB15_1655:
	v_cmp_neq_f32_e32 vcc_lo, 0, v2
	s_mov_b32 s6, -1
	v_cndmask_b32_e64 v3, 0, 1, vcc_lo
	global_store_b8 v[0:1], v3, off
.LBB15_1656:
	s_mov_b32 s0, 0
	s_branch .LBB15_1658
.LBB15_1657:
	s_mov_b32 s0, -1
	s_mov_b32 s6, 0
.LBB15_1658:
	s_and_b32 vcc_lo, exec_lo, s0
	s_cbranch_vccz .LBB15_1697
; %bb.1659:
	v_cmp_gt_i16_e32 vcc_lo, 5, v6
	s_mov_b32 s0, -1
	s_cbranch_vccnz .LBB15_1680
; %bb.1660:
	v_cmp_gt_i16_e32 vcc_lo, 8, v6
	s_cbranch_vccnz .LBB15_1670
; %bb.1661:
	v_cmp_gt_i16_e32 vcc_lo, 9, v6
	s_cbranch_vccnz .LBB15_1667
; %bb.1662:
	v_cmp_lt_i16_e32 vcc_lo, 9, v6
	s_cbranch_vccz .LBB15_1664
; %bb.1663:
	v_cvt_f64_f32_e32 v[12:13], v2
	v_mov_b32_e32 v14, 0
	s_mov_b32 s0, 0
	s_delay_alu instid0(VALU_DEP_1)
	v_mov_b32_e32 v15, v14
	global_store_b128 v[0:1], v[12:15], off
.LBB15_1664:
	s_and_not1_b32 vcc_lo, exec_lo, s0
	s_cbranch_vccnz .LBB15_1666
; %bb.1665:
	v_mov_b32_e32 v3, 0
	global_store_b64 v[0:1], v[2:3], off
.LBB15_1666:
	s_mov_b32 s0, 0
.LBB15_1667:
	s_delay_alu instid0(SALU_CYCLE_1)
	s_and_not1_b32 vcc_lo, exec_lo, s0
	s_cbranch_vccnz .LBB15_1669
; %bb.1668:
	v_cvt_f16_f32_e32 v3, v2
	s_delay_alu instid0(VALU_DEP_1)
	v_and_b32_e32 v3, 0xffff, v3
	global_store_b32 v[0:1], v3, off
.LBB15_1669:
	s_mov_b32 s0, 0
.LBB15_1670:
	s_delay_alu instid0(SALU_CYCLE_1)
	s_and_not1_b32 vcc_lo, exec_lo, s0
	s_cbranch_vccnz .LBB15_1679
; %bb.1671:
	v_cmp_gt_i16_e32 vcc_lo, 6, v6
	s_mov_b32 s0, -1
	s_cbranch_vccnz .LBB15_1677
; %bb.1672:
	v_cmp_lt_i16_e32 vcc_lo, 6, v6
	s_cbranch_vccz .LBB15_1674
; %bb.1673:
	v_cvt_f64_f32_e32 v[12:13], v2
	s_mov_b32 s0, 0
	global_store_b64 v[0:1], v[12:13], off
.LBB15_1674:
	s_and_not1_b32 vcc_lo, exec_lo, s0
	s_cbranch_vccnz .LBB15_1676
; %bb.1675:
	global_store_b32 v[0:1], v2, off
.LBB15_1676:
	s_mov_b32 s0, 0
.LBB15_1677:
	s_delay_alu instid0(SALU_CYCLE_1)
	s_and_not1_b32 vcc_lo, exec_lo, s0
	s_cbranch_vccnz .LBB15_1679
; %bb.1678:
	v_cvt_f16_f32_e32 v3, v2
	global_store_b16 v[0:1], v3, off
.LBB15_1679:
	s_mov_b32 s0, 0
.LBB15_1680:
	s_delay_alu instid0(SALU_CYCLE_1)
	s_and_not1_b32 vcc_lo, exec_lo, s0
	s_cbranch_vccnz .LBB15_1696
; %bb.1681:
	v_cmp_gt_i16_e32 vcc_lo, 2, v6
	s_mov_b32 s0, -1
	s_cbranch_vccnz .LBB15_1691
; %bb.1682:
	v_cmp_gt_i16_e32 vcc_lo, 3, v6
	s_cbranch_vccnz .LBB15_1688
; %bb.1683:
	v_cmp_lt_i16_e32 vcc_lo, 3, v6
	s_cbranch_vccz .LBB15_1685
; %bb.1684:
	v_trunc_f32_e32 v3, v2
	s_mov_b32 s0, 0
	s_delay_alu instid0(VALU_DEP_1) | instskip(NEXT) | instid1(VALU_DEP_1)
	v_mul_f32_e64 v12, 0x2f800000, |v3|
	v_floor_f32_e32 v12, v12
	s_delay_alu instid0(VALU_DEP_1) | instskip(SKIP_2) | instid1(VALU_DEP_3)
	v_fma_f32 v13, 0xcf800000, v12, |v3|
	v_ashrrev_i32_e32 v3, 31, v3
	v_cvt_u32_f32_e32 v12, v12
	v_cvt_u32_f32_e32 v13, v13
	s_delay_alu instid0(VALU_DEP_2) | instskip(NEXT) | instid1(VALU_DEP_2)
	v_xor_b32_e32 v14, v12, v3
	v_xor_b32_e32 v13, v13, v3
	s_delay_alu instid0(VALU_DEP_1) | instskip(NEXT) | instid1(VALU_DEP_3)
	v_sub_co_u32 v12, vcc_lo, v13, v3
	v_sub_co_ci_u32_e32 v13, vcc_lo, v14, v3, vcc_lo
	global_store_b64 v[0:1], v[12:13], off
.LBB15_1685:
	s_and_not1_b32 vcc_lo, exec_lo, s0
	s_cbranch_vccnz .LBB15_1687
; %bb.1686:
	v_cvt_i32_f32_e32 v3, v2
	global_store_b32 v[0:1], v3, off
.LBB15_1687:
	s_mov_b32 s0, 0
.LBB15_1688:
	s_delay_alu instid0(SALU_CYCLE_1)
	s_and_not1_b32 vcc_lo, exec_lo, s0
	s_cbranch_vccnz .LBB15_1690
; %bb.1689:
	v_cvt_i32_f32_e32 v3, v2
	global_store_b16 v[0:1], v3, off
.LBB15_1690:
	s_mov_b32 s0, 0
.LBB15_1691:
	s_delay_alu instid0(SALU_CYCLE_1)
	s_and_not1_b32 vcc_lo, exec_lo, s0
	s_cbranch_vccnz .LBB15_1696
; %bb.1692:
	v_cmp_lt_i16_e32 vcc_lo, 0, v6
	s_mov_b32 s0, -1
	s_cbranch_vccz .LBB15_1694
; %bb.1693:
	v_cvt_i32_f32_e32 v3, v2
	s_mov_b32 s0, 0
	global_store_b8 v[0:1], v3, off
.LBB15_1694:
	s_and_not1_b32 vcc_lo, exec_lo, s0
	s_cbranch_vccnz .LBB15_1696
; %bb.1695:
	v_trunc_f32_e32 v2, v2
	s_delay_alu instid0(VALU_DEP_1) | instskip(NEXT) | instid1(VALU_DEP_1)
	v_mul_f32_e64 v3, 0x2f800000, |v2|
	v_floor_f32_e32 v3, v3
	s_delay_alu instid0(VALU_DEP_1) | instskip(SKIP_1) | instid1(VALU_DEP_2)
	v_fma_f32 v3, 0xcf800000, v3, |v2|
	v_ashrrev_i32_e32 v2, 31, v2
	v_cvt_u32_f32_e32 v3, v3
	s_delay_alu instid0(VALU_DEP_1) | instskip(NEXT) | instid1(VALU_DEP_1)
	v_xor_b32_e32 v3, v3, v2
	v_sub_nc_u32_e32 v2, v3, v2
	global_store_b8 v[0:1], v2, off
.LBB15_1696:
	s_mov_b32 s6, -1
.LBB15_1697:
	s_delay_alu instid0(SALU_CYCLE_1)
	s_and_not1_b32 vcc_lo, exec_lo, s6
	s_cbranch_vccnz .LBB15_2012
; %bb.1698:
	s_lshl_b32 s2, s2, 7
	v_mul_f32_e32 v0, v7, v10
	v_add_nc_u32_e32 v4, s2, v4
	v_cmp_eq_f32_e64 s0, 1.0, v10
	v_cmp_gt_i16_e32 vcc_lo, 11, v6
	s_delay_alu instid0(VALU_DEP_3) | instskip(NEXT) | instid1(VALU_DEP_3)
	v_ashrrev_i32_e32 v1, 31, v4
	v_cndmask_b32_e64 v2, v0, v7, s0
	v_add_co_u32 v0, s0, s4, v4
	s_delay_alu instid0(VALU_DEP_1)
	v_add_co_ci_u32_e64 v1, s0, s5, v1, s0
	s_cbranch_vccnz .LBB15_1776
; %bb.1699:
	v_cmp_lt_i16_e32 vcc_lo, 25, v6
	s_mov_b32 s7, -1
	s_mov_b32 s3, 0
	s_mov_b32 s6, 0
	;; [unrolled: 1-line block ×3, first 2 shown]
	s_cbranch_vccz .LBB15_1732
; %bb.1700:
	v_cmp_lt_i16_e32 vcc_lo, 28, v6
	s_cbranch_vccz .LBB15_1715
; %bb.1701:
	v_cmp_lt_i16_e32 vcc_lo, 43, v6
	s_cbranch_vccz .LBB15_1711
; %bb.1702:
	v_cmp_lt_i16_e32 vcc_lo, 45, v6
	s_cbranch_vccz .LBB15_1705
; %bb.1703:
	v_cmp_eq_u16_e32 vcc_lo, 46, v6
	s_mov_b32 s0, -1
	s_mov_b32 s7, 0
	s_cbranch_vccz .LBB15_1705
; %bb.1704:
	v_bfe_u32 v3, v2, 16, 1
	v_cmp_o_f32_e32 vcc_lo, v2, v2
	s_mov_b32 s0, 0
	s_mov_b32 s6, -1
	s_delay_alu instid0(VALU_DEP_2) | instskip(NEXT) | instid1(VALU_DEP_1)
	v_add3_u32 v3, v2, v3, 0x7fff
	v_lshrrev_b32_e32 v3, 16, v3
	s_delay_alu instid0(VALU_DEP_1)
	v_cndmask_b32_e32 v3, 0x7fc0, v3, vcc_lo
	global_store_b32 v[0:1], v3, off
.LBB15_1705:
	s_and_b32 vcc_lo, exec_lo, s7
	s_cbranch_vccz .LBB15_1710
; %bb.1706:
	v_cmp_eq_u16_e32 vcc_lo, 44, v6
	s_mov_b32 s0, -1
	s_cbranch_vccz .LBB15_1710
; %bb.1707:
	v_bfe_u32 v7, v2, 23, 8
	v_mov_b32_e32 v3, 0xff
	s_mov_b32 s6, exec_lo
	s_delay_alu instid0(VALU_DEP_2)
	v_cmpx_ne_u32_e32 0xff, v7
; %bb.1708:
	v_and_b32_e32 v3, 0x400000, v2
	v_and_or_b32 v7, 0x3fffff, v2, v7
	s_delay_alu instid0(VALU_DEP_2) | instskip(NEXT) | instid1(VALU_DEP_2)
	v_cmp_ne_u32_e32 vcc_lo, 0, v3
	v_cmp_ne_u32_e64 s0, 0, v7
	v_lshrrev_b32_e32 v3, 23, v2
	s_delay_alu instid0(VALU_DEP_2) | instskip(NEXT) | instid1(SALU_CYCLE_1)
	s_and_b32 s0, vcc_lo, s0
	v_cndmask_b32_e64 v7, 0, 1, s0
	s_delay_alu instid0(VALU_DEP_1)
	v_add_nc_u32_e32 v3, v3, v7
; %bb.1709:
	s_or_b32 exec_lo, exec_lo, s6
	s_mov_b32 s0, 0
	s_mov_b32 s6, -1
	global_store_b8 v[0:1], v3, off
.LBB15_1710:
	s_mov_b32 s7, 0
.LBB15_1711:
	s_delay_alu instid0(SALU_CYCLE_1)
	s_and_b32 vcc_lo, exec_lo, s7
	s_cbranch_vccz .LBB15_1714
; %bb.1712:
	v_cmp_eq_u16_e32 vcc_lo, 29, v6
	s_mov_b32 s0, -1
	s_cbranch_vccz .LBB15_1714
; %bb.1713:
	v_trunc_f32_e32 v3, v2
	s_mov_b32 s0, 0
	s_mov_b32 s6, -1
	s_delay_alu instid0(VALU_DEP_1) | instskip(NEXT) | instid1(VALU_DEP_1)
	v_mul_f32_e32 v7, 0x2f800000, v3
	v_floor_f32_e32 v7, v7
	s_delay_alu instid0(VALU_DEP_1) | instskip(SKIP_1) | instid1(VALU_DEP_2)
	v_fmamk_f32 v3, v7, 0xcf800000, v3
	v_cvt_u32_f32_e32 v13, v7
	v_cvt_u32_f32_e32 v12, v3
	global_store_b64 v[0:1], v[12:13], off
.LBB15_1714:
	s_mov_b32 s7, 0
.LBB15_1715:
	s_delay_alu instid0(SALU_CYCLE_1)
	s_and_b32 vcc_lo, exec_lo, s7
	s_cbranch_vccz .LBB15_1731
; %bb.1716:
	v_cmp_gt_i16_e32 vcc_lo, 27, v6
	s_mov_b32 s6, -1
	s_cbranch_vccnz .LBB15_1722
; %bb.1717:
	v_cmp_lt_i16_e32 vcc_lo, 27, v6
	v_cvt_u32_f32_e32 v3, v2
	s_cbranch_vccz .LBB15_1719
; %bb.1718:
	s_mov_b32 s6, 0
	global_store_b32 v[0:1], v3, off
.LBB15_1719:
	s_and_not1_b32 vcc_lo, exec_lo, s6
	s_cbranch_vccnz .LBB15_1721
; %bb.1720:
	global_store_b16 v[0:1], v3, off
.LBB15_1721:
	s_mov_b32 s6, 0
.LBB15_1722:
	s_delay_alu instid0(SALU_CYCLE_1)
	s_and_not1_b32 vcc_lo, exec_lo, s6
	s_cbranch_vccnz .LBB15_1730
; %bb.1723:
	v_and_b32_e32 v3, 0x7fffffff, v2
	v_mov_b32_e32 v7, 0x80
	s_mov_b32 s6, exec_lo
	s_delay_alu instid0(VALU_DEP_2)
	v_cmpx_gt_u32_e32 0x43800000, v3
	s_cbranch_execz .LBB15_1729
; %bb.1724:
	v_cmp_lt_u32_e32 vcc_lo, 0x3bffffff, v3
	s_mov_b32 s7, 0
                                        ; implicit-def: $vgpr3
	s_and_saveexec_b32 s8, vcc_lo
	s_delay_alu instid0(SALU_CYCLE_1)
	s_xor_b32 s8, exec_lo, s8
	s_cbranch_execz .LBB15_2068
; %bb.1725:
	v_bfe_u32 v3, v2, 20, 1
	s_mov_b32 s7, exec_lo
	s_delay_alu instid0(VALU_DEP_1) | instskip(NEXT) | instid1(VALU_DEP_1)
	v_add3_u32 v3, v2, v3, 0x487ffff
	v_lshrrev_b32_e32 v3, 20, v3
	s_or_saveexec_b32 s8, s8
                                        ; implicit-def: $sgpr9
	s_delay_alu instid0(SALU_CYCLE_1)
	s_xor_b32 exec_lo, exec_lo, s8
	s_cbranch_execnz .LBB15_2069
.LBB15_1726:
	s_or_b32 exec_lo, exec_lo, s8
	v_mov_b32_e32 v7, s9
	s_and_saveexec_b32 s8, s7
.LBB15_1727:
	v_lshrrev_b32_e32 v7, 24, v2
	s_delay_alu instid0(VALU_DEP_1)
	v_and_or_b32 v7, 0x80, v7, v3
.LBB15_1728:
	s_or_b32 exec_lo, exec_lo, s8
.LBB15_1729:
	s_delay_alu instid0(SALU_CYCLE_1)
	s_or_b32 exec_lo, exec_lo, s6
	global_store_b8 v[0:1], v7, off
.LBB15_1730:
	s_mov_b32 s6, -1
.LBB15_1731:
	s_mov_b32 s7, 0
.LBB15_1732:
	s_delay_alu instid0(SALU_CYCLE_1)
	s_and_b32 vcc_lo, exec_lo, s7
	s_cbranch_vccz .LBB15_1772
; %bb.1733:
	v_cmp_lt_i16_e32 vcc_lo, 22, v6
	s_mov_b32 s3, -1
	s_cbranch_vccz .LBB15_1765
; %bb.1734:
	v_cmp_gt_i16_e32 vcc_lo, 24, v6
	s_cbranch_vccnz .LBB15_1754
; %bb.1735:
	v_cmp_lt_i16_e32 vcc_lo, 24, v6
	s_cbranch_vccz .LBB15_1743
; %bb.1736:
	v_and_b32_e32 v3, 0x7fffffff, v2
	v_mov_b32_e32 v7, 0x80
	s_mov_b32 s3, exec_lo
	s_delay_alu instid0(VALU_DEP_2)
	v_cmpx_gt_u32_e32 0x47800000, v3
	s_cbranch_execz .LBB15_1742
; %bb.1737:
	v_cmp_lt_u32_e32 vcc_lo, 0x37ffffff, v3
	s_mov_b32 s6, 0
                                        ; implicit-def: $vgpr3
	s_and_saveexec_b32 s7, vcc_lo
	s_delay_alu instid0(SALU_CYCLE_1)
	s_xor_b32 s7, exec_lo, s7
	s_cbranch_execz .LBB15_2074
; %bb.1738:
	v_bfe_u32 v3, v2, 21, 1
	s_mov_b32 s6, exec_lo
	s_delay_alu instid0(VALU_DEP_1) | instskip(NEXT) | instid1(VALU_DEP_1)
	v_add3_u32 v3, v2, v3, 0x88fffff
	v_lshrrev_b32_e32 v3, 21, v3
	s_or_saveexec_b32 s7, s7
                                        ; implicit-def: $sgpr8
	s_delay_alu instid0(SALU_CYCLE_1)
	s_xor_b32 exec_lo, exec_lo, s7
	s_cbranch_execnz .LBB15_2075
.LBB15_1739:
	s_or_b32 exec_lo, exec_lo, s7
	v_mov_b32_e32 v7, s8
	s_and_saveexec_b32 s7, s6
.LBB15_1740:
	v_lshrrev_b32_e32 v7, 24, v2
	s_delay_alu instid0(VALU_DEP_1)
	v_and_or_b32 v7, 0x80, v7, v3
.LBB15_1741:
	s_or_b32 exec_lo, exec_lo, s7
.LBB15_1742:
	s_delay_alu instid0(SALU_CYCLE_1)
	s_or_b32 exec_lo, exec_lo, s3
	s_mov_b32 s3, 0
	global_store_b8 v[0:1], v7, off
.LBB15_1743:
	s_and_b32 vcc_lo, exec_lo, s3
	s_cbranch_vccz .LBB15_1753
; %bb.1744:
	v_and_b32_e32 v7, 0x7fffffff, v2
	s_mov_b32 s3, exec_lo
                                        ; implicit-def: $vgpr3
	s_delay_alu instid0(VALU_DEP_1)
	v_cmpx_gt_u32_e32 0x43f00000, v7
	s_xor_b32 s3, exec_lo, s3
	s_cbranch_execz .LBB15_1750
; %bb.1745:
	s_mov_b32 s6, exec_lo
                                        ; implicit-def: $vgpr3
	v_cmpx_lt_u32_e32 0x3c7fffff, v7
	s_xor_b32 s6, exec_lo, s6
; %bb.1746:
	v_bfe_u32 v3, v2, 20, 1
	s_delay_alu instid0(VALU_DEP_1) | instskip(NEXT) | instid1(VALU_DEP_1)
	v_add3_u32 v3, v2, v3, 0x407ffff
	v_and_b32_e32 v7, 0xff00000, v3
	v_lshrrev_b32_e32 v3, 20, v3
	s_delay_alu instid0(VALU_DEP_2) | instskip(NEXT) | instid1(VALU_DEP_2)
	v_cmp_ne_u32_e32 vcc_lo, 0x7f00000, v7
	v_cndmask_b32_e32 v3, 0x7e, v3, vcc_lo
; %bb.1747:
	s_and_not1_saveexec_b32 s6, s6
; %bb.1748:
	v_add_f32_e64 v3, 0x46800000, |v2|
; %bb.1749:
	s_or_b32 exec_lo, exec_lo, s6
                                        ; implicit-def: $vgpr7
.LBB15_1750:
	s_and_not1_saveexec_b32 s3, s3
; %bb.1751:
	v_mov_b32_e32 v3, 0x7f
	v_cmp_lt_u32_e32 vcc_lo, 0x7f800000, v7
	s_delay_alu instid0(VALU_DEP_2)
	v_cndmask_b32_e32 v3, 0x7e, v3, vcc_lo
; %bb.1752:
	s_or_b32 exec_lo, exec_lo, s3
	v_lshrrev_b32_e32 v7, 24, v2
	s_delay_alu instid0(VALU_DEP_1)
	v_and_or_b32 v3, 0x80, v7, v3
	global_store_b8 v[0:1], v3, off
.LBB15_1753:
	s_mov_b32 s3, 0
.LBB15_1754:
	s_delay_alu instid0(SALU_CYCLE_1)
	s_and_not1_b32 vcc_lo, exec_lo, s3
	s_cbranch_vccnz .LBB15_1764
; %bb.1755:
	v_and_b32_e32 v7, 0x7fffffff, v2
	s_mov_b32 s3, exec_lo
                                        ; implicit-def: $vgpr3
	s_delay_alu instid0(VALU_DEP_1)
	v_cmpx_gt_u32_e32 0x47800000, v7
	s_xor_b32 s3, exec_lo, s3
	s_cbranch_execz .LBB15_1761
; %bb.1756:
	s_mov_b32 s6, exec_lo
                                        ; implicit-def: $vgpr3
	v_cmpx_lt_u32_e32 0x387fffff, v7
	s_xor_b32 s6, exec_lo, s6
; %bb.1757:
	v_bfe_u32 v3, v2, 21, 1
	s_delay_alu instid0(VALU_DEP_1) | instskip(NEXT) | instid1(VALU_DEP_1)
	v_add3_u32 v3, v2, v3, 0x80fffff
	v_lshrrev_b32_e32 v3, 21, v3
; %bb.1758:
	s_and_not1_saveexec_b32 s6, s6
; %bb.1759:
	v_add_f32_e64 v3, 0x43000000, |v2|
; %bb.1760:
	s_or_b32 exec_lo, exec_lo, s6
                                        ; implicit-def: $vgpr7
.LBB15_1761:
	s_and_not1_saveexec_b32 s3, s3
; %bb.1762:
	v_mov_b32_e32 v3, 0x7f
	v_cmp_lt_u32_e32 vcc_lo, 0x7f800000, v7
	s_delay_alu instid0(VALU_DEP_2)
	v_cndmask_b32_e32 v3, 0x7c, v3, vcc_lo
; %bb.1763:
	s_or_b32 exec_lo, exec_lo, s3
	v_lshrrev_b32_e32 v7, 24, v2
	s_delay_alu instid0(VALU_DEP_1)
	v_and_or_b32 v3, 0x80, v7, v3
	global_store_b8 v[0:1], v3, off
.LBB15_1764:
	s_mov_b32 s3, 0
	s_mov_b32 s6, -1
.LBB15_1765:
	s_and_not1_b32 vcc_lo, exec_lo, s3
	s_mov_b32 s3, 0
	s_cbranch_vccnz .LBB15_1772
; %bb.1766:
	v_cmp_lt_i16_e32 vcc_lo, 14, v6
	s_mov_b32 s3, -1
	s_cbranch_vccz .LBB15_1770
; %bb.1767:
	v_cmp_eq_u16_e32 vcc_lo, 15, v6
	s_mov_b32 s0, -1
	s_cbranch_vccz .LBB15_1769
; %bb.1768:
	v_bfe_u32 v3, v2, 16, 1
	v_cmp_o_f32_e32 vcc_lo, v2, v2
	s_mov_b32 s0, 0
	s_mov_b32 s6, -1
	s_delay_alu instid0(VALU_DEP_2) | instskip(NEXT) | instid1(VALU_DEP_1)
	v_add3_u32 v3, v2, v3, 0x7fff
	v_lshrrev_b32_e32 v3, 16, v3
	s_delay_alu instid0(VALU_DEP_1)
	v_cndmask_b32_e32 v3, 0x7fc0, v3, vcc_lo
	global_store_b16 v[0:1], v3, off
.LBB15_1769:
	s_mov_b32 s3, 0
.LBB15_1770:
	s_delay_alu instid0(SALU_CYCLE_1)
	s_and_b32 vcc_lo, exec_lo, s3
	s_mov_b32 s3, 0
	s_cbranch_vccz .LBB15_1772
; %bb.1771:
	v_cmp_ne_u16_e64 s0, 11, v6
	s_mov_b32 s3, -1
.LBB15_1772:
	s_delay_alu instid0(VALU_DEP_1)
	s_and_b32 vcc_lo, exec_lo, s0
	s_cbranch_vccnz .LBB15_2072
; %bb.1773:
	s_and_not1_b32 vcc_lo, exec_lo, s3
	s_cbranch_vccnz .LBB15_1775
.LBB15_1774:
	v_cmp_neq_f32_e32 vcc_lo, 0, v2
	s_mov_b32 s6, -1
	v_cndmask_b32_e64 v3, 0, 1, vcc_lo
	global_store_b8 v[0:1], v3, off
.LBB15_1775:
	s_mov_b32 s0, 0
	s_branch .LBB15_1777
.LBB15_1776:
	s_mov_b32 s0, -1
	s_mov_b32 s6, 0
.LBB15_1777:
	s_and_b32 vcc_lo, exec_lo, s0
	s_cbranch_vccz .LBB15_1816
; %bb.1778:
	v_cmp_gt_i16_e32 vcc_lo, 5, v6
	s_mov_b32 s0, -1
	s_cbranch_vccnz .LBB15_1799
; %bb.1779:
	v_cmp_gt_i16_e32 vcc_lo, 8, v6
	s_cbranch_vccnz .LBB15_1789
; %bb.1780:
	v_cmp_gt_i16_e32 vcc_lo, 9, v6
	s_cbranch_vccnz .LBB15_1786
; %bb.1781:
	v_cmp_lt_i16_e32 vcc_lo, 9, v6
	s_cbranch_vccz .LBB15_1783
; %bb.1782:
	v_cvt_f64_f32_e32 v[12:13], v2
	v_mov_b32_e32 v14, 0
	s_mov_b32 s0, 0
	s_delay_alu instid0(VALU_DEP_1)
	v_mov_b32_e32 v15, v14
	global_store_b128 v[0:1], v[12:15], off
.LBB15_1783:
	s_and_not1_b32 vcc_lo, exec_lo, s0
	s_cbranch_vccnz .LBB15_1785
; %bb.1784:
	v_mov_b32_e32 v3, 0
	global_store_b64 v[0:1], v[2:3], off
.LBB15_1785:
	s_mov_b32 s0, 0
.LBB15_1786:
	s_delay_alu instid0(SALU_CYCLE_1)
	s_and_not1_b32 vcc_lo, exec_lo, s0
	s_cbranch_vccnz .LBB15_1788
; %bb.1787:
	v_cvt_f16_f32_e32 v3, v2
	s_delay_alu instid0(VALU_DEP_1)
	v_and_b32_e32 v3, 0xffff, v3
	global_store_b32 v[0:1], v3, off
.LBB15_1788:
	s_mov_b32 s0, 0
.LBB15_1789:
	s_delay_alu instid0(SALU_CYCLE_1)
	s_and_not1_b32 vcc_lo, exec_lo, s0
	s_cbranch_vccnz .LBB15_1798
; %bb.1790:
	v_cmp_gt_i16_e32 vcc_lo, 6, v6
	s_mov_b32 s0, -1
	s_cbranch_vccnz .LBB15_1796
; %bb.1791:
	v_cmp_lt_i16_e32 vcc_lo, 6, v6
	s_cbranch_vccz .LBB15_1793
; %bb.1792:
	v_cvt_f64_f32_e32 v[12:13], v2
	s_mov_b32 s0, 0
	global_store_b64 v[0:1], v[12:13], off
.LBB15_1793:
	s_and_not1_b32 vcc_lo, exec_lo, s0
	s_cbranch_vccnz .LBB15_1795
; %bb.1794:
	global_store_b32 v[0:1], v2, off
.LBB15_1795:
	s_mov_b32 s0, 0
.LBB15_1796:
	s_delay_alu instid0(SALU_CYCLE_1)
	s_and_not1_b32 vcc_lo, exec_lo, s0
	s_cbranch_vccnz .LBB15_1798
; %bb.1797:
	v_cvt_f16_f32_e32 v3, v2
	global_store_b16 v[0:1], v3, off
.LBB15_1798:
	s_mov_b32 s0, 0
.LBB15_1799:
	s_delay_alu instid0(SALU_CYCLE_1)
	s_and_not1_b32 vcc_lo, exec_lo, s0
	s_cbranch_vccnz .LBB15_1815
; %bb.1800:
	v_cmp_gt_i16_e32 vcc_lo, 2, v6
	s_mov_b32 s0, -1
	s_cbranch_vccnz .LBB15_1810
; %bb.1801:
	v_cmp_gt_i16_e32 vcc_lo, 3, v6
	s_cbranch_vccnz .LBB15_1807
; %bb.1802:
	v_cmp_lt_i16_e32 vcc_lo, 3, v6
	s_cbranch_vccz .LBB15_1804
; %bb.1803:
	v_trunc_f32_e32 v3, v2
	s_mov_b32 s0, 0
	s_delay_alu instid0(VALU_DEP_1) | instskip(NEXT) | instid1(VALU_DEP_1)
	v_mul_f32_e64 v7, 0x2f800000, |v3|
	v_floor_f32_e32 v7, v7
	s_delay_alu instid0(VALU_DEP_1) | instskip(SKIP_2) | instid1(VALU_DEP_3)
	v_fma_f32 v10, 0xcf800000, v7, |v3|
	v_ashrrev_i32_e32 v3, 31, v3
	v_cvt_u32_f32_e32 v7, v7
	v_cvt_u32_f32_e32 v10, v10
	s_delay_alu instid0(VALU_DEP_2) | instskip(NEXT) | instid1(VALU_DEP_2)
	v_xor_b32_e32 v7, v7, v3
	v_xor_b32_e32 v10, v10, v3
	s_delay_alu instid0(VALU_DEP_1) | instskip(NEXT) | instid1(VALU_DEP_3)
	v_sub_co_u32 v12, vcc_lo, v10, v3
	v_sub_co_ci_u32_e32 v13, vcc_lo, v7, v3, vcc_lo
	global_store_b64 v[0:1], v[12:13], off
.LBB15_1804:
	s_and_not1_b32 vcc_lo, exec_lo, s0
	s_cbranch_vccnz .LBB15_1806
; %bb.1805:
	v_cvt_i32_f32_e32 v3, v2
	global_store_b32 v[0:1], v3, off
.LBB15_1806:
	s_mov_b32 s0, 0
.LBB15_1807:
	s_delay_alu instid0(SALU_CYCLE_1)
	s_and_not1_b32 vcc_lo, exec_lo, s0
	s_cbranch_vccnz .LBB15_1809
; %bb.1808:
	v_cvt_i32_f32_e32 v3, v2
	global_store_b16 v[0:1], v3, off
.LBB15_1809:
	s_mov_b32 s0, 0
.LBB15_1810:
	s_delay_alu instid0(SALU_CYCLE_1)
	s_and_not1_b32 vcc_lo, exec_lo, s0
	s_cbranch_vccnz .LBB15_1815
; %bb.1811:
	v_cmp_lt_i16_e32 vcc_lo, 0, v6
	s_mov_b32 s0, -1
	s_cbranch_vccz .LBB15_1813
; %bb.1812:
	v_cvt_i32_f32_e32 v3, v2
	s_mov_b32 s0, 0
	global_store_b8 v[0:1], v3, off
.LBB15_1813:
	s_and_not1_b32 vcc_lo, exec_lo, s0
	s_cbranch_vccnz .LBB15_1815
; %bb.1814:
	v_trunc_f32_e32 v2, v2
	s_delay_alu instid0(VALU_DEP_1) | instskip(NEXT) | instid1(VALU_DEP_1)
	v_mul_f32_e64 v3, 0x2f800000, |v2|
	v_floor_f32_e32 v3, v3
	s_delay_alu instid0(VALU_DEP_1) | instskip(SKIP_1) | instid1(VALU_DEP_2)
	v_fma_f32 v3, 0xcf800000, v3, |v2|
	v_ashrrev_i32_e32 v2, 31, v2
	v_cvt_u32_f32_e32 v3, v3
	s_delay_alu instid0(VALU_DEP_1) | instskip(NEXT) | instid1(VALU_DEP_1)
	v_xor_b32_e32 v3, v3, v2
	v_sub_nc_u32_e32 v2, v3, v2
	global_store_b8 v[0:1], v2, off
.LBB15_1815:
	s_mov_b32 s6, -1
.LBB15_1816:
	s_delay_alu instid0(SALU_CYCLE_1)
	s_and_not1_b32 vcc_lo, exec_lo, s6
	s_cbranch_vccnz .LBB15_2012
; %bb.1817:
	v_add_nc_u32_e32 v4, s2, v4
	v_mul_f32_e32 v0, v8, v11
	v_cmp_eq_f32_e64 s0, 1.0, v11
	v_cmp_gt_i16_e32 vcc_lo, 11, v6
	s_delay_alu instid0(VALU_DEP_4) | instskip(NEXT) | instid1(VALU_DEP_3)
	v_ashrrev_i32_e32 v1, 31, v4
	v_cndmask_b32_e64 v2, v0, v8, s0
	v_add_co_u32 v0, s0, s4, v4
	s_delay_alu instid0(VALU_DEP_1)
	v_add_co_ci_u32_e64 v1, s0, s5, v1, s0
	s_cbranch_vccnz .LBB15_1895
; %bb.1818:
	v_cmp_lt_i16_e32 vcc_lo, 25, v6
	s_mov_b32 s7, -1
	s_mov_b32 s3, 0
	s_mov_b32 s6, 0
	;; [unrolled: 1-line block ×3, first 2 shown]
	s_cbranch_vccz .LBB15_1851
; %bb.1819:
	v_cmp_lt_i16_e32 vcc_lo, 28, v6
	s_cbranch_vccz .LBB15_1834
; %bb.1820:
	v_cmp_lt_i16_e32 vcc_lo, 43, v6
	;; [unrolled: 3-line block ×3, first 2 shown]
	s_cbranch_vccz .LBB15_1824
; %bb.1822:
	v_cmp_eq_u16_e32 vcc_lo, 46, v6
	s_mov_b32 s0, -1
	s_mov_b32 s7, 0
	s_cbranch_vccz .LBB15_1824
; %bb.1823:
	v_bfe_u32 v3, v2, 16, 1
	v_cmp_o_f32_e32 vcc_lo, v2, v2
	s_mov_b32 s0, 0
	s_mov_b32 s6, -1
	s_delay_alu instid0(VALU_DEP_2) | instskip(NEXT) | instid1(VALU_DEP_1)
	v_add3_u32 v3, v2, v3, 0x7fff
	v_lshrrev_b32_e32 v3, 16, v3
	s_delay_alu instid0(VALU_DEP_1)
	v_cndmask_b32_e32 v3, 0x7fc0, v3, vcc_lo
	global_store_b32 v[0:1], v3, off
.LBB15_1824:
	s_and_b32 vcc_lo, exec_lo, s7
	s_cbranch_vccz .LBB15_1829
; %bb.1825:
	v_cmp_eq_u16_e32 vcc_lo, 44, v6
	s_mov_b32 s0, -1
	s_cbranch_vccz .LBB15_1829
; %bb.1826:
	v_bfe_u32 v7, v2, 23, 8
	v_mov_b32_e32 v3, 0xff
	s_mov_b32 s6, exec_lo
	s_delay_alu instid0(VALU_DEP_2)
	v_cmpx_ne_u32_e32 0xff, v7
; %bb.1827:
	v_and_b32_e32 v3, 0x400000, v2
	v_and_or_b32 v7, 0x3fffff, v2, v7
	s_delay_alu instid0(VALU_DEP_2) | instskip(NEXT) | instid1(VALU_DEP_2)
	v_cmp_ne_u32_e32 vcc_lo, 0, v3
	v_cmp_ne_u32_e64 s0, 0, v7
	v_lshrrev_b32_e32 v3, 23, v2
	s_delay_alu instid0(VALU_DEP_2) | instskip(NEXT) | instid1(SALU_CYCLE_1)
	s_and_b32 s0, vcc_lo, s0
	v_cndmask_b32_e64 v7, 0, 1, s0
	s_delay_alu instid0(VALU_DEP_1)
	v_add_nc_u32_e32 v3, v3, v7
; %bb.1828:
	s_or_b32 exec_lo, exec_lo, s6
	s_mov_b32 s0, 0
	s_mov_b32 s6, -1
	global_store_b8 v[0:1], v3, off
.LBB15_1829:
	s_mov_b32 s7, 0
.LBB15_1830:
	s_delay_alu instid0(SALU_CYCLE_1)
	s_and_b32 vcc_lo, exec_lo, s7
	s_cbranch_vccz .LBB15_1833
; %bb.1831:
	v_cmp_eq_u16_e32 vcc_lo, 29, v6
	s_mov_b32 s0, -1
	s_cbranch_vccz .LBB15_1833
; %bb.1832:
	v_trunc_f32_e32 v3, v2
	s_mov_b32 s0, 0
	s_mov_b32 s6, -1
	s_delay_alu instid0(VALU_DEP_1) | instskip(NEXT) | instid1(VALU_DEP_1)
	v_mul_f32_e32 v7, 0x2f800000, v3
	v_floor_f32_e32 v7, v7
	s_delay_alu instid0(VALU_DEP_1) | instskip(SKIP_1) | instid1(VALU_DEP_2)
	v_fmamk_f32 v3, v7, 0xcf800000, v3
	v_cvt_u32_f32_e32 v8, v7
	v_cvt_u32_f32_e32 v7, v3
	global_store_b64 v[0:1], v[7:8], off
.LBB15_1833:
	s_mov_b32 s7, 0
.LBB15_1834:
	s_delay_alu instid0(SALU_CYCLE_1)
	s_and_b32 vcc_lo, exec_lo, s7
	s_cbranch_vccz .LBB15_1850
; %bb.1835:
	v_cmp_gt_i16_e32 vcc_lo, 27, v6
	s_mov_b32 s6, -1
	s_cbranch_vccnz .LBB15_1841
; %bb.1836:
	v_cmp_lt_i16_e32 vcc_lo, 27, v6
	v_cvt_u32_f32_e32 v3, v2
	s_cbranch_vccz .LBB15_1838
; %bb.1837:
	s_mov_b32 s6, 0
	global_store_b32 v[0:1], v3, off
.LBB15_1838:
	s_and_not1_b32 vcc_lo, exec_lo, s6
	s_cbranch_vccnz .LBB15_1840
; %bb.1839:
	global_store_b16 v[0:1], v3, off
.LBB15_1840:
	s_mov_b32 s6, 0
.LBB15_1841:
	s_delay_alu instid0(SALU_CYCLE_1)
	s_and_not1_b32 vcc_lo, exec_lo, s6
	s_cbranch_vccnz .LBB15_1849
; %bb.1842:
	v_and_b32_e32 v3, 0x7fffffff, v2
	v_mov_b32_e32 v7, 0x80
	s_mov_b32 s6, exec_lo
	s_delay_alu instid0(VALU_DEP_2)
	v_cmpx_gt_u32_e32 0x43800000, v3
	s_cbranch_execz .LBB15_1848
; %bb.1843:
	v_cmp_lt_u32_e32 vcc_lo, 0x3bffffff, v3
	s_mov_b32 s7, 0
                                        ; implicit-def: $vgpr3
	s_and_saveexec_b32 s8, vcc_lo
	s_delay_alu instid0(SALU_CYCLE_1)
	s_xor_b32 s8, exec_lo, s8
	s_cbranch_execz .LBB15_2076
; %bb.1844:
	v_bfe_u32 v3, v2, 20, 1
	s_mov_b32 s7, exec_lo
	s_delay_alu instid0(VALU_DEP_1) | instskip(NEXT) | instid1(VALU_DEP_1)
	v_add3_u32 v3, v2, v3, 0x487ffff
	v_lshrrev_b32_e32 v3, 20, v3
	s_or_saveexec_b32 s8, s8
                                        ; implicit-def: $sgpr9
	s_delay_alu instid0(SALU_CYCLE_1)
	s_xor_b32 exec_lo, exec_lo, s8
	s_cbranch_execnz .LBB15_2077
.LBB15_1845:
	s_or_b32 exec_lo, exec_lo, s8
	v_mov_b32_e32 v7, s9
	s_and_saveexec_b32 s8, s7
.LBB15_1846:
	v_lshrrev_b32_e32 v7, 24, v2
	s_delay_alu instid0(VALU_DEP_1)
	v_and_or_b32 v7, 0x80, v7, v3
.LBB15_1847:
	s_or_b32 exec_lo, exec_lo, s8
.LBB15_1848:
	s_delay_alu instid0(SALU_CYCLE_1)
	s_or_b32 exec_lo, exec_lo, s6
	global_store_b8 v[0:1], v7, off
.LBB15_1849:
	s_mov_b32 s6, -1
.LBB15_1850:
	s_mov_b32 s7, 0
.LBB15_1851:
	s_delay_alu instid0(SALU_CYCLE_1)
	s_and_b32 vcc_lo, exec_lo, s7
	s_cbranch_vccz .LBB15_1891
; %bb.1852:
	v_cmp_lt_i16_e32 vcc_lo, 22, v6
	s_mov_b32 s3, -1
	s_cbranch_vccz .LBB15_1884
; %bb.1853:
	v_cmp_gt_i16_e32 vcc_lo, 24, v6
	s_cbranch_vccnz .LBB15_1873
; %bb.1854:
	v_cmp_lt_i16_e32 vcc_lo, 24, v6
	s_cbranch_vccz .LBB15_1862
; %bb.1855:
	v_and_b32_e32 v3, 0x7fffffff, v2
	v_mov_b32_e32 v7, 0x80
	s_mov_b32 s3, exec_lo
	s_delay_alu instid0(VALU_DEP_2)
	v_cmpx_gt_u32_e32 0x47800000, v3
	s_cbranch_execz .LBB15_1861
; %bb.1856:
	v_cmp_lt_u32_e32 vcc_lo, 0x37ffffff, v3
	s_mov_b32 s6, 0
                                        ; implicit-def: $vgpr3
	s_and_saveexec_b32 s7, vcc_lo
	s_delay_alu instid0(SALU_CYCLE_1)
	s_xor_b32 s7, exec_lo, s7
	s_cbranch_execz .LBB15_2082
; %bb.1857:
	v_bfe_u32 v3, v2, 21, 1
	s_mov_b32 s6, exec_lo
	s_delay_alu instid0(VALU_DEP_1) | instskip(NEXT) | instid1(VALU_DEP_1)
	v_add3_u32 v3, v2, v3, 0x88fffff
	v_lshrrev_b32_e32 v3, 21, v3
	s_or_saveexec_b32 s7, s7
                                        ; implicit-def: $sgpr8
	s_delay_alu instid0(SALU_CYCLE_1)
	s_xor_b32 exec_lo, exec_lo, s7
	s_cbranch_execnz .LBB15_2083
.LBB15_1858:
	s_or_b32 exec_lo, exec_lo, s7
	v_mov_b32_e32 v7, s8
	s_and_saveexec_b32 s7, s6
.LBB15_1859:
	v_lshrrev_b32_e32 v7, 24, v2
	s_delay_alu instid0(VALU_DEP_1)
	v_and_or_b32 v7, 0x80, v7, v3
.LBB15_1860:
	s_or_b32 exec_lo, exec_lo, s7
.LBB15_1861:
	s_delay_alu instid0(SALU_CYCLE_1)
	s_or_b32 exec_lo, exec_lo, s3
	s_mov_b32 s3, 0
	global_store_b8 v[0:1], v7, off
.LBB15_1862:
	s_and_b32 vcc_lo, exec_lo, s3
	s_cbranch_vccz .LBB15_1872
; %bb.1863:
	v_and_b32_e32 v7, 0x7fffffff, v2
	s_mov_b32 s3, exec_lo
                                        ; implicit-def: $vgpr3
	s_delay_alu instid0(VALU_DEP_1)
	v_cmpx_gt_u32_e32 0x43f00000, v7
	s_xor_b32 s3, exec_lo, s3
	s_cbranch_execz .LBB15_1869
; %bb.1864:
	s_mov_b32 s6, exec_lo
                                        ; implicit-def: $vgpr3
	v_cmpx_lt_u32_e32 0x3c7fffff, v7
	s_xor_b32 s6, exec_lo, s6
; %bb.1865:
	v_bfe_u32 v3, v2, 20, 1
	s_delay_alu instid0(VALU_DEP_1) | instskip(NEXT) | instid1(VALU_DEP_1)
	v_add3_u32 v3, v2, v3, 0x407ffff
	v_and_b32_e32 v7, 0xff00000, v3
	v_lshrrev_b32_e32 v3, 20, v3
	s_delay_alu instid0(VALU_DEP_2) | instskip(NEXT) | instid1(VALU_DEP_2)
	v_cmp_ne_u32_e32 vcc_lo, 0x7f00000, v7
	v_cndmask_b32_e32 v3, 0x7e, v3, vcc_lo
; %bb.1866:
	s_and_not1_saveexec_b32 s6, s6
; %bb.1867:
	v_add_f32_e64 v3, 0x46800000, |v2|
; %bb.1868:
	s_or_b32 exec_lo, exec_lo, s6
                                        ; implicit-def: $vgpr7
.LBB15_1869:
	s_and_not1_saveexec_b32 s3, s3
; %bb.1870:
	v_mov_b32_e32 v3, 0x7f
	v_cmp_lt_u32_e32 vcc_lo, 0x7f800000, v7
	s_delay_alu instid0(VALU_DEP_2)
	v_cndmask_b32_e32 v3, 0x7e, v3, vcc_lo
; %bb.1871:
	s_or_b32 exec_lo, exec_lo, s3
	v_lshrrev_b32_e32 v7, 24, v2
	s_delay_alu instid0(VALU_DEP_1)
	v_and_or_b32 v3, 0x80, v7, v3
	global_store_b8 v[0:1], v3, off
.LBB15_1872:
	s_mov_b32 s3, 0
.LBB15_1873:
	s_delay_alu instid0(SALU_CYCLE_1)
	s_and_not1_b32 vcc_lo, exec_lo, s3
	s_cbranch_vccnz .LBB15_1883
; %bb.1874:
	v_and_b32_e32 v7, 0x7fffffff, v2
	s_mov_b32 s3, exec_lo
                                        ; implicit-def: $vgpr3
	s_delay_alu instid0(VALU_DEP_1)
	v_cmpx_gt_u32_e32 0x47800000, v7
	s_xor_b32 s3, exec_lo, s3
	s_cbranch_execz .LBB15_1880
; %bb.1875:
	s_mov_b32 s6, exec_lo
                                        ; implicit-def: $vgpr3
	v_cmpx_lt_u32_e32 0x387fffff, v7
	s_xor_b32 s6, exec_lo, s6
; %bb.1876:
	v_bfe_u32 v3, v2, 21, 1
	s_delay_alu instid0(VALU_DEP_1) | instskip(NEXT) | instid1(VALU_DEP_1)
	v_add3_u32 v3, v2, v3, 0x80fffff
	v_lshrrev_b32_e32 v3, 21, v3
; %bb.1877:
	s_and_not1_saveexec_b32 s6, s6
; %bb.1878:
	v_add_f32_e64 v3, 0x43000000, |v2|
; %bb.1879:
	s_or_b32 exec_lo, exec_lo, s6
                                        ; implicit-def: $vgpr7
.LBB15_1880:
	s_and_not1_saveexec_b32 s3, s3
; %bb.1881:
	v_mov_b32_e32 v3, 0x7f
	v_cmp_lt_u32_e32 vcc_lo, 0x7f800000, v7
	s_delay_alu instid0(VALU_DEP_2)
	v_cndmask_b32_e32 v3, 0x7c, v3, vcc_lo
; %bb.1882:
	s_or_b32 exec_lo, exec_lo, s3
	v_lshrrev_b32_e32 v7, 24, v2
	s_delay_alu instid0(VALU_DEP_1)
	v_and_or_b32 v3, 0x80, v7, v3
	global_store_b8 v[0:1], v3, off
.LBB15_1883:
	s_mov_b32 s3, 0
	s_mov_b32 s6, -1
.LBB15_1884:
	s_and_not1_b32 vcc_lo, exec_lo, s3
	s_mov_b32 s3, 0
	s_cbranch_vccnz .LBB15_1891
; %bb.1885:
	v_cmp_lt_i16_e32 vcc_lo, 14, v6
	s_mov_b32 s3, -1
	s_cbranch_vccz .LBB15_1889
; %bb.1886:
	v_cmp_eq_u16_e32 vcc_lo, 15, v6
	s_mov_b32 s0, -1
	s_cbranch_vccz .LBB15_1888
; %bb.1887:
	v_bfe_u32 v3, v2, 16, 1
	v_cmp_o_f32_e32 vcc_lo, v2, v2
	s_mov_b32 s0, 0
	s_mov_b32 s6, -1
	s_delay_alu instid0(VALU_DEP_2) | instskip(NEXT) | instid1(VALU_DEP_1)
	v_add3_u32 v3, v2, v3, 0x7fff
	v_lshrrev_b32_e32 v3, 16, v3
	s_delay_alu instid0(VALU_DEP_1)
	v_cndmask_b32_e32 v3, 0x7fc0, v3, vcc_lo
	global_store_b16 v[0:1], v3, off
.LBB15_1888:
	s_mov_b32 s3, 0
.LBB15_1889:
	s_delay_alu instid0(SALU_CYCLE_1)
	s_and_b32 vcc_lo, exec_lo, s3
	s_mov_b32 s3, 0
	s_cbranch_vccz .LBB15_1891
; %bb.1890:
	v_cmp_ne_u16_e64 s0, 11, v6
	s_mov_b32 s3, -1
.LBB15_1891:
	s_delay_alu instid0(VALU_DEP_1)
	s_and_b32 vcc_lo, exec_lo, s0
	s_cbranch_vccnz .LBB15_2080
; %bb.1892:
	s_and_not1_b32 vcc_lo, exec_lo, s3
	s_cbranch_vccnz .LBB15_1894
.LBB15_1893:
	v_cmp_neq_f32_e32 vcc_lo, 0, v2
	s_mov_b32 s6, -1
	v_cndmask_b32_e64 v3, 0, 1, vcc_lo
	global_store_b8 v[0:1], v3, off
.LBB15_1894:
	s_mov_b32 s0, 0
	s_branch .LBB15_1896
.LBB15_1895:
	s_mov_b32 s0, -1
	s_mov_b32 s6, 0
.LBB15_1896:
	s_and_b32 vcc_lo, exec_lo, s0
	s_cbranch_vccz .LBB15_1935
; %bb.1897:
	v_cmp_gt_i16_e32 vcc_lo, 5, v6
	s_mov_b32 s0, -1
	s_cbranch_vccnz .LBB15_1918
; %bb.1898:
	v_cmp_gt_i16_e32 vcc_lo, 8, v6
	s_cbranch_vccnz .LBB15_1908
; %bb.1899:
	v_cmp_gt_i16_e32 vcc_lo, 9, v6
	s_cbranch_vccnz .LBB15_1905
; %bb.1900:
	v_cmp_lt_i16_e32 vcc_lo, 9, v6
	s_cbranch_vccz .LBB15_1902
; %bb.1901:
	v_cvt_f64_f32_e32 v[10:11], v2
	v_mov_b32_e32 v12, 0
	s_mov_b32 s0, 0
	s_delay_alu instid0(VALU_DEP_1)
	v_mov_b32_e32 v13, v12
	global_store_b128 v[0:1], v[10:13], off
.LBB15_1902:
	s_and_not1_b32 vcc_lo, exec_lo, s0
	s_cbranch_vccnz .LBB15_1904
; %bb.1903:
	v_mov_b32_e32 v3, 0
	global_store_b64 v[0:1], v[2:3], off
.LBB15_1904:
	s_mov_b32 s0, 0
.LBB15_1905:
	s_delay_alu instid0(SALU_CYCLE_1)
	s_and_not1_b32 vcc_lo, exec_lo, s0
	s_cbranch_vccnz .LBB15_1907
; %bb.1906:
	v_cvt_f16_f32_e32 v3, v2
	s_delay_alu instid0(VALU_DEP_1)
	v_and_b32_e32 v3, 0xffff, v3
	global_store_b32 v[0:1], v3, off
.LBB15_1907:
	s_mov_b32 s0, 0
.LBB15_1908:
	s_delay_alu instid0(SALU_CYCLE_1)
	s_and_not1_b32 vcc_lo, exec_lo, s0
	s_cbranch_vccnz .LBB15_1917
; %bb.1909:
	v_cmp_gt_i16_e32 vcc_lo, 6, v6
	s_mov_b32 s0, -1
	s_cbranch_vccnz .LBB15_1915
; %bb.1910:
	v_cmp_lt_i16_e32 vcc_lo, 6, v6
	s_cbranch_vccz .LBB15_1912
; %bb.1911:
	v_cvt_f64_f32_e32 v[7:8], v2
	s_mov_b32 s0, 0
	global_store_b64 v[0:1], v[7:8], off
.LBB15_1912:
	s_and_not1_b32 vcc_lo, exec_lo, s0
	s_cbranch_vccnz .LBB15_1914
; %bb.1913:
	global_store_b32 v[0:1], v2, off
.LBB15_1914:
	s_mov_b32 s0, 0
.LBB15_1915:
	s_delay_alu instid0(SALU_CYCLE_1)
	s_and_not1_b32 vcc_lo, exec_lo, s0
	s_cbranch_vccnz .LBB15_1917
; %bb.1916:
	v_cvt_f16_f32_e32 v3, v2
	global_store_b16 v[0:1], v3, off
.LBB15_1917:
	s_mov_b32 s0, 0
.LBB15_1918:
	s_delay_alu instid0(SALU_CYCLE_1)
	s_and_not1_b32 vcc_lo, exec_lo, s0
	s_cbranch_vccnz .LBB15_1934
; %bb.1919:
	v_cmp_gt_i16_e32 vcc_lo, 2, v6
	s_mov_b32 s0, -1
	s_cbranch_vccnz .LBB15_1929
; %bb.1920:
	v_cmp_gt_i16_e32 vcc_lo, 3, v6
	s_cbranch_vccnz .LBB15_1926
; %bb.1921:
	v_cmp_lt_i16_e32 vcc_lo, 3, v6
	s_cbranch_vccz .LBB15_1923
; %bb.1922:
	v_trunc_f32_e32 v3, v2
	s_mov_b32 s0, 0
	s_delay_alu instid0(VALU_DEP_1) | instskip(NEXT) | instid1(VALU_DEP_1)
	v_mul_f32_e64 v7, 0x2f800000, |v3|
	v_floor_f32_e32 v7, v7
	s_delay_alu instid0(VALU_DEP_1) | instskip(SKIP_2) | instid1(VALU_DEP_3)
	v_fma_f32 v8, 0xcf800000, v7, |v3|
	v_ashrrev_i32_e32 v3, 31, v3
	v_cvt_u32_f32_e32 v7, v7
	v_cvt_u32_f32_e32 v8, v8
	s_delay_alu instid0(VALU_DEP_2) | instskip(NEXT) | instid1(VALU_DEP_2)
	v_xor_b32_e32 v10, v7, v3
	v_xor_b32_e32 v8, v8, v3
	s_delay_alu instid0(VALU_DEP_1) | instskip(NEXT) | instid1(VALU_DEP_3)
	v_sub_co_u32 v7, vcc_lo, v8, v3
	v_sub_co_ci_u32_e32 v8, vcc_lo, v10, v3, vcc_lo
	global_store_b64 v[0:1], v[7:8], off
.LBB15_1923:
	s_and_not1_b32 vcc_lo, exec_lo, s0
	s_cbranch_vccnz .LBB15_1925
; %bb.1924:
	v_cvt_i32_f32_e32 v3, v2
	global_store_b32 v[0:1], v3, off
.LBB15_1925:
	s_mov_b32 s0, 0
.LBB15_1926:
	s_delay_alu instid0(SALU_CYCLE_1)
	s_and_not1_b32 vcc_lo, exec_lo, s0
	s_cbranch_vccnz .LBB15_1928
; %bb.1927:
	v_cvt_i32_f32_e32 v3, v2
	global_store_b16 v[0:1], v3, off
.LBB15_1928:
	s_mov_b32 s0, 0
.LBB15_1929:
	s_delay_alu instid0(SALU_CYCLE_1)
	s_and_not1_b32 vcc_lo, exec_lo, s0
	s_cbranch_vccnz .LBB15_1934
; %bb.1930:
	v_cmp_lt_i16_e32 vcc_lo, 0, v6
	s_mov_b32 s0, -1
	s_cbranch_vccz .LBB15_1932
; %bb.1931:
	v_cvt_i32_f32_e32 v3, v2
	s_mov_b32 s0, 0
	global_store_b8 v[0:1], v3, off
.LBB15_1932:
	s_and_not1_b32 vcc_lo, exec_lo, s0
	s_cbranch_vccnz .LBB15_1934
; %bb.1933:
	v_trunc_f32_e32 v2, v2
	s_delay_alu instid0(VALU_DEP_1) | instskip(NEXT) | instid1(VALU_DEP_1)
	v_mul_f32_e64 v3, 0x2f800000, |v2|
	v_floor_f32_e32 v3, v3
	s_delay_alu instid0(VALU_DEP_1) | instskip(SKIP_1) | instid1(VALU_DEP_2)
	v_fma_f32 v3, 0xcf800000, v3, |v2|
	v_ashrrev_i32_e32 v2, 31, v2
	v_cvt_u32_f32_e32 v3, v3
	s_delay_alu instid0(VALU_DEP_1) | instskip(NEXT) | instid1(VALU_DEP_1)
	v_xor_b32_e32 v3, v3, v2
	v_sub_nc_u32_e32 v2, v3, v2
	global_store_b8 v[0:1], v2, off
.LBB15_1934:
	s_mov_b32 s6, -1
.LBB15_1935:
	s_delay_alu instid0(SALU_CYCLE_1)
	s_and_not1_b32 vcc_lo, exec_lo, s6
	s_cbranch_vccnz .LBB15_2012
; %bb.1936:
	s_waitcnt vmcnt(0)
	v_dual_mul_f32 v1, v9, v5 :: v_dual_add_nc_u32 v0, s2, v4
	v_cmp_eq_f32_e64 s0, 1.0, v5
	v_cmp_gt_i16_e32 vcc_lo, 11, v6
	s_delay_alu instid0(VALU_DEP_3) | instskip(NEXT) | instid1(VALU_DEP_3)
	v_ashrrev_i32_e32 v3, 31, v0
	v_cndmask_b32_e64 v2, v1, v9, s0
	v_add_co_u32 v0, s0, s4, v0
	s_delay_alu instid0(VALU_DEP_1)
	v_add_co_ci_u32_e64 v1, s0, s5, v3, s0
	s_cbranch_vccnz .LBB15_2057
; %bb.1937:
	v_cmp_lt_i16_e32 vcc_lo, 25, v6
	s_mov_b32 s3, -1
	s_mov_b32 s2, 0
	s_mov_b32 s0, 0
	s_cbranch_vccz .LBB15_1970
; %bb.1938:
	v_cmp_lt_i16_e32 vcc_lo, 28, v6
	s_cbranch_vccz .LBB15_1954
; %bb.1939:
	v_cmp_lt_i16_e32 vcc_lo, 43, v6
	s_cbranch_vccz .LBB15_1950
; %bb.1940:
	v_cmp_lt_i16_e32 vcc_lo, 45, v6
	s_cbranch_vccz .LBB15_1944
; %bb.1941:
	v_cmp_eq_u16_e32 vcc_lo, 46, v6
	s_mov_b32 s0, -1
	s_cbranch_vccz .LBB15_1943
; %bb.1942:
	v_bfe_u32 v3, v2, 16, 1
	v_cmp_o_f32_e32 vcc_lo, v2, v2
	s_mov_b32 s0, 0
	s_delay_alu instid0(VALU_DEP_2) | instskip(NEXT) | instid1(VALU_DEP_1)
	v_add3_u32 v3, v2, v3, 0x7fff
	v_lshrrev_b32_e32 v3, 16, v3
	s_delay_alu instid0(VALU_DEP_1)
	v_cndmask_b32_e32 v3, 0x7fc0, v3, vcc_lo
	global_store_b32 v[0:1], v3, off
.LBB15_1943:
	s_mov_b32 s3, 0
.LBB15_1944:
	s_delay_alu instid0(SALU_CYCLE_1)
	s_and_b32 vcc_lo, exec_lo, s3
	s_cbranch_vccz .LBB15_1949
; %bb.1945:
	v_cmp_eq_u16_e32 vcc_lo, 44, v6
	s_mov_b32 s0, -1
	s_cbranch_vccz .LBB15_1949
; %bb.1946:
	v_bfe_u32 v4, v2, 23, 8
	v_mov_b32_e32 v3, 0xff
	s_mov_b32 s3, exec_lo
	s_delay_alu instid0(VALU_DEP_2)
	v_cmpx_ne_u32_e32 0xff, v4
; %bb.1947:
	v_and_b32_e32 v3, 0x400000, v2
	v_and_or_b32 v4, 0x3fffff, v2, v4
	s_delay_alu instid0(VALU_DEP_2) | instskip(NEXT) | instid1(VALU_DEP_2)
	v_cmp_ne_u32_e32 vcc_lo, 0, v3
	v_cmp_ne_u32_e64 s0, 0, v4
	v_lshrrev_b32_e32 v3, 23, v2
	s_delay_alu instid0(VALU_DEP_2) | instskip(NEXT) | instid1(SALU_CYCLE_1)
	s_and_b32 s0, vcc_lo, s0
	v_cndmask_b32_e64 v4, 0, 1, s0
	s_delay_alu instid0(VALU_DEP_1)
	v_add_nc_u32_e32 v3, v3, v4
; %bb.1948:
	s_or_b32 exec_lo, exec_lo, s3
	s_mov_b32 s0, 0
	global_store_b8 v[0:1], v3, off
.LBB15_1949:
	s_mov_b32 s3, 0
.LBB15_1950:
	s_delay_alu instid0(SALU_CYCLE_1)
	s_and_b32 vcc_lo, exec_lo, s3
	s_cbranch_vccz .LBB15_1953
; %bb.1951:
	v_cmp_eq_u16_e32 vcc_lo, 29, v6
	s_mov_b32 s0, -1
	s_cbranch_vccz .LBB15_1953
; %bb.1952:
	v_trunc_f32_e32 v3, v2
	s_mov_b32 s0, 0
	s_delay_alu instid0(VALU_DEP_1) | instskip(NEXT) | instid1(VALU_DEP_1)
	v_mul_f32_e32 v4, 0x2f800000, v3
	v_floor_f32_e32 v4, v4
	s_delay_alu instid0(VALU_DEP_1) | instskip(SKIP_1) | instid1(VALU_DEP_2)
	v_fmamk_f32 v3, v4, 0xcf800000, v3
	v_cvt_u32_f32_e32 v4, v4
	v_cvt_u32_f32_e32 v3, v3
	global_store_b64 v[0:1], v[3:4], off
.LBB15_1953:
	s_mov_b32 s3, 0
.LBB15_1954:
	s_delay_alu instid0(SALU_CYCLE_1)
	s_and_b32 vcc_lo, exec_lo, s3
	s_cbranch_vccz .LBB15_1969
; %bb.1955:
	v_cmp_gt_i16_e32 vcc_lo, 27, v6
	s_mov_b32 s3, -1
	s_cbranch_vccnz .LBB15_1961
; %bb.1956:
	v_cmp_lt_i16_e32 vcc_lo, 27, v6
	v_cvt_u32_f32_e32 v3, v2
	s_cbranch_vccz .LBB15_1958
; %bb.1957:
	s_mov_b32 s3, 0
	global_store_b32 v[0:1], v3, off
.LBB15_1958:
	s_and_not1_b32 vcc_lo, exec_lo, s3
	s_cbranch_vccnz .LBB15_1960
; %bb.1959:
	global_store_b16 v[0:1], v3, off
.LBB15_1960:
	s_mov_b32 s3, 0
.LBB15_1961:
	s_delay_alu instid0(SALU_CYCLE_1)
	s_and_not1_b32 vcc_lo, exec_lo, s3
	s_cbranch_vccnz .LBB15_1969
; %bb.1962:
	v_and_b32_e32 v3, 0x7fffffff, v2
	v_mov_b32_e32 v4, 0x80
	s_mov_b32 s3, exec_lo
	s_delay_alu instid0(VALU_DEP_2)
	v_cmpx_gt_u32_e32 0x43800000, v3
	s_cbranch_execz .LBB15_1968
; %bb.1963:
	v_cmp_lt_u32_e32 vcc_lo, 0x3bffffff, v3
	s_mov_b32 s4, 0
                                        ; implicit-def: $vgpr3
	s_and_saveexec_b32 s5, vcc_lo
	s_delay_alu instid0(SALU_CYCLE_1)
	s_xor_b32 s5, exec_lo, s5
	s_cbranch_execz .LBB15_2084
; %bb.1964:
	v_bfe_u32 v3, v2, 20, 1
	s_mov_b32 s4, exec_lo
	s_delay_alu instid0(VALU_DEP_1) | instskip(NEXT) | instid1(VALU_DEP_1)
	v_add3_u32 v3, v2, v3, 0x487ffff
	v_lshrrev_b32_e32 v3, 20, v3
	s_or_saveexec_b32 s5, s5
                                        ; implicit-def: $sgpr6
	s_delay_alu instid0(SALU_CYCLE_1)
	s_xor_b32 exec_lo, exec_lo, s5
	s_cbranch_execnz .LBB15_2085
.LBB15_1965:
	s_or_b32 exec_lo, exec_lo, s5
	v_mov_b32_e32 v4, s6
	s_and_saveexec_b32 s5, s4
.LBB15_1966:
	v_lshrrev_b32_e32 v4, 24, v2
	s_delay_alu instid0(VALU_DEP_1)
	v_and_or_b32 v4, 0x80, v4, v3
.LBB15_1967:
	s_or_b32 exec_lo, exec_lo, s5
.LBB15_1968:
	s_delay_alu instid0(SALU_CYCLE_1)
	s_or_b32 exec_lo, exec_lo, s3
	global_store_b8 v[0:1], v4, off
.LBB15_1969:
	s_mov_b32 s3, 0
.LBB15_1970:
	s_delay_alu instid0(SALU_CYCLE_1)
	s_and_b32 vcc_lo, exec_lo, s3
	s_cbranch_vccz .LBB15_2010
; %bb.1971:
	v_cmp_lt_i16_e32 vcc_lo, 22, v6
	s_mov_b32 s2, -1
	s_cbranch_vccz .LBB15_2003
; %bb.1972:
	v_cmp_gt_i16_e32 vcc_lo, 24, v6
	s_cbranch_vccnz .LBB15_1992
; %bb.1973:
	v_cmp_lt_i16_e32 vcc_lo, 24, v6
	s_cbranch_vccz .LBB15_1981
; %bb.1974:
	v_and_b32_e32 v3, 0x7fffffff, v2
	v_mov_b32_e32 v4, 0x80
	s_mov_b32 s2, exec_lo
	s_delay_alu instid0(VALU_DEP_2)
	v_cmpx_gt_u32_e32 0x47800000, v3
	s_cbranch_execz .LBB15_1980
; %bb.1975:
	v_cmp_lt_u32_e32 vcc_lo, 0x37ffffff, v3
	s_mov_b32 s3, 0
                                        ; implicit-def: $vgpr3
	s_and_saveexec_b32 s4, vcc_lo
	s_delay_alu instid0(SALU_CYCLE_1)
	s_xor_b32 s4, exec_lo, s4
	s_cbranch_execz .LBB15_2090
; %bb.1976:
	v_bfe_u32 v3, v2, 21, 1
	s_mov_b32 s3, exec_lo
	s_delay_alu instid0(VALU_DEP_1) | instskip(NEXT) | instid1(VALU_DEP_1)
	v_add3_u32 v3, v2, v3, 0x88fffff
	v_lshrrev_b32_e32 v3, 21, v3
	s_or_saveexec_b32 s4, s4
                                        ; implicit-def: $sgpr5
	s_delay_alu instid0(SALU_CYCLE_1)
	s_xor_b32 exec_lo, exec_lo, s4
	s_cbranch_execnz .LBB15_2091
.LBB15_1977:
	s_or_b32 exec_lo, exec_lo, s4
	v_mov_b32_e32 v4, s5
	s_and_saveexec_b32 s4, s3
.LBB15_1978:
	v_lshrrev_b32_e32 v4, 24, v2
	s_delay_alu instid0(VALU_DEP_1)
	v_and_or_b32 v4, 0x80, v4, v3
.LBB15_1979:
	s_or_b32 exec_lo, exec_lo, s4
.LBB15_1980:
	s_delay_alu instid0(SALU_CYCLE_1)
	s_or_b32 exec_lo, exec_lo, s2
	s_mov_b32 s2, 0
	global_store_b8 v[0:1], v4, off
.LBB15_1981:
	s_and_b32 vcc_lo, exec_lo, s2
	s_cbranch_vccz .LBB15_1991
; %bb.1982:
	v_and_b32_e32 v4, 0x7fffffff, v2
	s_mov_b32 s2, exec_lo
                                        ; implicit-def: $vgpr3
	s_delay_alu instid0(VALU_DEP_1)
	v_cmpx_gt_u32_e32 0x43f00000, v4
	s_xor_b32 s2, exec_lo, s2
	s_cbranch_execz .LBB15_1988
; %bb.1983:
	s_mov_b32 s3, exec_lo
                                        ; implicit-def: $vgpr3
	v_cmpx_lt_u32_e32 0x3c7fffff, v4
	s_xor_b32 s3, exec_lo, s3
; %bb.1984:
	v_bfe_u32 v3, v2, 20, 1
	s_delay_alu instid0(VALU_DEP_1) | instskip(NEXT) | instid1(VALU_DEP_1)
	v_add3_u32 v3, v2, v3, 0x407ffff
	v_and_b32_e32 v4, 0xff00000, v3
	v_lshrrev_b32_e32 v3, 20, v3
	s_delay_alu instid0(VALU_DEP_2) | instskip(NEXT) | instid1(VALU_DEP_2)
	v_cmp_ne_u32_e32 vcc_lo, 0x7f00000, v4
	v_cndmask_b32_e32 v3, 0x7e, v3, vcc_lo
; %bb.1985:
	s_and_not1_saveexec_b32 s3, s3
; %bb.1986:
	v_add_f32_e64 v3, 0x46800000, |v2|
; %bb.1987:
	s_or_b32 exec_lo, exec_lo, s3
                                        ; implicit-def: $vgpr4
.LBB15_1988:
	s_and_not1_saveexec_b32 s2, s2
; %bb.1989:
	v_mov_b32_e32 v3, 0x7f
	v_cmp_lt_u32_e32 vcc_lo, 0x7f800000, v4
	s_delay_alu instid0(VALU_DEP_2)
	v_cndmask_b32_e32 v3, 0x7e, v3, vcc_lo
; %bb.1990:
	s_or_b32 exec_lo, exec_lo, s2
	v_lshrrev_b32_e32 v4, 24, v2
	s_delay_alu instid0(VALU_DEP_1)
	v_and_or_b32 v3, 0x80, v4, v3
	global_store_b8 v[0:1], v3, off
.LBB15_1991:
	s_mov_b32 s2, 0
.LBB15_1992:
	s_delay_alu instid0(SALU_CYCLE_1)
	s_and_not1_b32 vcc_lo, exec_lo, s2
	s_cbranch_vccnz .LBB15_2002
; %bb.1993:
	v_and_b32_e32 v4, 0x7fffffff, v2
	s_mov_b32 s2, exec_lo
                                        ; implicit-def: $vgpr3
	s_delay_alu instid0(VALU_DEP_1)
	v_cmpx_gt_u32_e32 0x47800000, v4
	s_xor_b32 s2, exec_lo, s2
	s_cbranch_execz .LBB15_1999
; %bb.1994:
	s_mov_b32 s3, exec_lo
                                        ; implicit-def: $vgpr3
	v_cmpx_lt_u32_e32 0x387fffff, v4
	s_xor_b32 s3, exec_lo, s3
; %bb.1995:
	v_bfe_u32 v3, v2, 21, 1
	s_delay_alu instid0(VALU_DEP_1) | instskip(NEXT) | instid1(VALU_DEP_1)
	v_add3_u32 v3, v2, v3, 0x80fffff
	v_lshrrev_b32_e32 v3, 21, v3
; %bb.1996:
	s_and_not1_saveexec_b32 s3, s3
; %bb.1997:
	v_add_f32_e64 v3, 0x43000000, |v2|
; %bb.1998:
	s_or_b32 exec_lo, exec_lo, s3
                                        ; implicit-def: $vgpr4
.LBB15_1999:
	s_and_not1_saveexec_b32 s2, s2
; %bb.2000:
	v_mov_b32_e32 v3, 0x7f
	v_cmp_lt_u32_e32 vcc_lo, 0x7f800000, v4
	s_delay_alu instid0(VALU_DEP_2)
	v_cndmask_b32_e32 v3, 0x7c, v3, vcc_lo
; %bb.2001:
	s_or_b32 exec_lo, exec_lo, s2
	v_lshrrev_b32_e32 v4, 24, v2
	s_delay_alu instid0(VALU_DEP_1)
	v_and_or_b32 v3, 0x80, v4, v3
	global_store_b8 v[0:1], v3, off
.LBB15_2002:
	s_mov_b32 s2, 0
.LBB15_2003:
	s_delay_alu instid0(SALU_CYCLE_1)
	s_and_not1_b32 vcc_lo, exec_lo, s2
	s_mov_b32 s2, 0
	s_cbranch_vccnz .LBB15_2010
; %bb.2004:
	v_cmp_lt_i16_e32 vcc_lo, 14, v6
	s_mov_b32 s2, -1
	s_cbranch_vccz .LBB15_2008
; %bb.2005:
	v_cmp_eq_u16_e32 vcc_lo, 15, v6
	s_mov_b32 s0, -1
	s_cbranch_vccz .LBB15_2007
; %bb.2006:
	v_bfe_u32 v3, v2, 16, 1
	v_cmp_o_f32_e32 vcc_lo, v2, v2
	s_mov_b32 s0, 0
	s_delay_alu instid0(VALU_DEP_2) | instskip(NEXT) | instid1(VALU_DEP_1)
	v_add3_u32 v3, v2, v3, 0x7fff
	v_lshrrev_b32_e32 v3, 16, v3
	s_delay_alu instid0(VALU_DEP_1)
	v_cndmask_b32_e32 v3, 0x7fc0, v3, vcc_lo
	global_store_b16 v[0:1], v3, off
.LBB15_2007:
	s_mov_b32 s2, 0
.LBB15_2008:
	s_delay_alu instid0(SALU_CYCLE_1)
	s_and_b32 vcc_lo, exec_lo, s2
	s_mov_b32 s2, 0
	s_cbranch_vccz .LBB15_2010
; %bb.2009:
	v_cmp_ne_u16_e64 s0, 11, v6
	s_mov_b32 s2, -1
.LBB15_2010:
	s_delay_alu instid0(VALU_DEP_1)
	s_and_b32 vcc_lo, exec_lo, s0
	s_cbranch_vccnz .LBB15_2088
.LBB15_2011:
	s_mov_b32 s0, 0
	s_branch .LBB15_2013
.LBB15_2012:
	s_mov_b32 s0, 0
	s_mov_b32 s2, 0
                                        ; implicit-def: $vgpr6
                                        ; implicit-def: $vgpr0_vgpr1
                                        ; implicit-def: $vgpr2
.LBB15_2013:
	s_and_not1_b32 s3, s14, exec_lo
	s_and_b32 s4, s1, exec_lo
	s_and_b32 s0, s0, exec_lo
	;; [unrolled: 1-line block ×3, first 2 shown]
	s_or_b32 s14, s3, s4
.LBB15_2014:
	s_or_b32 exec_lo, exec_lo, s13
	s_and_saveexec_b32 s2, s14
	s_cbranch_execz .LBB15_2017
; %bb.2015:
	; divergent unreachable
	s_or_b32 exec_lo, exec_lo, s2
	s_and_saveexec_b32 s2, s1
	s_delay_alu instid0(SALU_CYCLE_1)
	s_xor_b32 s1, exec_lo, s2
	s_cbranch_execnz .LBB15_2018
.LBB15_2016:
	s_or_b32 exec_lo, exec_lo, s1
	s_and_saveexec_b32 s1, s0
	s_cbranch_execnz .LBB15_2019
	s_branch .LBB15_2056
.LBB15_2017:
	s_or_b32 exec_lo, exec_lo, s2
	s_and_saveexec_b32 s2, s1
	s_delay_alu instid0(SALU_CYCLE_1)
	s_xor_b32 s1, exec_lo, s2
	s_cbranch_execz .LBB15_2016
.LBB15_2018:
	s_waitcnt vmcnt(0)
	v_cmp_neq_f32_e32 vcc_lo, 0, v2
	v_cndmask_b32_e64 v3, 0, 1, vcc_lo
	global_store_b8 v[0:1], v3, off
	s_or_b32 exec_lo, exec_lo, s1
	s_and_saveexec_b32 s1, s0
	s_cbranch_execz .LBB15_2056
.LBB15_2019:
	v_cmp_gt_i16_e32 vcc_lo, 5, v6
	s_mov_b32 s0, -1
	s_cbranch_vccnz .LBB15_2040
; %bb.2020:
	v_cmp_gt_i16_e32 vcc_lo, 8, v6
	s_cbranch_vccnz .LBB15_2030
; %bb.2021:
	v_cmp_gt_i16_e32 vcc_lo, 9, v6
	s_cbranch_vccnz .LBB15_2027
; %bb.2022:
	v_cmp_lt_i16_e32 vcc_lo, 9, v6
	s_cbranch_vccz .LBB15_2024
; %bb.2023:
	s_waitcnt vmcnt(0)
	v_cvt_f64_f32_e32 v[7:8], v2
	v_mov_b32_e32 v9, 0
	s_mov_b32 s0, 0
	s_delay_alu instid0(VALU_DEP_1)
	v_mov_b32_e32 v10, v9
	global_store_b128 v[0:1], v[7:10], off
.LBB15_2024:
	s_and_not1_b32 vcc_lo, exec_lo, s0
	s_cbranch_vccnz .LBB15_2026
; %bb.2025:
	s_waitcnt vmcnt(0)
	v_mov_b32_e32 v3, 0
	global_store_b64 v[0:1], v[2:3], off
.LBB15_2026:
	s_mov_b32 s0, 0
.LBB15_2027:
	s_delay_alu instid0(SALU_CYCLE_1)
	s_and_not1_b32 vcc_lo, exec_lo, s0
	s_cbranch_vccnz .LBB15_2029
; %bb.2028:
	s_waitcnt vmcnt(0)
	v_cvt_f16_f32_e32 v3, v2
	s_delay_alu instid0(VALU_DEP_1)
	v_and_b32_e32 v3, 0xffff, v3
	global_store_b32 v[0:1], v3, off
.LBB15_2029:
	s_mov_b32 s0, 0
.LBB15_2030:
	s_delay_alu instid0(SALU_CYCLE_1)
	s_and_not1_b32 vcc_lo, exec_lo, s0
	s_cbranch_vccnz .LBB15_2039
; %bb.2031:
	v_cmp_gt_i16_e32 vcc_lo, 6, v6
	s_mov_b32 s0, -1
	s_cbranch_vccnz .LBB15_2037
; %bb.2032:
	v_cmp_lt_i16_e32 vcc_lo, 6, v6
	s_cbranch_vccz .LBB15_2034
; %bb.2033:
	s_waitcnt vmcnt(0)
	v_cvt_f64_f32_e32 v[3:4], v2
	s_mov_b32 s0, 0
	global_store_b64 v[0:1], v[3:4], off
.LBB15_2034:
	s_and_not1_b32 vcc_lo, exec_lo, s0
	s_cbranch_vccnz .LBB15_2036
; %bb.2035:
	s_waitcnt vmcnt(0)
	global_store_b32 v[0:1], v2, off
.LBB15_2036:
	s_mov_b32 s0, 0
.LBB15_2037:
	s_delay_alu instid0(SALU_CYCLE_1)
	s_and_not1_b32 vcc_lo, exec_lo, s0
	s_cbranch_vccnz .LBB15_2039
; %bb.2038:
	s_waitcnt vmcnt(0)
	v_cvt_f16_f32_e32 v3, v2
	global_store_b16 v[0:1], v3, off
.LBB15_2039:
	s_mov_b32 s0, 0
.LBB15_2040:
	s_delay_alu instid0(SALU_CYCLE_1)
	s_and_not1_b32 vcc_lo, exec_lo, s0
	s_cbranch_vccnz .LBB15_2056
; %bb.2041:
	v_cmp_gt_i16_e32 vcc_lo, 2, v6
	s_mov_b32 s0, -1
	s_cbranch_vccnz .LBB15_2051
; %bb.2042:
	v_cmp_gt_i16_e32 vcc_lo, 3, v6
	s_cbranch_vccnz .LBB15_2048
; %bb.2043:
	v_cmp_lt_i16_e32 vcc_lo, 3, v6
	s_cbranch_vccz .LBB15_2045
; %bb.2044:
	s_waitcnt vmcnt(0)
	v_trunc_f32_e32 v3, v2
	s_mov_b32 s0, 0
	s_delay_alu instid0(VALU_DEP_1) | instskip(SKIP_1) | instid1(VALU_DEP_2)
	v_mul_f32_e64 v4, 0x2f800000, |v3|
	v_ashrrev_i32_e32 v7, 31, v3
	v_floor_f32_e32 v4, v4
	s_delay_alu instid0(VALU_DEP_1) | instskip(SKIP_1) | instid1(VALU_DEP_2)
	v_fma_f32 v5, 0xcf800000, v4, |v3|
	v_cvt_u32_f32_e32 v4, v4
	v_cvt_u32_f32_e32 v3, v5
	s_delay_alu instid0(VALU_DEP_2) | instskip(NEXT) | instid1(VALU_DEP_2)
	v_xor_b32_e32 v4, v4, v7
	v_xor_b32_e32 v3, v3, v7
	s_delay_alu instid0(VALU_DEP_1) | instskip(NEXT) | instid1(VALU_DEP_3)
	v_sub_co_u32 v3, vcc_lo, v3, v7
	v_sub_co_ci_u32_e32 v4, vcc_lo, v4, v7, vcc_lo
	global_store_b64 v[0:1], v[3:4], off
.LBB15_2045:
	s_and_not1_b32 vcc_lo, exec_lo, s0
	s_cbranch_vccnz .LBB15_2047
; %bb.2046:
	s_waitcnt vmcnt(0)
	v_cvt_i32_f32_e32 v3, v2
	global_store_b32 v[0:1], v3, off
.LBB15_2047:
	s_mov_b32 s0, 0
.LBB15_2048:
	s_delay_alu instid0(SALU_CYCLE_1)
	s_and_not1_b32 vcc_lo, exec_lo, s0
	s_cbranch_vccnz .LBB15_2050
; %bb.2049:
	s_waitcnt vmcnt(0)
	v_cvt_i32_f32_e32 v3, v2
	global_store_b16 v[0:1], v3, off
.LBB15_2050:
	s_mov_b32 s0, 0
.LBB15_2051:
	s_delay_alu instid0(SALU_CYCLE_1)
	s_and_not1_b32 vcc_lo, exec_lo, s0
	s_cbranch_vccnz .LBB15_2056
; %bb.2052:
	v_cmp_lt_i16_e32 vcc_lo, 0, v6
	s_mov_b32 s0, -1
	s_cbranch_vccz .LBB15_2054
; %bb.2053:
	s_waitcnt vmcnt(0)
	v_cvt_i32_f32_e32 v3, v2
	s_mov_b32 s0, 0
	global_store_b8 v[0:1], v3, off
.LBB15_2054:
	s_and_not1_b32 vcc_lo, exec_lo, s0
	s_cbranch_vccnz .LBB15_2056
; %bb.2055:
	s_waitcnt vmcnt(0)
	v_trunc_f32_e32 v2, v2
	s_delay_alu instid0(VALU_DEP_1) | instskip(NEXT) | instid1(VALU_DEP_1)
	v_mul_f32_e64 v3, 0x2f800000, |v2|
	v_floor_f32_e32 v3, v3
	s_delay_alu instid0(VALU_DEP_1) | instskip(SKIP_1) | instid1(VALU_DEP_2)
	v_fma_f32 v3, 0xcf800000, v3, |v2|
	v_ashrrev_i32_e32 v2, 31, v2
	v_cvt_u32_f32_e32 v3, v3
	s_delay_alu instid0(VALU_DEP_1) | instskip(NEXT) | instid1(VALU_DEP_1)
	v_xor_b32_e32 v3, v3, v2
	v_sub_nc_u32_e32 v2, v3, v2
	global_store_b8 v[0:1], v2, off
	s_nop 0
	s_sendmsg sendmsg(MSG_DEALLOC_VGPRS)
	s_endpgm
.LBB15_2056:
	s_nop 0
	s_sendmsg sendmsg(MSG_DEALLOC_VGPRS)
	s_endpgm
.LBB15_2057:
	s_mov_b32 s2, 0
	s_mov_b32 s0, -1
	s_branch .LBB15_2013
.LBB15_2058:
	s_cbranch_execnz .LBB15_2062
; %bb.2059:
	s_or_b32 s1, s1, exec_lo
                                        ; implicit-def: $vgpr9
	s_cbranch_execz .LBB15_1525
	s_branch .LBB15_1526
.LBB15_2060:
	s_or_saveexec_b32 s8, s8
                                        ; implicit-def: $sgpr9
	s_delay_alu instid0(SALU_CYCLE_1)
	s_xor_b32 exec_lo, exec_lo, s8
	s_cbranch_execz .LBB15_1607
.LBB15_2061:
	v_add_f32_e64 v3, 0x46000000, |v2|
	s_and_not1_b32 s7, s7, exec_lo
	s_mov_b32 s9, 0
	s_delay_alu instid0(VALU_DEP_1) | instskip(NEXT) | instid1(VALU_DEP_1)
	v_and_b32_e32 v3, 0xff, v3
	v_cmp_ne_u32_e32 vcc_lo, 0, v3
	s_and_b32 s10, vcc_lo, exec_lo
	s_delay_alu instid0(SALU_CYCLE_1)
	s_or_b32 s7, s7, s10
	s_or_b32 exec_lo, exec_lo, s8
	v_mov_b32_e32 v12, s9
	s_and_saveexec_b32 s8, s7
	s_cbranch_execnz .LBB15_1608
	s_branch .LBB15_1609
.LBB15_2062:
	s_trap 2
	s_sendmsg_rtn_b32 s0, sendmsg(MSG_RTN_GET_DOORBELL)
	s_mov_b32 ttmp2, m0
	s_waitcnt lgkmcnt(0)
	s_and_b32 s0, s0, 0x3ff
	s_delay_alu instid0(SALU_CYCLE_1) | instskip(NEXT) | instid1(SALU_CYCLE_1)
	s_bitset1_b32 s0, 10
	s_mov_b32 m0, s0
	s_sendmsg sendmsg(MSG_INTERRUPT)
	s_mov_b32 m0, ttmp2
.LBB15_2063:                            ; =>This Inner Loop Header: Depth=1
	s_sethalt 5
	s_branch .LBB15_2063
.LBB15_2064:
	s_cbranch_execnz .LBB15_2070
; %bb.2065:
	s_or_b32 s1, s1, exec_lo
	s_cbranch_execz .LBB15_1655
	s_branch .LBB15_1656
.LBB15_2066:
	s_or_saveexec_b32 s7, s7
                                        ; implicit-def: $sgpr8
	s_delay_alu instid0(SALU_CYCLE_1)
	s_xor_b32 exec_lo, exec_lo, s7
	s_cbranch_execz .LBB15_1620
.LBB15_2067:
	v_add_f32_e64 v3, 0x42800000, |v2|
	s_and_not1_b32 s6, s6, exec_lo
	s_mov_b32 s8, 0
	s_delay_alu instid0(VALU_DEP_1) | instskip(NEXT) | instid1(VALU_DEP_1)
	v_and_b32_e32 v3, 0xff, v3
	v_cmp_ne_u32_e32 vcc_lo, 0, v3
	s_and_b32 s9, vcc_lo, exec_lo
	s_delay_alu instid0(SALU_CYCLE_1)
	s_or_b32 s6, s6, s9
	s_or_b32 exec_lo, exec_lo, s7
	v_mov_b32_e32 v12, s8
	s_and_saveexec_b32 s7, s6
	s_cbranch_execnz .LBB15_1621
	s_branch .LBB15_1622
.LBB15_2068:
	s_or_saveexec_b32 s8, s8
                                        ; implicit-def: $sgpr9
	s_delay_alu instid0(SALU_CYCLE_1)
	s_xor_b32 exec_lo, exec_lo, s8
	s_cbranch_execz .LBB15_1726
.LBB15_2069:
	v_add_f32_e64 v3, 0x46000000, |v2|
	s_and_not1_b32 s7, s7, exec_lo
	s_mov_b32 s9, 0
	s_delay_alu instid0(VALU_DEP_1) | instskip(NEXT) | instid1(VALU_DEP_1)
	v_and_b32_e32 v3, 0xff, v3
	v_cmp_ne_u32_e32 vcc_lo, 0, v3
	s_and_b32 s10, vcc_lo, exec_lo
	s_delay_alu instid0(SALU_CYCLE_1)
	s_or_b32 s7, s7, s10
	s_or_b32 exec_lo, exec_lo, s8
	v_mov_b32_e32 v7, s9
	s_and_saveexec_b32 s8, s7
	s_cbranch_execnz .LBB15_1727
	s_branch .LBB15_1728
.LBB15_2070:
	s_trap 2
	s_sendmsg_rtn_b32 s0, sendmsg(MSG_RTN_GET_DOORBELL)
	s_mov_b32 ttmp2, m0
	s_waitcnt lgkmcnt(0)
	s_and_b32 s0, s0, 0x3ff
	s_delay_alu instid0(SALU_CYCLE_1) | instskip(NEXT) | instid1(SALU_CYCLE_1)
	s_bitset1_b32 s0, 10
	s_mov_b32 m0, s0
	s_sendmsg sendmsg(MSG_INTERRUPT)
	s_mov_b32 m0, ttmp2
.LBB15_2071:                            ; =>This Inner Loop Header: Depth=1
	s_sethalt 5
	s_branch .LBB15_2071
.LBB15_2072:
	s_cbranch_execnz .LBB15_2078
; %bb.2073:
	s_or_b32 s1, s1, exec_lo
	s_cbranch_execz .LBB15_1774
	s_branch .LBB15_1775
.LBB15_2074:
	s_or_saveexec_b32 s7, s7
                                        ; implicit-def: $sgpr8
	s_delay_alu instid0(SALU_CYCLE_1)
	s_xor_b32 exec_lo, exec_lo, s7
	s_cbranch_execz .LBB15_1739
.LBB15_2075:
	v_add_f32_e64 v3, 0x42800000, |v2|
	s_and_not1_b32 s6, s6, exec_lo
	s_mov_b32 s8, 0
	s_delay_alu instid0(VALU_DEP_1) | instskip(NEXT) | instid1(VALU_DEP_1)
	v_and_b32_e32 v3, 0xff, v3
	v_cmp_ne_u32_e32 vcc_lo, 0, v3
	s_and_b32 s9, vcc_lo, exec_lo
	s_delay_alu instid0(SALU_CYCLE_1)
	s_or_b32 s6, s6, s9
	s_or_b32 exec_lo, exec_lo, s7
	v_mov_b32_e32 v7, s8
	s_and_saveexec_b32 s7, s6
	s_cbranch_execnz .LBB15_1740
	s_branch .LBB15_1741
.LBB15_2076:
	s_or_saveexec_b32 s8, s8
                                        ; implicit-def: $sgpr9
	s_delay_alu instid0(SALU_CYCLE_1)
	s_xor_b32 exec_lo, exec_lo, s8
	s_cbranch_execz .LBB15_1845
.LBB15_2077:
	v_add_f32_e64 v3, 0x46000000, |v2|
	s_and_not1_b32 s7, s7, exec_lo
	s_mov_b32 s9, 0
	s_delay_alu instid0(VALU_DEP_1) | instskip(NEXT) | instid1(VALU_DEP_1)
	v_and_b32_e32 v3, 0xff, v3
	v_cmp_ne_u32_e32 vcc_lo, 0, v3
	s_and_b32 s10, vcc_lo, exec_lo
	s_delay_alu instid0(SALU_CYCLE_1)
	s_or_b32 s7, s7, s10
	s_or_b32 exec_lo, exec_lo, s8
	v_mov_b32_e32 v7, s9
	s_and_saveexec_b32 s8, s7
	s_cbranch_execnz .LBB15_1846
	s_branch .LBB15_1847
.LBB15_2078:
	s_trap 2
	s_sendmsg_rtn_b32 s0, sendmsg(MSG_RTN_GET_DOORBELL)
	s_mov_b32 ttmp2, m0
	s_waitcnt lgkmcnt(0)
	s_and_b32 s0, s0, 0x3ff
	s_delay_alu instid0(SALU_CYCLE_1) | instskip(NEXT) | instid1(SALU_CYCLE_1)
	s_bitset1_b32 s0, 10
	s_mov_b32 m0, s0
	s_sendmsg sendmsg(MSG_INTERRUPT)
	s_mov_b32 m0, ttmp2
.LBB15_2079:                            ; =>This Inner Loop Header: Depth=1
	s_sethalt 5
	s_branch .LBB15_2079
.LBB15_2080:
	s_cbranch_execnz .LBB15_2086
; %bb.2081:
	s_or_b32 s1, s1, exec_lo
	s_cbranch_execz .LBB15_1893
	s_branch .LBB15_1894
.LBB15_2082:
	s_or_saveexec_b32 s7, s7
                                        ; implicit-def: $sgpr8
	s_delay_alu instid0(SALU_CYCLE_1)
	s_xor_b32 exec_lo, exec_lo, s7
	s_cbranch_execz .LBB15_1858
.LBB15_2083:
	v_add_f32_e64 v3, 0x42800000, |v2|
	s_and_not1_b32 s6, s6, exec_lo
	s_mov_b32 s8, 0
	s_delay_alu instid0(VALU_DEP_1) | instskip(NEXT) | instid1(VALU_DEP_1)
	v_and_b32_e32 v3, 0xff, v3
	v_cmp_ne_u32_e32 vcc_lo, 0, v3
	s_and_b32 s9, vcc_lo, exec_lo
	s_delay_alu instid0(SALU_CYCLE_1)
	s_or_b32 s6, s6, s9
	s_or_b32 exec_lo, exec_lo, s7
	v_mov_b32_e32 v7, s8
	s_and_saveexec_b32 s7, s6
	s_cbranch_execnz .LBB15_1859
	s_branch .LBB15_1860
.LBB15_2084:
	s_or_saveexec_b32 s5, s5
                                        ; implicit-def: $sgpr6
	s_delay_alu instid0(SALU_CYCLE_1)
	s_xor_b32 exec_lo, exec_lo, s5
	s_cbranch_execz .LBB15_1965
.LBB15_2085:
	v_add_f32_e64 v3, 0x46000000, |v2|
	s_and_not1_b32 s4, s4, exec_lo
	s_mov_b32 s6, 0
	s_delay_alu instid0(VALU_DEP_1) | instskip(NEXT) | instid1(VALU_DEP_1)
	v_and_b32_e32 v3, 0xff, v3
	v_cmp_ne_u32_e32 vcc_lo, 0, v3
	s_and_b32 s7, vcc_lo, exec_lo
	s_delay_alu instid0(SALU_CYCLE_1)
	s_or_b32 s4, s4, s7
	s_or_b32 exec_lo, exec_lo, s5
	v_mov_b32_e32 v4, s6
	s_and_saveexec_b32 s5, s4
	s_cbranch_execnz .LBB15_1966
	s_branch .LBB15_1967
.LBB15_2086:
	s_trap 2
	s_sendmsg_rtn_b32 s0, sendmsg(MSG_RTN_GET_DOORBELL)
	s_mov_b32 ttmp2, m0
	s_waitcnt lgkmcnt(0)
	s_and_b32 s0, s0, 0x3ff
	s_delay_alu instid0(SALU_CYCLE_1) | instskip(NEXT) | instid1(SALU_CYCLE_1)
	s_bitset1_b32 s0, 10
	s_mov_b32 m0, s0
	s_sendmsg sendmsg(MSG_INTERRUPT)
	s_mov_b32 m0, ttmp2
.LBB15_2087:                            ; =>This Inner Loop Header: Depth=1
	s_sethalt 5
	s_branch .LBB15_2087
.LBB15_2088:
	s_cbranch_execnz .LBB15_2092
; %bb.2089:
	s_mov_b32 s2, 0
	s_or_b32 s1, s1, exec_lo
	s_branch .LBB15_2011
.LBB15_2090:
	s_or_saveexec_b32 s4, s4
                                        ; implicit-def: $sgpr5
	s_delay_alu instid0(SALU_CYCLE_1)
	s_xor_b32 exec_lo, exec_lo, s4
	s_cbranch_execz .LBB15_1977
.LBB15_2091:
	v_add_f32_e64 v3, 0x42800000, |v2|
	s_and_not1_b32 s3, s3, exec_lo
	s_mov_b32 s5, 0
	s_delay_alu instid0(VALU_DEP_1) | instskip(NEXT) | instid1(VALU_DEP_1)
	v_and_b32_e32 v3, 0xff, v3
	v_cmp_ne_u32_e32 vcc_lo, 0, v3
	s_and_b32 s6, vcc_lo, exec_lo
	s_delay_alu instid0(SALU_CYCLE_1)
	s_or_b32 s3, s3, s6
	s_or_b32 exec_lo, exec_lo, s4
	v_mov_b32_e32 v4, s5
	s_and_saveexec_b32 s4, s3
	s_cbranch_execnz .LBB15_1978
	s_branch .LBB15_1979
.LBB15_2092:
	s_trap 2
	s_sendmsg_rtn_b32 s0, sendmsg(MSG_RTN_GET_DOORBELL)
	s_mov_b32 ttmp2, m0
	s_waitcnt lgkmcnt(0)
	s_and_b32 s0, s0, 0x3ff
	s_delay_alu instid0(SALU_CYCLE_1) | instskip(NEXT) | instid1(SALU_CYCLE_1)
	s_bitset1_b32 s0, 10
	s_mov_b32 m0, s0
	s_sendmsg sendmsg(MSG_INTERRUPT)
	s_mov_b32 m0, ttmp2
.LBB15_2093:                            ; =>This Inner Loop Header: Depth=1
	s_sethalt 5
	s_branch .LBB15_2093
	.section	.rodata,"a",@progbits
	.p2align	6, 0x0
	.amdhsa_kernel _ZN2at6native32elementwise_kernel_manual_unrollILi128ELi4EZNS0_15gpu_kernel_implIZZZNS0_12_GLOBAL__N_139_amp_non_finite_check_and_unscale_cuda_ERNS_6TensorES5_RKS4_ENKUlvE_clEvENKUlvE0_clEvEUlfE_EEvRNS_18TensorIteratorBaseERKT_EUlibE_EEviT1_
		.amdhsa_group_segment_fixed_size 0
		.amdhsa_private_segment_fixed_size 0
		.amdhsa_kernarg_size 56
		.amdhsa_user_sgpr_count 15
		.amdhsa_user_sgpr_dispatch_ptr 0
		.amdhsa_user_sgpr_queue_ptr 0
		.amdhsa_user_sgpr_kernarg_segment_ptr 1
		.amdhsa_user_sgpr_dispatch_id 0
		.amdhsa_user_sgpr_private_segment_size 0
		.amdhsa_wavefront_size32 1
		.amdhsa_uses_dynamic_stack 0
		.amdhsa_enable_private_segment 0
		.amdhsa_system_sgpr_workgroup_id_x 1
		.amdhsa_system_sgpr_workgroup_id_y 0
		.amdhsa_system_sgpr_workgroup_id_z 0
		.amdhsa_system_sgpr_workgroup_info 0
		.amdhsa_system_vgpr_workitem_id 0
		.amdhsa_next_free_vgpr 16
		.amdhsa_next_free_sgpr 29
		.amdhsa_reserve_vcc 1
		.amdhsa_float_round_mode_32 0
		.amdhsa_float_round_mode_16_64 0
		.amdhsa_float_denorm_mode_32 3
		.amdhsa_float_denorm_mode_16_64 3
		.amdhsa_dx10_clamp 1
		.amdhsa_ieee_mode 1
		.amdhsa_fp16_overflow 0
		.amdhsa_workgroup_processor_mode 1
		.amdhsa_memory_ordered 1
		.amdhsa_forward_progress 0
		.amdhsa_shared_vgpr_count 0
		.amdhsa_exception_fp_ieee_invalid_op 0
		.amdhsa_exception_fp_denorm_src 0
		.amdhsa_exception_fp_ieee_div_zero 0
		.amdhsa_exception_fp_ieee_overflow 0
		.amdhsa_exception_fp_ieee_underflow 0
		.amdhsa_exception_fp_ieee_inexact 0
		.amdhsa_exception_int_div_zero 0
	.end_amdhsa_kernel
	.section	.text._ZN2at6native32elementwise_kernel_manual_unrollILi128ELi4EZNS0_15gpu_kernel_implIZZZNS0_12_GLOBAL__N_139_amp_non_finite_check_and_unscale_cuda_ERNS_6TensorES5_RKS4_ENKUlvE_clEvENKUlvE0_clEvEUlfE_EEvRNS_18TensorIteratorBaseERKT_EUlibE_EEviT1_,"axG",@progbits,_ZN2at6native32elementwise_kernel_manual_unrollILi128ELi4EZNS0_15gpu_kernel_implIZZZNS0_12_GLOBAL__N_139_amp_non_finite_check_and_unscale_cuda_ERNS_6TensorES5_RKS4_ENKUlvE_clEvENKUlvE0_clEvEUlfE_EEvRNS_18TensorIteratorBaseERKT_EUlibE_EEviT1_,comdat
.Lfunc_end15:
	.size	_ZN2at6native32elementwise_kernel_manual_unrollILi128ELi4EZNS0_15gpu_kernel_implIZZZNS0_12_GLOBAL__N_139_amp_non_finite_check_and_unscale_cuda_ERNS_6TensorES5_RKS4_ENKUlvE_clEvENKUlvE0_clEvEUlfE_EEvRNS_18TensorIteratorBaseERKT_EUlibE_EEviT1_, .Lfunc_end15-_ZN2at6native32elementwise_kernel_manual_unrollILi128ELi4EZNS0_15gpu_kernel_implIZZZNS0_12_GLOBAL__N_139_amp_non_finite_check_and_unscale_cuda_ERNS_6TensorES5_RKS4_ENKUlvE_clEvENKUlvE0_clEvEUlfE_EEvRNS_18TensorIteratorBaseERKT_EUlibE_EEviT1_
                                        ; -- End function
	.section	.AMDGPU.csdata,"",@progbits
; Kernel info:
; codeLenInByte = 36148
; NumSgprs: 31
; NumVgprs: 16
; ScratchSize: 0
; MemoryBound: 1
; FloatMode: 240
; IeeeMode: 1
; LDSByteSize: 0 bytes/workgroup (compile time only)
; SGPRBlocks: 3
; VGPRBlocks: 1
; NumSGPRsForWavesPerEU: 31
; NumVGPRsForWavesPerEU: 16
; Occupancy: 16
; WaveLimiterHint : 0
; COMPUTE_PGM_RSRC2:SCRATCH_EN: 0
; COMPUTE_PGM_RSRC2:USER_SGPR: 15
; COMPUTE_PGM_RSRC2:TRAP_HANDLER: 0
; COMPUTE_PGM_RSRC2:TGID_X_EN: 1
; COMPUTE_PGM_RSRC2:TGID_Y_EN: 0
; COMPUTE_PGM_RSRC2:TGID_Z_EN: 0
; COMPUTE_PGM_RSRC2:TIDIG_COMP_CNT: 0
	.section	.text._ZN2at6native32elementwise_kernel_manual_unrollILi128ELi4EZNS0_15gpu_kernel_implIZZZNS0_12_GLOBAL__N_139_amp_non_finite_check_and_unscale_cuda_ERNS_6TensorES5_RKS4_ENKUlvE_clEvENKUlvE0_clEvEUlfE_EEvRNS_18TensorIteratorBaseERKT_EUlibE0_EEviT1_,"axG",@progbits,_ZN2at6native32elementwise_kernel_manual_unrollILi128ELi4EZNS0_15gpu_kernel_implIZZZNS0_12_GLOBAL__N_139_amp_non_finite_check_and_unscale_cuda_ERNS_6TensorES5_RKS4_ENKUlvE_clEvENKUlvE0_clEvEUlfE_EEvRNS_18TensorIteratorBaseERKT_EUlibE0_EEviT1_,comdat
	.globl	_ZN2at6native32elementwise_kernel_manual_unrollILi128ELi4EZNS0_15gpu_kernel_implIZZZNS0_12_GLOBAL__N_139_amp_non_finite_check_and_unscale_cuda_ERNS_6TensorES5_RKS4_ENKUlvE_clEvENKUlvE0_clEvEUlfE_EEvRNS_18TensorIteratorBaseERKT_EUlibE0_EEviT1_ ; -- Begin function _ZN2at6native32elementwise_kernel_manual_unrollILi128ELi4EZNS0_15gpu_kernel_implIZZZNS0_12_GLOBAL__N_139_amp_non_finite_check_and_unscale_cuda_ERNS_6TensorES5_RKS4_ENKUlvE_clEvENKUlvE0_clEvEUlfE_EEvRNS_18TensorIteratorBaseERKT_EUlibE0_EEviT1_
	.p2align	8
	.type	_ZN2at6native32elementwise_kernel_manual_unrollILi128ELi4EZNS0_15gpu_kernel_implIZZZNS0_12_GLOBAL__N_139_amp_non_finite_check_and_unscale_cuda_ERNS_6TensorES5_RKS4_ENKUlvE_clEvENKUlvE0_clEvEUlfE_EEvRNS_18TensorIteratorBaseERKT_EUlibE0_EEviT1_,@function
_ZN2at6native32elementwise_kernel_manual_unrollILi128ELi4EZNS0_15gpu_kernel_implIZZZNS0_12_GLOBAL__N_139_amp_non_finite_check_and_unscale_cuda_ERNS_6TensorES5_RKS4_ENKUlvE_clEvENKUlvE0_clEvEUlfE_EEvRNS_18TensorIteratorBaseERKT_EUlibE0_EEviT1_: ; @_ZN2at6native32elementwise_kernel_manual_unrollILi128ELi4EZNS0_15gpu_kernel_implIZZZNS0_12_GLOBAL__N_139_amp_non_finite_check_and_unscale_cuda_ERNS_6TensorES5_RKS4_ENKUlvE_clEvENKUlvE0_clEvEUlfE_EEvRNS_18TensorIteratorBaseERKT_EUlibE0_EEviT1_
; %bb.0:
	s_clause 0x1
	s_load_b32 s28, s[0:1], 0x8
	s_load_b32 s36, s[0:1], 0x0
	v_lshl_or_b32 v5, s15, 9, v0
	s_or_b32 s20, s0, 8
	s_mov_b32 s3, -1
	s_mov_b32 s30, 0
	s_mov_b32 s21, s1
	v_or_b32_e32 v8, 0x180, v5
	s_mov_b32 s12, 0
	s_mov_b32 s2, exec_lo
	s_waitcnt lgkmcnt(0)
	s_add_i32 s29, s28, -1
	s_delay_alu instid0(SALU_CYCLE_1)
	s_cmp_gt_u32 s29, 1
	s_cselect_b32 s31, -1, 0
	v_cmpx_le_i32_e64 s36, v8
	s_xor_b32 s33, exec_lo, s2
	s_cbranch_execz .LBB16_1084
; %bb.1:
	s_clause 0x4
	s_load_b32 s34, s[20:21], 0x168
	s_load_b128 s[16:19], s[20:21], 0x4
	s_load_b64 s[22:23], s[20:21], 0x14
	s_load_b128 s[12:15], s[20:21], 0xc4
	s_load_b256 s[4:11], s[20:21], 0x148
	s_cmp_lg_u32 s28, 0
	s_mov_b32 s42, 0
	s_cselect_b32 s38, -1, 0
	s_add_u32 s24, s20, 0xc4
	s_addc_u32 s25, s21, 0
	s_min_u32 s37, s29, 15
	s_cmp_gt_u32 s28, 1
	s_mov_b32 s40, 0
	s_cselect_b32 s35, -1, 0
	s_mov_b32 s39, 0
	s_mov_b32 s41, exec_lo
	s_waitcnt lgkmcnt(0)
	v_lshrrev_b16 v4, 8, s34
	v_cmpx_gt_i32_e64 s36, v5
	s_cbranch_execz .LBB16_265
; %bb.2:
	s_and_not1_b32 vcc_lo, exec_lo, s31
	s_cbranch_vccnz .LBB16_7
; %bb.3:
	v_dual_mov_b32 v0, 0 :: v_dual_mov_b32 v1, 0
	s_and_not1_b32 vcc_lo, exec_lo, s38
	s_cbranch_vccnz .LBB16_12
; %bb.4:
	v_mov_b32_e32 v0, 0
	s_add_i32 s43, s37, 1
	s_cmp_eq_u32 s29, 2
	s_cbranch_scc1 .LBB16_8
; %bb.5:
	v_dual_mov_b32 v1, 0 :: v_dual_mov_b32 v0, 0
	v_mov_b32_e32 v2, v5
	s_and_b32 s40, s43, 28
	s_mov_b32 s44, 0
	s_mov_b64 s[2:3], s[24:25]
	s_mov_b64 s[26:27], s[20:21]
.LBB16_6:                               ; =>This Inner Loop Header: Depth=1
	s_clause 0x1
	s_load_b256 s[48:55], s[26:27], 0x4
	s_load_b128 s[64:67], s[26:27], 0x24
	s_load_b256 s[56:63], s[2:3], 0x0
	s_add_u32 s26, s26, 48
	s_addc_u32 s27, s27, 0
	s_add_i32 s44, s44, 4
	s_add_u32 s2, s2, 32
	s_addc_u32 s3, s3, 0
	s_cmp_lg_u32 s40, s44
	s_waitcnt lgkmcnt(0)
	v_mul_hi_u32 v3, s49, v2
	s_delay_alu instid0(VALU_DEP_1) | instskip(NEXT) | instid1(VALU_DEP_1)
	v_add_nc_u32_e32 v3, v2, v3
	v_lshrrev_b32_e32 v3, s50, v3
	s_delay_alu instid0(VALU_DEP_1) | instskip(SKIP_1) | instid1(VALU_DEP_2)
	v_mul_hi_u32 v6, s52, v3
	v_mul_lo_u32 v8, v3, s48
	v_add_nc_u32_e32 v6, v3, v6
	s_delay_alu instid0(VALU_DEP_2) | instskip(NEXT) | instid1(VALU_DEP_2)
	v_sub_nc_u32_e32 v2, v2, v8
	v_lshrrev_b32_e32 v6, s53, v6
	s_delay_alu instid0(VALU_DEP_2) | instskip(SKIP_1) | instid1(VALU_DEP_3)
	v_mul_lo_u32 v8, v2, s56
	v_mul_lo_u32 v10, v2, s57
	v_mul_hi_u32 v7, s55, v6
	s_delay_alu instid0(VALU_DEP_1) | instskip(NEXT) | instid1(VALU_DEP_1)
	v_add_nc_u32_e32 v7, v6, v7
	v_lshrrev_b32_e32 v7, s64, v7
	s_delay_alu instid0(VALU_DEP_1) | instskip(SKIP_1) | instid1(VALU_DEP_2)
	v_mul_hi_u32 v9, s66, v7
	v_mul_lo_u32 v11, v7, s54
	v_add_nc_u32_e32 v2, v7, v9
	v_mul_lo_u32 v9, v6, s51
	s_delay_alu instid0(VALU_DEP_3) | instskip(NEXT) | instid1(VALU_DEP_3)
	v_sub_nc_u32_e32 v6, v6, v11
	v_lshrrev_b32_e32 v2, s67, v2
	s_delay_alu instid0(VALU_DEP_2) | instskip(SKIP_2) | instid1(VALU_DEP_4)
	v_mul_lo_u32 v11, v6, s60
	v_mul_lo_u32 v6, v6, s61
	v_sub_nc_u32_e32 v3, v3, v9
	v_mul_lo_u32 v12, v2, s65
	s_delay_alu instid0(VALU_DEP_2) | instskip(SKIP_1) | instid1(VALU_DEP_3)
	v_mul_lo_u32 v9, v3, s58
	v_mul_lo_u32 v3, v3, s59
	v_sub_nc_u32_e32 v7, v7, v12
	s_delay_alu instid0(VALU_DEP_3) | instskip(NEXT) | instid1(VALU_DEP_2)
	v_add3_u32 v0, v8, v0, v9
	v_mul_lo_u32 v12, v7, s62
	v_mul_lo_u32 v7, v7, s63
	v_add3_u32 v1, v10, v1, v3
	s_delay_alu instid0(VALU_DEP_3) | instskip(NEXT) | instid1(VALU_DEP_2)
	v_add3_u32 v0, v11, v0, v12
	v_add3_u32 v1, v6, v1, v7
	s_cbranch_scc1 .LBB16_6
	s_branch .LBB16_9
.LBB16_7:
	s_mov_b32 s39, -1
                                        ; implicit-def: $vgpr0
                                        ; implicit-def: $vgpr1
	s_branch .LBB16_12
.LBB16_8:
	v_dual_mov_b32 v2, v5 :: v_dual_mov_b32 v1, 0
.LBB16_9:
	s_and_b32 s43, s43, 3
	s_delay_alu instid0(SALU_CYCLE_1)
	s_cmp_eq_u32 s43, 0
	s_cbranch_scc1 .LBB16_12
; %bb.10:
	s_lshl_b32 s2, s40, 3
	s_mul_i32 s26, s40, 12
	s_add_u32 s2, s2, s20
	s_addc_u32 s3, s21, 0
	s_add_u32 s2, s2, 0xc4
	s_addc_u32 s3, s3, 0
	;; [unrolled: 2-line block ×3, first 2 shown]
	.p2align	6
.LBB16_11:                              ; =>This Inner Loop Header: Depth=1
	s_clause 0x1
	s_load_b64 s[44:45], s[26:27], 0x4
	s_load_b32 s40, s[26:27], 0xc
	s_load_b64 s[46:47], s[2:3], 0x0
	s_add_u32 s26, s26, 12
	s_addc_u32 s27, s27, 0
	s_add_u32 s2, s2, 8
	s_addc_u32 s3, s3, 0
	s_add_i32 s43, s43, -1
	s_delay_alu instid0(SALU_CYCLE_1) | instskip(SKIP_2) | instid1(VALU_DEP_1)
	s_cmp_lg_u32 s43, 0
	s_waitcnt lgkmcnt(0)
	v_mul_hi_u32 v3, s45, v2
	v_add_nc_u32_e32 v3, v2, v3
	s_delay_alu instid0(VALU_DEP_1) | instskip(NEXT) | instid1(VALU_DEP_1)
	v_lshrrev_b32_e32 v3, s40, v3
	v_mul_lo_u32 v6, v3, s44
	s_delay_alu instid0(VALU_DEP_1) | instskip(NEXT) | instid1(VALU_DEP_1)
	v_sub_nc_u32_e32 v2, v2, v6
	v_mad_u64_u32 v[6:7], null, v2, s46, v[0:1]
	v_mad_u64_u32 v[7:8], null, v2, s47, v[1:2]
	v_mov_b32_e32 v2, v3
	s_delay_alu instid0(VALU_DEP_2)
	v_dual_mov_b32 v0, v6 :: v_dual_mov_b32 v1, v7
	s_cbranch_scc1 .LBB16_11
.LBB16_12:
	s_and_not1_b32 vcc_lo, exec_lo, s39
	s_cbranch_vccnz .LBB16_15
; %bb.13:
	v_mul_hi_u32 v0, s17, v5
	s_and_not1_b32 vcc_lo, exec_lo, s35
	s_delay_alu instid0(VALU_DEP_1) | instskip(NEXT) | instid1(VALU_DEP_1)
	v_add_nc_u32_e32 v0, v5, v0
	v_lshrrev_b32_e32 v2, s18, v0
	s_delay_alu instid0(VALU_DEP_1) | instskip(NEXT) | instid1(VALU_DEP_1)
	v_mul_lo_u32 v0, v2, s16
	v_sub_nc_u32_e32 v1, v5, v0
	s_delay_alu instid0(VALU_DEP_1)
	v_mul_lo_u32 v0, v1, s12
	v_mul_lo_u32 v1, v1, s13
	s_cbranch_vccnz .LBB16_15
; %bb.14:
	v_mul_hi_u32 v3, s22, v2
	s_delay_alu instid0(VALU_DEP_1) | instskip(NEXT) | instid1(VALU_DEP_1)
	v_add_nc_u32_e32 v3, v2, v3
	v_lshrrev_b32_e32 v3, s23, v3
	s_delay_alu instid0(VALU_DEP_1) | instskip(NEXT) | instid1(VALU_DEP_1)
	v_mul_lo_u32 v3, v3, s19
	v_sub_nc_u32_e32 v8, v2, v3
	s_delay_alu instid0(VALU_DEP_1) | instskip(NEXT) | instid1(VALU_DEP_1)
	v_mad_u64_u32 v[2:3], null, v8, s14, v[0:1]
	v_mad_u64_u32 v[6:7], null, v8, s15, v[1:2]
	v_mov_b32_e32 v0, v2
	s_delay_alu instid0(VALU_DEP_2)
	v_mov_b32_e32 v1, v6
.LBB16_15:
	v_cmp_gt_i16_e32 vcc_lo, 11, v4
	s_delay_alu instid0(VALU_DEP_2) | instskip(NEXT) | instid1(VALU_DEP_1)
	v_add_co_u32 v1, s2, s6, v1
	v_add_co_ci_u32_e64 v2, null, s7, 0, s2
	s_mov_b32 s3, 0
	s_cbranch_vccnz .LBB16_22
; %bb.16:
	v_cmp_lt_i16_e32 vcc_lo, 25, v4
	s_cbranch_vccz .LBB16_143
; %bb.17:
	v_cmp_lt_i16_e32 vcc_lo, 28, v4
	s_cbranch_vccz .LBB16_144
	;; [unrolled: 3-line block ×4, first 2 shown]
; %bb.20:
	v_cmp_eq_u16_e32 vcc_lo, 46, v4
	s_mov_b32 s26, 0
	s_cbranch_vccz .LBB16_147
; %bb.21:
	global_load_b32 v3, v[1:2], off
	s_mov_b32 s2, -1
	s_waitcnt vmcnt(0)
	v_lshlrev_b32_e32 v3, 16, v3
	s_branch .LBB16_149
.LBB16_22:
	s_mov_b32 s2, 0
                                        ; implicit-def: $vgpr3
	s_cbranch_execnz .LBB16_215
.LBB16_23:
	s_and_not1_b32 vcc_lo, exec_lo, s2
	s_cbranch_vccnz .LBB16_262
.LBB16_24:
	s_mov_b32 s2, exec_lo
	s_waitcnt vmcnt(0)
	s_delay_alu instid0(VALU_DEP_1)
	v_cmpx_nlg_f32_e64 0x7f800000, |v3|
	s_cbranch_execz .LBB16_26
; %bb.25:
	v_dual_mov_b32 v1, 0 :: v_dual_mov_b32 v2, 1.0
	global_store_b32 v1, v2, s[8:9]
.LBB16_26:
	s_or_b32 exec_lo, exec_lo, s2
	v_mov_b32_e32 v1, 0
	v_and_b32_e64 v6, 0xff, s34
	v_add_co_u32 v0, s2, s4, v0
	s_mov_b32 s26, 0
	global_load_b32 v2, v1, s[10:11]
	v_add_co_ci_u32_e64 v1, null, s5, 0, s2
	v_cmp_gt_i16_e32 vcc_lo, 11, v6
	s_mov_b32 s27, -1
	s_and_b32 vcc_lo, exec_lo, vcc_lo
	s_waitcnt vmcnt(0)
	v_mul_f32_e32 v7, v3, v2
	v_cmp_eq_f32_e64 s2, 1.0, v2
	s_delay_alu instid0(VALU_DEP_1)
	v_cndmask_b32_e64 v2, v7, v3, s2
	s_mov_b32 s2, 0
	s_cbranch_vccnz .LBB16_103
; %bb.27:
	v_cmp_lt_i16_e32 vcc_lo, 25, v6
	s_cbranch_vccz .LBB16_60
; %bb.28:
	v_cmp_lt_i16_e32 vcc_lo, 28, v6
	s_cbranch_vccz .LBB16_43
	;; [unrolled: 3-line block ×4, first 2 shown]
; %bb.31:
	v_cmp_eq_u16_e32 vcc_lo, 46, v6
	s_mov_b32 s27, 0
	s_mov_b32 s26, -1
	s_cbranch_vccz .LBB16_33
; %bb.32:
	v_bfe_u32 v3, v2, 16, 1
	v_cmp_o_f32_e32 vcc_lo, v2, v2
	s_mov_b32 s2, -1
	s_mov_b32 s26, 0
	s_delay_alu instid0(VALU_DEP_2) | instskip(NEXT) | instid1(VALU_DEP_1)
	v_add3_u32 v3, v2, v3, 0x7fff
	v_lshrrev_b32_e32 v3, 16, v3
	s_delay_alu instid0(VALU_DEP_1)
	v_cndmask_b32_e32 v3, 0x7fc0, v3, vcc_lo
	global_store_b32 v[0:1], v3, off
.LBB16_33:
	s_and_b32 vcc_lo, exec_lo, s27
	s_cbranch_vccz .LBB16_38
; %bb.34:
	v_cmp_eq_u16_e32 vcc_lo, 44, v6
	s_mov_b32 s26, -1
	s_cbranch_vccz .LBB16_38
; %bb.35:
	v_bfe_u32 v7, v2, 23, 8
	v_mov_b32_e32 v3, 0xff
	s_mov_b32 s26, exec_lo
	s_delay_alu instid0(VALU_DEP_2)
	v_cmpx_ne_u32_e32 0xff, v7
; %bb.36:
	v_and_b32_e32 v3, 0x400000, v2
	v_and_or_b32 v7, 0x3fffff, v2, v7
	s_delay_alu instid0(VALU_DEP_2) | instskip(NEXT) | instid1(VALU_DEP_2)
	v_cmp_ne_u32_e32 vcc_lo, 0, v3
	v_cmp_ne_u32_e64 s2, 0, v7
	v_lshrrev_b32_e32 v3, 23, v2
	s_delay_alu instid0(VALU_DEP_2) | instskip(NEXT) | instid1(SALU_CYCLE_1)
	s_and_b32 s2, vcc_lo, s2
	v_cndmask_b32_e64 v7, 0, 1, s2
	s_delay_alu instid0(VALU_DEP_1)
	v_add_nc_u32_e32 v3, v3, v7
; %bb.37:
	s_or_b32 exec_lo, exec_lo, s26
	s_mov_b32 s2, -1
	s_mov_b32 s26, 0
	global_store_b8 v[0:1], v3, off
.LBB16_38:
	s_mov_b32 s27, 0
.LBB16_39:
	s_delay_alu instid0(SALU_CYCLE_1)
	s_and_b32 vcc_lo, exec_lo, s27
	s_cbranch_vccz .LBB16_42
; %bb.40:
	v_cmp_eq_u16_e32 vcc_lo, 29, v6
	s_mov_b32 s26, -1
	s_cbranch_vccz .LBB16_42
; %bb.41:
	v_trunc_f32_e32 v3, v2
	s_mov_b32 s2, -1
	s_mov_b32 s26, 0
	s_delay_alu instid0(VALU_DEP_1) | instskip(NEXT) | instid1(VALU_DEP_1)
	v_mul_f32_e32 v7, 0x2f800000, v3
	v_floor_f32_e32 v7, v7
	s_delay_alu instid0(VALU_DEP_1) | instskip(SKIP_1) | instid1(VALU_DEP_2)
	v_fmamk_f32 v3, v7, 0xcf800000, v3
	v_cvt_u32_f32_e32 v8, v7
	v_cvt_u32_f32_e32 v7, v3
	global_store_b64 v[0:1], v[7:8], off
.LBB16_42:
	s_mov_b32 s27, 0
.LBB16_43:
	s_delay_alu instid0(SALU_CYCLE_1)
	s_and_b32 vcc_lo, exec_lo, s27
	s_cbranch_vccz .LBB16_59
; %bb.44:
	v_cmp_gt_i16_e32 vcc_lo, 27, v6
	s_mov_b32 s2, -1
	s_cbranch_vccnz .LBB16_50
; %bb.45:
	v_cmp_lt_i16_e32 vcc_lo, 27, v6
	s_cbranch_vccz .LBB16_47
; %bb.46:
	v_cvt_u32_f32_e32 v3, v2
	s_mov_b32 s2, 0
	global_store_b32 v[0:1], v3, off
.LBB16_47:
	s_and_not1_b32 vcc_lo, exec_lo, s2
	s_cbranch_vccnz .LBB16_49
; %bb.48:
	v_cvt_u32_f32_e32 v3, v2
	global_store_b16 v[0:1], v3, off
.LBB16_49:
	s_mov_b32 s2, 0
.LBB16_50:
	s_delay_alu instid0(SALU_CYCLE_1)
	s_and_not1_b32 vcc_lo, exec_lo, s2
	s_cbranch_vccnz .LBB16_58
; %bb.51:
	v_and_b32_e32 v3, 0x7fffffff, v2
	v_mov_b32_e32 v7, 0x80
	s_mov_b32 s2, exec_lo
	s_delay_alu instid0(VALU_DEP_2)
	v_cmpx_gt_u32_e32 0x43800000, v3
	s_cbranch_execz .LBB16_57
; %bb.52:
	v_cmp_lt_u32_e32 vcc_lo, 0x3bffffff, v3
	s_mov_b32 s27, 0
                                        ; implicit-def: $vgpr3
	s_and_saveexec_b32 s39, vcc_lo
	s_delay_alu instid0(SALU_CYCLE_1)
	s_xor_b32 s39, exec_lo, s39
	s_cbranch_execz .LBB16_152
; %bb.53:
	v_bfe_u32 v3, v2, 20, 1
	s_mov_b32 s27, exec_lo
	s_delay_alu instid0(VALU_DEP_1) | instskip(NEXT) | instid1(VALU_DEP_1)
	v_add3_u32 v3, v2, v3, 0x487ffff
	v_lshrrev_b32_e32 v3, 20, v3
	s_or_saveexec_b32 s39, s39
                                        ; implicit-def: $sgpr40
	s_delay_alu instid0(SALU_CYCLE_1)
	s_xor_b32 exec_lo, exec_lo, s39
	s_cbranch_execnz .LBB16_153
.LBB16_54:
	s_or_b32 exec_lo, exec_lo, s39
	v_mov_b32_e32 v7, s40
	s_and_saveexec_b32 s39, s27
.LBB16_55:
	v_lshrrev_b32_e32 v7, 24, v2
	s_delay_alu instid0(VALU_DEP_1)
	v_and_or_b32 v7, 0x80, v7, v3
.LBB16_56:
	s_or_b32 exec_lo, exec_lo, s39
.LBB16_57:
	s_delay_alu instid0(SALU_CYCLE_1)
	s_or_b32 exec_lo, exec_lo, s2
	global_store_b8 v[0:1], v7, off
.LBB16_58:
	s_mov_b32 s2, -1
.LBB16_59:
	s_mov_b32 s27, 0
.LBB16_60:
	s_delay_alu instid0(SALU_CYCLE_1)
	s_and_b32 vcc_lo, exec_lo, s27
	s_cbranch_vccz .LBB16_101
; %bb.61:
	v_cmp_lt_i16_e32 vcc_lo, 22, v6
	s_mov_b32 s27, -1
	s_cbranch_vccz .LBB16_93
; %bb.62:
	v_cmp_gt_i16_e32 vcc_lo, 24, v6
	s_mov_b32 s2, -1
	s_cbranch_vccnz .LBB16_82
; %bb.63:
	v_cmp_lt_i16_e32 vcc_lo, 24, v6
	s_cbranch_vccz .LBB16_71
; %bb.64:
	v_and_b32_e32 v3, 0x7fffffff, v2
	v_mov_b32_e32 v7, 0x80
	s_mov_b32 s2, exec_lo
	s_delay_alu instid0(VALU_DEP_2)
	v_cmpx_gt_u32_e32 0x47800000, v3
	s_cbranch_execz .LBB16_70
; %bb.65:
	v_cmp_lt_u32_e32 vcc_lo, 0x37ffffff, v3
	s_mov_b32 s27, 0
                                        ; implicit-def: $vgpr3
	s_and_saveexec_b32 s39, vcc_lo
	s_delay_alu instid0(SALU_CYCLE_1)
	s_xor_b32 s39, exec_lo, s39
	s_cbranch_execz .LBB16_345
; %bb.66:
	v_bfe_u32 v3, v2, 21, 1
	s_mov_b32 s27, exec_lo
	s_delay_alu instid0(VALU_DEP_1) | instskip(NEXT) | instid1(VALU_DEP_1)
	v_add3_u32 v3, v2, v3, 0x88fffff
	v_lshrrev_b32_e32 v3, 21, v3
	s_or_saveexec_b32 s39, s39
                                        ; implicit-def: $sgpr40
	s_delay_alu instid0(SALU_CYCLE_1)
	s_xor_b32 exec_lo, exec_lo, s39
	s_cbranch_execnz .LBB16_346
.LBB16_67:
	s_or_b32 exec_lo, exec_lo, s39
	v_mov_b32_e32 v7, s40
	s_and_saveexec_b32 s39, s27
.LBB16_68:
	v_lshrrev_b32_e32 v7, 24, v2
	s_delay_alu instid0(VALU_DEP_1)
	v_and_or_b32 v7, 0x80, v7, v3
.LBB16_69:
	s_or_b32 exec_lo, exec_lo, s39
.LBB16_70:
	s_delay_alu instid0(SALU_CYCLE_1)
	s_or_b32 exec_lo, exec_lo, s2
	s_mov_b32 s2, 0
	global_store_b8 v[0:1], v7, off
.LBB16_71:
	s_and_b32 vcc_lo, exec_lo, s2
	s_cbranch_vccz .LBB16_81
; %bb.72:
	v_and_b32_e32 v7, 0x7fffffff, v2
	s_mov_b32 s2, exec_lo
                                        ; implicit-def: $vgpr3
	s_delay_alu instid0(VALU_DEP_1)
	v_cmpx_gt_u32_e32 0x43f00000, v7
	s_xor_b32 s2, exec_lo, s2
	s_cbranch_execz .LBB16_78
; %bb.73:
	s_mov_b32 s27, exec_lo
                                        ; implicit-def: $vgpr3
	v_cmpx_lt_u32_e32 0x3c7fffff, v7
	s_xor_b32 s27, exec_lo, s27
; %bb.74:
	v_bfe_u32 v3, v2, 20, 1
	s_delay_alu instid0(VALU_DEP_1) | instskip(NEXT) | instid1(VALU_DEP_1)
	v_add3_u32 v3, v2, v3, 0x407ffff
	v_and_b32_e32 v7, 0xff00000, v3
	v_lshrrev_b32_e32 v3, 20, v3
	s_delay_alu instid0(VALU_DEP_2) | instskip(NEXT) | instid1(VALU_DEP_2)
	v_cmp_ne_u32_e32 vcc_lo, 0x7f00000, v7
	v_cndmask_b32_e32 v3, 0x7e, v3, vcc_lo
; %bb.75:
	s_and_not1_saveexec_b32 s27, s27
; %bb.76:
	v_add_f32_e64 v3, 0x46800000, |v2|
; %bb.77:
	s_or_b32 exec_lo, exec_lo, s27
                                        ; implicit-def: $vgpr7
.LBB16_78:
	s_and_not1_saveexec_b32 s2, s2
; %bb.79:
	v_mov_b32_e32 v3, 0x7f
	v_cmp_lt_u32_e32 vcc_lo, 0x7f800000, v7
	s_delay_alu instid0(VALU_DEP_2)
	v_cndmask_b32_e32 v3, 0x7e, v3, vcc_lo
; %bb.80:
	s_or_b32 exec_lo, exec_lo, s2
	v_lshrrev_b32_e32 v7, 24, v2
	s_delay_alu instid0(VALU_DEP_1)
	v_and_or_b32 v3, 0x80, v7, v3
	global_store_b8 v[0:1], v3, off
.LBB16_81:
	s_mov_b32 s2, 0
.LBB16_82:
	s_delay_alu instid0(SALU_CYCLE_1)
	s_and_not1_b32 vcc_lo, exec_lo, s2
	s_cbranch_vccnz .LBB16_92
; %bb.83:
	v_and_b32_e32 v7, 0x7fffffff, v2
	s_mov_b32 s2, exec_lo
                                        ; implicit-def: $vgpr3
	s_delay_alu instid0(VALU_DEP_1)
	v_cmpx_gt_u32_e32 0x47800000, v7
	s_xor_b32 s2, exec_lo, s2
	s_cbranch_execz .LBB16_89
; %bb.84:
	s_mov_b32 s27, exec_lo
                                        ; implicit-def: $vgpr3
	v_cmpx_lt_u32_e32 0x387fffff, v7
	s_xor_b32 s27, exec_lo, s27
; %bb.85:
	v_bfe_u32 v3, v2, 21, 1
	s_delay_alu instid0(VALU_DEP_1) | instskip(NEXT) | instid1(VALU_DEP_1)
	v_add3_u32 v3, v2, v3, 0x80fffff
	v_lshrrev_b32_e32 v3, 21, v3
; %bb.86:
	s_and_not1_saveexec_b32 s27, s27
; %bb.87:
	v_add_f32_e64 v3, 0x43000000, |v2|
; %bb.88:
	s_or_b32 exec_lo, exec_lo, s27
                                        ; implicit-def: $vgpr7
.LBB16_89:
	s_and_not1_saveexec_b32 s2, s2
; %bb.90:
	v_mov_b32_e32 v3, 0x7f
	v_cmp_lt_u32_e32 vcc_lo, 0x7f800000, v7
	s_delay_alu instid0(VALU_DEP_2)
	v_cndmask_b32_e32 v3, 0x7c, v3, vcc_lo
; %bb.91:
	s_or_b32 exec_lo, exec_lo, s2
	v_lshrrev_b32_e32 v7, 24, v2
	s_delay_alu instid0(VALU_DEP_1)
	v_and_or_b32 v3, 0x80, v7, v3
	global_store_b8 v[0:1], v3, off
.LBB16_92:
	s_mov_b32 s27, 0
	s_mov_b32 s2, -1
.LBB16_93:
	s_and_not1_b32 vcc_lo, exec_lo, s27
	s_cbranch_vccnz .LBB16_101
; %bb.94:
	v_cmp_lt_i16_e32 vcc_lo, 14, v6
	s_mov_b32 s27, -1
	s_cbranch_vccz .LBB16_98
; %bb.95:
	v_cmp_eq_u16_e32 vcc_lo, 15, v6
	s_mov_b32 s26, -1
	s_cbranch_vccz .LBB16_97
; %bb.96:
	v_bfe_u32 v3, v2, 16, 1
	v_cmp_o_f32_e32 vcc_lo, v2, v2
	s_mov_b32 s2, -1
	s_mov_b32 s26, 0
	s_delay_alu instid0(VALU_DEP_2) | instskip(NEXT) | instid1(VALU_DEP_1)
	v_add3_u32 v3, v2, v3, 0x7fff
	v_lshrrev_b32_e32 v3, 16, v3
	s_delay_alu instid0(VALU_DEP_1)
	v_cndmask_b32_e32 v3, 0x7fc0, v3, vcc_lo
	global_store_b16 v[0:1], v3, off
.LBB16_97:
	s_mov_b32 s27, 0
.LBB16_98:
	s_delay_alu instid0(SALU_CYCLE_1)
	s_and_b32 vcc_lo, exec_lo, s27
	s_cbranch_vccz .LBB16_101
; %bb.99:
	v_cmp_eq_u16_e32 vcc_lo, 11, v6
	s_mov_b32 s26, -1
	s_cbranch_vccz .LBB16_101
; %bb.100:
	v_cmp_neq_f32_e32 vcc_lo, 0, v2
	s_mov_b32 s26, 0
	s_mov_b32 s2, -1
	v_cndmask_b32_e64 v3, 0, 1, vcc_lo
	global_store_b8 v[0:1], v3, off
.LBB16_101:
.LBB16_102:
	s_and_not1_b32 vcc_lo, exec_lo, s2
	s_cbranch_vccz .LBB16_142
	s_branch .LBB16_263
.LBB16_103:
	s_and_b32 vcc_lo, exec_lo, s27
	s_cbranch_vccz .LBB16_102
; %bb.104:
	v_cmp_gt_i16_e32 vcc_lo, 5, v6
	s_mov_b32 s2, -1
	s_cbranch_vccnz .LBB16_125
; %bb.105:
	v_cmp_gt_i16_e32 vcc_lo, 8, v6
	s_cbranch_vccnz .LBB16_115
; %bb.106:
	v_cmp_gt_i16_e32 vcc_lo, 9, v6
	s_cbranch_vccnz .LBB16_112
; %bb.107:
	v_cmp_lt_i16_e32 vcc_lo, 9, v6
	s_cbranch_vccz .LBB16_109
; %bb.108:
	v_cvt_f64_f32_e32 v[7:8], v2
	v_mov_b32_e32 v9, 0
	s_mov_b32 s2, 0
	s_delay_alu instid0(VALU_DEP_1)
	v_mov_b32_e32 v10, v9
	global_store_b128 v[0:1], v[7:10], off
.LBB16_109:
	s_and_not1_b32 vcc_lo, exec_lo, s2
	s_cbranch_vccnz .LBB16_111
; %bb.110:
	v_mov_b32_e32 v3, 0
	global_store_b64 v[0:1], v[2:3], off
.LBB16_111:
	s_mov_b32 s2, 0
.LBB16_112:
	s_delay_alu instid0(SALU_CYCLE_1)
	s_and_not1_b32 vcc_lo, exec_lo, s2
	s_cbranch_vccnz .LBB16_114
; %bb.113:
	v_cvt_f16_f32_e32 v3, v2
	s_delay_alu instid0(VALU_DEP_1)
	v_and_b32_e32 v3, 0xffff, v3
	global_store_b32 v[0:1], v3, off
.LBB16_114:
	s_mov_b32 s2, 0
.LBB16_115:
	s_delay_alu instid0(SALU_CYCLE_1)
	s_and_not1_b32 vcc_lo, exec_lo, s2
	s_cbranch_vccnz .LBB16_124
; %bb.116:
	v_cmp_gt_i16_e32 vcc_lo, 6, v6
	s_mov_b32 s2, -1
	s_cbranch_vccnz .LBB16_122
; %bb.117:
	v_cmp_lt_i16_e32 vcc_lo, 6, v6
	s_cbranch_vccz .LBB16_119
; %bb.118:
	v_cvt_f64_f32_e32 v[7:8], v2
	s_mov_b32 s2, 0
	global_store_b64 v[0:1], v[7:8], off
.LBB16_119:
	s_and_not1_b32 vcc_lo, exec_lo, s2
	s_cbranch_vccnz .LBB16_121
; %bb.120:
	global_store_b32 v[0:1], v2, off
.LBB16_121:
	s_mov_b32 s2, 0
.LBB16_122:
	s_delay_alu instid0(SALU_CYCLE_1)
	s_and_not1_b32 vcc_lo, exec_lo, s2
	s_cbranch_vccnz .LBB16_124
; %bb.123:
	v_cvt_f16_f32_e32 v3, v2
	global_store_b16 v[0:1], v3, off
.LBB16_124:
	s_mov_b32 s2, 0
.LBB16_125:
	s_delay_alu instid0(SALU_CYCLE_1)
	s_and_not1_b32 vcc_lo, exec_lo, s2
	s_cbranch_vccnz .LBB16_141
; %bb.126:
	v_cmp_gt_i16_e32 vcc_lo, 2, v6
	s_mov_b32 s2, -1
	s_cbranch_vccnz .LBB16_136
; %bb.127:
	v_cmp_gt_i16_e32 vcc_lo, 3, v6
	s_cbranch_vccnz .LBB16_133
; %bb.128:
	v_cmp_lt_i16_e32 vcc_lo, 3, v6
	s_cbranch_vccz .LBB16_130
; %bb.129:
	v_trunc_f32_e32 v3, v2
	s_mov_b32 s2, 0
	s_delay_alu instid0(VALU_DEP_1) | instskip(NEXT) | instid1(VALU_DEP_1)
	v_mul_f32_e64 v7, 0x2f800000, |v3|
	v_floor_f32_e32 v7, v7
	s_delay_alu instid0(VALU_DEP_1) | instskip(SKIP_2) | instid1(VALU_DEP_3)
	v_fma_f32 v8, 0xcf800000, v7, |v3|
	v_ashrrev_i32_e32 v3, 31, v3
	v_cvt_u32_f32_e32 v7, v7
	v_cvt_u32_f32_e32 v8, v8
	s_delay_alu instid0(VALU_DEP_2) | instskip(NEXT) | instid1(VALU_DEP_2)
	v_xor_b32_e32 v9, v7, v3
	v_xor_b32_e32 v8, v8, v3
	s_delay_alu instid0(VALU_DEP_1) | instskip(NEXT) | instid1(VALU_DEP_3)
	v_sub_co_u32 v7, vcc_lo, v8, v3
	v_sub_co_ci_u32_e32 v8, vcc_lo, v9, v3, vcc_lo
	global_store_b64 v[0:1], v[7:8], off
.LBB16_130:
	s_and_not1_b32 vcc_lo, exec_lo, s2
	s_cbranch_vccnz .LBB16_132
; %bb.131:
	v_cvt_i32_f32_e32 v3, v2
	global_store_b32 v[0:1], v3, off
.LBB16_132:
	s_mov_b32 s2, 0
.LBB16_133:
	s_delay_alu instid0(SALU_CYCLE_1)
	s_and_not1_b32 vcc_lo, exec_lo, s2
	s_cbranch_vccnz .LBB16_135
; %bb.134:
	v_cvt_i32_f32_e32 v3, v2
	global_store_b16 v[0:1], v3, off
.LBB16_135:
	s_mov_b32 s2, 0
.LBB16_136:
	s_delay_alu instid0(SALU_CYCLE_1)
	s_and_not1_b32 vcc_lo, exec_lo, s2
	s_cbranch_vccnz .LBB16_141
; %bb.137:
	v_cmp_lt_i16_e32 vcc_lo, 0, v6
	s_mov_b32 s2, -1
	s_cbranch_vccz .LBB16_139
; %bb.138:
	v_cvt_i32_f32_e32 v3, v2
	s_mov_b32 s2, 0
	global_store_b8 v[0:1], v3, off
.LBB16_139:
	s_and_not1_b32 vcc_lo, exec_lo, s2
	s_cbranch_vccnz .LBB16_141
; %bb.140:
	v_trunc_f32_e32 v2, v2
	s_delay_alu instid0(VALU_DEP_1) | instskip(NEXT) | instid1(VALU_DEP_1)
	v_mul_f32_e64 v3, 0x2f800000, |v2|
	v_floor_f32_e32 v3, v3
	s_delay_alu instid0(VALU_DEP_1) | instskip(SKIP_1) | instid1(VALU_DEP_2)
	v_fma_f32 v3, 0xcf800000, v3, |v2|
	v_ashrrev_i32_e32 v2, 31, v2
	v_cvt_u32_f32_e32 v3, v3
	s_delay_alu instid0(VALU_DEP_1) | instskip(NEXT) | instid1(VALU_DEP_1)
	v_xor_b32_e32 v3, v3, v2
	v_sub_nc_u32_e32 v2, v3, v2
	global_store_b8 v[0:1], v2, off
.LBB16_141:
.LBB16_142:
	v_add_nc_u32_e32 v5, 0x80, v5
	s_mov_b32 s2, -1
	s_branch .LBB16_264
.LBB16_143:
	s_mov_b32 s2, 0
                                        ; implicit-def: $vgpr3
	s_cbranch_execnz .LBB16_180
	s_branch .LBB16_214
.LBB16_144:
	s_mov_b32 s26, -1
	s_mov_b32 s2, 0
                                        ; implicit-def: $vgpr3
	s_branch .LBB16_161
.LBB16_145:
	s_mov_b32 s26, -1
	s_mov_b32 s2, 0
                                        ; implicit-def: $vgpr3
	s_branch .LBB16_156
.LBB16_146:
	s_mov_b32 s26, -1
	s_branch .LBB16_148
.LBB16_147:
	s_mov_b32 s3, -1
.LBB16_148:
	s_mov_b32 s2, 0
                                        ; implicit-def: $vgpr3
.LBB16_149:
	s_and_b32 vcc_lo, exec_lo, s26
	s_cbranch_vccz .LBB16_155
; %bb.150:
	v_cmp_eq_u16_e32 vcc_lo, 44, v4
	s_cbranch_vccz .LBB16_154
; %bb.151:
	global_load_u8 v3, v[1:2], off
	s_mov_b32 s3, 0
	s_mov_b32 s2, -1
	s_waitcnt vmcnt(0)
	v_lshlrev_b32_e32 v6, 23, v3
	v_cmp_ne_u32_e32 vcc_lo, 0xff, v3
	s_delay_alu instid0(VALU_DEP_2) | instskip(SKIP_1) | instid1(VALU_DEP_2)
	v_cndmask_b32_e32 v6, 0x7f800001, v6, vcc_lo
	v_cmp_ne_u32_e32 vcc_lo, 0, v3
	v_cndmask_b32_e32 v3, 0x400000, v6, vcc_lo
	s_branch .LBB16_155
.LBB16_152:
	s_or_saveexec_b32 s39, s39
                                        ; implicit-def: $sgpr40
	s_delay_alu instid0(SALU_CYCLE_1)
	s_xor_b32 exec_lo, exec_lo, s39
	s_cbranch_execz .LBB16_54
.LBB16_153:
	v_add_f32_e64 v3, 0x46000000, |v2|
	s_and_not1_b32 s27, s27, exec_lo
	s_mov_b32 s40, 0
	s_delay_alu instid0(VALU_DEP_1) | instskip(NEXT) | instid1(VALU_DEP_1)
	v_and_b32_e32 v3, 0xff, v3
	v_cmp_ne_u32_e32 vcc_lo, 0, v3
	s_and_b32 s43, vcc_lo, exec_lo
	s_delay_alu instid0(SALU_CYCLE_1)
	s_or_b32 s27, s27, s43
	s_or_b32 exec_lo, exec_lo, s39
	v_mov_b32_e32 v7, s40
	s_and_saveexec_b32 s39, s27
	s_cbranch_execnz .LBB16_55
	s_branch .LBB16_56
.LBB16_154:
	s_mov_b32 s3, -1
                                        ; implicit-def: $vgpr3
.LBB16_155:
	s_mov_b32 s26, 0
.LBB16_156:
	s_delay_alu instid0(SALU_CYCLE_1)
	s_and_b32 vcc_lo, exec_lo, s26
	s_cbranch_vccz .LBB16_160
; %bb.157:
	v_cmp_eq_u16_e32 vcc_lo, 29, v4
	s_cbranch_vccz .LBB16_159
; %bb.158:
	global_load_b64 v[6:7], v[1:2], off
	s_mov_b32 s2, -1
	s_mov_b32 s3, 0
	s_mov_b32 s26, 0
	s_waitcnt vmcnt(0)
	v_clz_i32_u32_e32 v3, v7
	s_delay_alu instid0(VALU_DEP_1) | instskip(NEXT) | instid1(VALU_DEP_1)
	v_min_u32_e32 v3, 32, v3
	v_lshlrev_b64 v[6:7], v3, v[6:7]
	v_sub_nc_u32_e32 v3, 32, v3
	s_delay_alu instid0(VALU_DEP_2) | instskip(NEXT) | instid1(VALU_DEP_1)
	v_min_u32_e32 v6, 1, v6
	v_or_b32_e32 v6, v7, v6
	s_delay_alu instid0(VALU_DEP_1) | instskip(NEXT) | instid1(VALU_DEP_1)
	v_cvt_f32_u32_e32 v6, v6
	v_ldexp_f32 v3, v6, v3
	s_branch .LBB16_161
.LBB16_159:
	s_mov_b32 s3, -1
                                        ; implicit-def: $vgpr3
.LBB16_160:
	s_mov_b32 s26, 0
.LBB16_161:
	s_delay_alu instid0(SALU_CYCLE_1)
	s_and_b32 vcc_lo, exec_lo, s26
	s_cbranch_vccz .LBB16_179
; %bb.162:
	v_cmp_gt_i16_e32 vcc_lo, 27, v4
	s_cbranch_vccnz .LBB16_165
; %bb.163:
	v_cmp_lt_i16_e32 vcc_lo, 27, v4
	s_cbranch_vccz .LBB16_166
; %bb.164:
	global_load_b32 v3, v[1:2], off
	s_mov_b32 s2, 0
	s_waitcnt vmcnt(0)
	v_cvt_f32_u32_e32 v3, v3
	s_branch .LBB16_167
.LBB16_165:
	s_mov_b32 s2, -1
                                        ; implicit-def: $vgpr3
	s_branch .LBB16_170
.LBB16_166:
	s_mov_b32 s2, -1
                                        ; implicit-def: $vgpr3
.LBB16_167:
	s_delay_alu instid0(SALU_CYCLE_1)
	s_and_not1_b32 vcc_lo, exec_lo, s2
	s_cbranch_vccnz .LBB16_169
; %bb.168:
	global_load_u16 v3, v[1:2], off
	s_waitcnt vmcnt(0)
	v_cvt_f32_u32_e32 v3, v3
.LBB16_169:
	s_mov_b32 s2, 0
.LBB16_170:
	s_delay_alu instid0(SALU_CYCLE_1)
	s_and_not1_b32 vcc_lo, exec_lo, s2
	s_cbranch_vccnz .LBB16_178
; %bb.171:
	global_load_u8 v6, v[1:2], off
	s_mov_b32 s2, 0
	s_mov_b32 s27, exec_lo
                                        ; implicit-def: $sgpr26
	s_waitcnt vmcnt(0)
	v_cmpx_lt_i16_e32 0x7f, v6
	s_xor_b32 s27, exec_lo, s27
	s_cbranch_execz .LBB16_191
; %bb.172:
	s_mov_b32 s2, -1
	s_mov_b32 s39, exec_lo
                                        ; implicit-def: $sgpr26
	v_cmpx_eq_u16_e32 0x80, v6
; %bb.173:
	s_mov_b32 s26, 0x7f800001
	s_xor_b32 s2, exec_lo, -1
; %bb.174:
	s_or_b32 exec_lo, exec_lo, s39
	s_delay_alu instid0(SALU_CYCLE_1)
	s_and_b32 s2, s2, exec_lo
	s_or_saveexec_b32 s27, s27
	v_mov_b32_e32 v3, s26
	s_xor_b32 exec_lo, exec_lo, s27
	s_cbranch_execnz .LBB16_192
.LBB16_175:
	s_or_b32 exec_lo, exec_lo, s27
	s_and_saveexec_b32 s26, s2
	s_cbranch_execz .LBB16_177
.LBB16_176:
	v_and_b32_e32 v3, 0xffff, v6
	s_delay_alu instid0(VALU_DEP_1) | instskip(NEXT) | instid1(VALU_DEP_1)
	v_and_b32_e32 v7, 7, v3
	v_clz_i32_u32_e32 v8, v7
	s_delay_alu instid0(VALU_DEP_1) | instskip(NEXT) | instid1(VALU_DEP_1)
	v_min_u32_e32 v8, 32, v8
	v_subrev_nc_u32_e32 v9, 28, v8
	v_sub_nc_u32_e32 v8, 29, v8
	s_delay_alu instid0(VALU_DEP_2) | instskip(SKIP_1) | instid1(VALU_DEP_2)
	v_lshlrev_b32_e32 v9, v9, v3
	v_bfe_u32 v3, v3, 3, 4
	v_and_b32_e32 v9, 7, v9
	s_delay_alu instid0(VALU_DEP_2) | instskip(SKIP_1) | instid1(VALU_DEP_1)
	v_cmp_eq_u32_e32 vcc_lo, 0, v3
	v_dual_cndmask_b32 v3, v3, v8 :: v_dual_lshlrev_b32 v6, 24, v6
	v_dual_cndmask_b32 v7, v7, v9 :: v_dual_and_b32 v6, 0x80000000, v6
	s_delay_alu instid0(VALU_DEP_2) | instskip(NEXT) | instid1(VALU_DEP_2)
	v_lshl_add_u32 v3, v3, 23, 0x3b800000
	v_lshlrev_b32_e32 v7, 20, v7
	s_delay_alu instid0(VALU_DEP_1)
	v_or3_b32 v3, v6, v3, v7
.LBB16_177:
	s_or_b32 exec_lo, exec_lo, s26
.LBB16_178:
	s_mov_b32 s2, -1
.LBB16_179:
	s_branch .LBB16_214
.LBB16_180:
	v_cmp_lt_i16_e32 vcc_lo, 22, v4
	s_cbranch_vccz .LBB16_190
; %bb.181:
	v_cmp_gt_i16_e32 vcc_lo, 24, v4
	s_cbranch_vccnz .LBB16_193
; %bb.182:
	v_cmp_lt_i16_e32 vcc_lo, 24, v4
	s_cbranch_vccz .LBB16_194
; %bb.183:
	global_load_u8 v6, v[1:2], off
	s_mov_b32 s2, 0
	s_mov_b32 s27, exec_lo
                                        ; implicit-def: $sgpr26
	s_waitcnt vmcnt(0)
	v_cmpx_lt_i16_e32 0x7f, v6
	s_xor_b32 s27, exec_lo, s27
	s_cbranch_execz .LBB16_206
; %bb.184:
	s_mov_b32 s2, -1
	s_mov_b32 s39, exec_lo
                                        ; implicit-def: $sgpr26
	v_cmpx_eq_u16_e32 0x80, v6
; %bb.185:
	s_mov_b32 s26, 0x7f800001
	s_xor_b32 s2, exec_lo, -1
; %bb.186:
	s_or_b32 exec_lo, exec_lo, s39
	s_delay_alu instid0(SALU_CYCLE_1)
	s_and_b32 s2, s2, exec_lo
	s_or_saveexec_b32 s27, s27
	v_mov_b32_e32 v3, s26
	s_xor_b32 exec_lo, exec_lo, s27
	s_cbranch_execnz .LBB16_207
.LBB16_187:
	s_or_b32 exec_lo, exec_lo, s27
	s_and_saveexec_b32 s26, s2
	s_cbranch_execz .LBB16_189
.LBB16_188:
	v_and_b32_e32 v3, 0xffff, v6
	s_delay_alu instid0(VALU_DEP_1) | instskip(NEXT) | instid1(VALU_DEP_1)
	v_and_b32_e32 v7, 3, v3
	v_clz_i32_u32_e32 v8, v7
	s_delay_alu instid0(VALU_DEP_1) | instskip(NEXT) | instid1(VALU_DEP_1)
	v_min_u32_e32 v8, 32, v8
	v_subrev_nc_u32_e32 v9, 29, v8
	v_sub_nc_u32_e32 v8, 30, v8
	s_delay_alu instid0(VALU_DEP_2) | instskip(SKIP_1) | instid1(VALU_DEP_2)
	v_lshlrev_b32_e32 v9, v9, v3
	v_bfe_u32 v3, v3, 2, 5
	v_and_b32_e32 v9, 3, v9
	s_delay_alu instid0(VALU_DEP_2) | instskip(SKIP_1) | instid1(VALU_DEP_1)
	v_cmp_eq_u32_e32 vcc_lo, 0, v3
	v_dual_cndmask_b32 v3, v3, v8 :: v_dual_lshlrev_b32 v6, 24, v6
	v_dual_cndmask_b32 v7, v7, v9 :: v_dual_and_b32 v6, 0x80000000, v6
	s_delay_alu instid0(VALU_DEP_2) | instskip(NEXT) | instid1(VALU_DEP_2)
	v_lshl_add_u32 v3, v3, 23, 0x37800000
	v_lshlrev_b32_e32 v7, 21, v7
	s_delay_alu instid0(VALU_DEP_1)
	v_or3_b32 v3, v6, v3, v7
.LBB16_189:
	s_or_b32 exec_lo, exec_lo, s26
	s_mov_b32 s2, 0
	s_branch .LBB16_195
.LBB16_190:
	s_mov_b32 s26, -1
                                        ; implicit-def: $vgpr3
	s_branch .LBB16_201
.LBB16_191:
	s_or_saveexec_b32 s27, s27
	v_mov_b32_e32 v3, s26
	s_xor_b32 exec_lo, exec_lo, s27
	s_cbranch_execz .LBB16_175
.LBB16_192:
	v_cmp_ne_u16_e32 vcc_lo, 0, v6
	v_mov_b32_e32 v3, 0
	s_and_not1_b32 s2, s2, exec_lo
	s_and_b32 s26, vcc_lo, exec_lo
	s_delay_alu instid0(SALU_CYCLE_1)
	s_or_b32 s2, s2, s26
	s_or_b32 exec_lo, exec_lo, s27
	s_and_saveexec_b32 s26, s2
	s_cbranch_execnz .LBB16_176
	s_branch .LBB16_177
.LBB16_193:
	s_mov_b32 s2, -1
                                        ; implicit-def: $vgpr3
	s_branch .LBB16_198
.LBB16_194:
	s_mov_b32 s2, -1
                                        ; implicit-def: $vgpr3
.LBB16_195:
	s_delay_alu instid0(SALU_CYCLE_1)
	s_and_b32 vcc_lo, exec_lo, s2
	s_cbranch_vccz .LBB16_197
; %bb.196:
	global_load_u8 v3, v[1:2], off
	s_waitcnt vmcnt(0)
	v_lshlrev_b32_e32 v3, 24, v3
	s_delay_alu instid0(VALU_DEP_1) | instskip(NEXT) | instid1(VALU_DEP_1)
	v_and_b32_e32 v6, 0x7f000000, v3
	v_clz_i32_u32_e32 v7, v6
	v_cmp_ne_u32_e32 vcc_lo, 0, v6
	v_add_nc_u32_e32 v9, 0x1000000, v6
	s_delay_alu instid0(VALU_DEP_3) | instskip(NEXT) | instid1(VALU_DEP_1)
	v_min_u32_e32 v7, 32, v7
	v_sub_nc_u32_e64 v7, v7, 4 clamp
	s_delay_alu instid0(VALU_DEP_1) | instskip(SKIP_1) | instid1(VALU_DEP_2)
	v_lshlrev_b32_e32 v8, v7, v6
	v_lshlrev_b32_e32 v7, 23, v7
	v_lshrrev_b32_e32 v8, 4, v8
	s_delay_alu instid0(VALU_DEP_1) | instskip(SKIP_1) | instid1(VALU_DEP_2)
	v_sub_nc_u32_e32 v7, v8, v7
	v_ashrrev_i32_e32 v8, 8, v9
	v_add_nc_u32_e32 v7, 0x3c000000, v7
	s_delay_alu instid0(VALU_DEP_1) | instskip(NEXT) | instid1(VALU_DEP_1)
	v_and_or_b32 v7, 0x7f800000, v8, v7
	v_cndmask_b32_e32 v6, 0, v7, vcc_lo
	s_delay_alu instid0(VALU_DEP_1)
	v_and_or_b32 v3, 0x80000000, v3, v6
.LBB16_197:
	s_mov_b32 s2, 0
.LBB16_198:
	s_delay_alu instid0(SALU_CYCLE_1)
	s_and_not1_b32 vcc_lo, exec_lo, s2
	s_cbranch_vccnz .LBB16_200
; %bb.199:
	global_load_u8 v3, v[1:2], off
	s_waitcnt vmcnt(0)
	v_lshlrev_b32_e32 v6, 25, v3
	v_lshlrev_b16 v3, 8, v3
	s_delay_alu instid0(VALU_DEP_2) | instskip(NEXT) | instid1(VALU_DEP_2)
	v_lshrrev_b32_e32 v7, 4, v6
	v_and_or_b32 v8, 0x7f00, v3, 0.5
	v_cmp_gt_u32_e32 vcc_lo, 0x8000000, v6
	v_bfe_i32 v3, v3, 0, 16
	s_delay_alu instid0(VALU_DEP_4) | instskip(NEXT) | instid1(VALU_DEP_1)
	v_or_b32_e32 v7, 0x70000000, v7
	v_dual_add_f32 v8, -0.5, v8 :: v_dual_mul_f32 v7, 0x7800000, v7
	s_delay_alu instid0(VALU_DEP_1) | instskip(NEXT) | instid1(VALU_DEP_1)
	v_cndmask_b32_e32 v6, v7, v8, vcc_lo
	v_and_or_b32 v3, 0x80000000, v3, v6
.LBB16_200:
	s_mov_b32 s26, 0
	s_mov_b32 s2, -1
.LBB16_201:
	s_and_not1_b32 vcc_lo, exec_lo, s26
	s_cbranch_vccnz .LBB16_214
; %bb.202:
	v_cmp_lt_i16_e32 vcc_lo, 14, v4
	s_cbranch_vccz .LBB16_205
; %bb.203:
	v_cmp_eq_u16_e32 vcc_lo, 15, v4
	s_cbranch_vccz .LBB16_208
; %bb.204:
	global_load_u16 v3, v[1:2], off
	s_mov_b32 s2, -1
	s_mov_b32 s3, 0
	s_waitcnt vmcnt(0)
	v_lshlrev_b32_e32 v3, 16, v3
	s_branch .LBB16_209
.LBB16_205:
	s_mov_b32 s26, -1
                                        ; implicit-def: $vgpr3
	s_branch .LBB16_210
.LBB16_206:
	s_or_saveexec_b32 s27, s27
	v_mov_b32_e32 v3, s26
	s_xor_b32 exec_lo, exec_lo, s27
	s_cbranch_execz .LBB16_187
.LBB16_207:
	v_cmp_ne_u16_e32 vcc_lo, 0, v6
	v_mov_b32_e32 v3, 0
	s_and_not1_b32 s2, s2, exec_lo
	s_and_b32 s26, vcc_lo, exec_lo
	s_delay_alu instid0(SALU_CYCLE_1)
	s_or_b32 s2, s2, s26
	s_or_b32 exec_lo, exec_lo, s27
	s_and_saveexec_b32 s26, s2
	s_cbranch_execnz .LBB16_188
	s_branch .LBB16_189
.LBB16_208:
	s_mov_b32 s3, -1
                                        ; implicit-def: $vgpr3
.LBB16_209:
	s_mov_b32 s26, 0
.LBB16_210:
	s_delay_alu instid0(SALU_CYCLE_1)
	s_and_b32 vcc_lo, exec_lo, s26
	s_cbranch_vccz .LBB16_214
; %bb.211:
	v_cmp_eq_u16_e32 vcc_lo, 11, v4
	s_cbranch_vccz .LBB16_213
; %bb.212:
	global_load_u8 v3, v[1:2], off
	s_mov_b32 s3, 0
	s_mov_b32 s2, -1
	s_waitcnt vmcnt(0)
	v_cmp_ne_u16_e32 vcc_lo, 0, v3
	v_cndmask_b32_e64 v3, 0, 1.0, vcc_lo
	s_branch .LBB16_214
.LBB16_213:
	s_mov_b32 s3, -1
                                        ; implicit-def: $vgpr3
.LBB16_214:
	s_branch .LBB16_23
.LBB16_215:
	v_cmp_gt_i16_e32 vcc_lo, 5, v4
	s_cbranch_vccnz .LBB16_220
; %bb.216:
	v_cmp_gt_i16_e32 vcc_lo, 8, v4
	s_cbranch_vccnz .LBB16_221
; %bb.217:
	;; [unrolled: 3-line block ×3, first 2 shown]
	v_cmp_lt_i16_e32 vcc_lo, 9, v4
	s_cbranch_vccz .LBB16_223
; %bb.219:
	global_load_b64 v[6:7], v[1:2], off
	s_mov_b32 s2, 0
	s_waitcnt vmcnt(0)
	v_cvt_f32_f64_e32 v3, v[6:7]
	s_branch .LBB16_224
.LBB16_220:
                                        ; implicit-def: $vgpr3
	s_branch .LBB16_242
.LBB16_221:
	s_mov_b32 s2, -1
                                        ; implicit-def: $vgpr3
	s_branch .LBB16_230
.LBB16_222:
	s_mov_b32 s2, -1
                                        ; implicit-def: $vgpr3
	s_branch .LBB16_227
.LBB16_223:
	s_mov_b32 s2, -1
                                        ; implicit-def: $vgpr3
.LBB16_224:
	s_delay_alu instid0(SALU_CYCLE_1)
	s_and_not1_b32 vcc_lo, exec_lo, s2
	s_cbranch_vccnz .LBB16_226
; %bb.225:
	global_load_b32 v3, v[1:2], off
.LBB16_226:
	s_mov_b32 s2, 0
.LBB16_227:
	s_delay_alu instid0(SALU_CYCLE_1)
	s_and_not1_b32 vcc_lo, exec_lo, s2
	s_cbranch_vccnz .LBB16_229
; %bb.228:
	global_load_b32 v3, v[1:2], off
	s_waitcnt vmcnt(0)
	v_cvt_f32_f16_e32 v3, v3
.LBB16_229:
	s_mov_b32 s2, 0
.LBB16_230:
	s_delay_alu instid0(SALU_CYCLE_1)
	s_and_not1_b32 vcc_lo, exec_lo, s2
	s_cbranch_vccnz .LBB16_241
; %bb.231:
	v_cmp_gt_i16_e32 vcc_lo, 6, v4
	s_cbranch_vccnz .LBB16_234
; %bb.232:
	v_cmp_lt_i16_e32 vcc_lo, 6, v4
	s_cbranch_vccz .LBB16_235
; %bb.233:
	global_load_b64 v[6:7], v[1:2], off
	s_mov_b32 s2, 0
	s_waitcnt vmcnt(0)
	v_cvt_f32_f64_e32 v3, v[6:7]
	s_branch .LBB16_236
.LBB16_234:
	s_mov_b32 s2, -1
                                        ; implicit-def: $vgpr3
	s_branch .LBB16_239
.LBB16_235:
	s_mov_b32 s2, -1
                                        ; implicit-def: $vgpr3
.LBB16_236:
	s_delay_alu instid0(SALU_CYCLE_1)
	s_and_not1_b32 vcc_lo, exec_lo, s2
	s_cbranch_vccnz .LBB16_238
; %bb.237:
	global_load_b32 v3, v[1:2], off
.LBB16_238:
	s_mov_b32 s2, 0
.LBB16_239:
	s_delay_alu instid0(SALU_CYCLE_1)
	s_and_not1_b32 vcc_lo, exec_lo, s2
	s_cbranch_vccnz .LBB16_241
; %bb.240:
	global_load_u16 v3, v[1:2], off
	s_waitcnt vmcnt(0)
	v_cvt_f32_f16_e32 v3, v3
.LBB16_241:
	s_cbranch_execnz .LBB16_261
.LBB16_242:
	v_cmp_gt_i16_e32 vcc_lo, 2, v4
	s_cbranch_vccnz .LBB16_246
; %bb.243:
	v_cmp_gt_i16_e32 vcc_lo, 3, v4
	s_cbranch_vccnz .LBB16_247
; %bb.244:
	v_cmp_lt_i16_e32 vcc_lo, 3, v4
	s_cbranch_vccz .LBB16_248
; %bb.245:
	global_load_b64 v[6:7], v[1:2], off
	s_mov_b32 s2, 0
	s_waitcnt vmcnt(0)
	v_xor_b32_e32 v3, v6, v7
	v_cls_i32_e32 v8, v7
	s_delay_alu instid0(VALU_DEP_2) | instskip(NEXT) | instid1(VALU_DEP_2)
	v_ashrrev_i32_e32 v3, 31, v3
	v_add_nc_u32_e32 v8, -1, v8
	s_delay_alu instid0(VALU_DEP_2) | instskip(NEXT) | instid1(VALU_DEP_1)
	v_add_nc_u32_e32 v3, 32, v3
	v_min_u32_e32 v3, v8, v3
	s_delay_alu instid0(VALU_DEP_1) | instskip(SKIP_1) | instid1(VALU_DEP_2)
	v_lshlrev_b64 v[6:7], v3, v[6:7]
	v_sub_nc_u32_e32 v3, 32, v3
	v_min_u32_e32 v6, 1, v6
	s_delay_alu instid0(VALU_DEP_1) | instskip(NEXT) | instid1(VALU_DEP_1)
	v_or_b32_e32 v6, v7, v6
	v_cvt_f32_i32_e32 v6, v6
	s_delay_alu instid0(VALU_DEP_1)
	v_ldexp_f32 v3, v6, v3
	s_branch .LBB16_249
.LBB16_246:
	s_mov_b32 s2, -1
                                        ; implicit-def: $vgpr3
	s_branch .LBB16_255
.LBB16_247:
	s_mov_b32 s2, -1
                                        ; implicit-def: $vgpr3
	s_branch .LBB16_252
.LBB16_248:
	s_mov_b32 s2, -1
                                        ; implicit-def: $vgpr3
.LBB16_249:
	s_delay_alu instid0(SALU_CYCLE_1)
	s_and_not1_b32 vcc_lo, exec_lo, s2
	s_cbranch_vccnz .LBB16_251
; %bb.250:
	global_load_b32 v3, v[1:2], off
	s_waitcnt vmcnt(0)
	v_cvt_f32_i32_e32 v3, v3
.LBB16_251:
	s_mov_b32 s2, 0
.LBB16_252:
	s_delay_alu instid0(SALU_CYCLE_1)
	s_and_not1_b32 vcc_lo, exec_lo, s2
	s_cbranch_vccnz .LBB16_254
; %bb.253:
	global_load_i16 v3, v[1:2], off
	s_waitcnt vmcnt(0)
	v_cvt_f32_i32_e32 v3, v3
.LBB16_254:
	s_mov_b32 s2, 0
.LBB16_255:
	s_delay_alu instid0(SALU_CYCLE_1)
	s_and_not1_b32 vcc_lo, exec_lo, s2
	s_cbranch_vccnz .LBB16_261
; %bb.256:
	v_cmp_lt_i16_e32 vcc_lo, 0, v4
	s_mov_b32 s2, 0
	s_cbranch_vccz .LBB16_258
; %bb.257:
	global_load_i8 v3, v[1:2], off
	s_waitcnt vmcnt(0)
	v_cvt_f32_i32_e32 v3, v3
	s_branch .LBB16_259
.LBB16_258:
	s_mov_b32 s2, -1
                                        ; implicit-def: $vgpr3
.LBB16_259:
	s_delay_alu instid0(SALU_CYCLE_1)
	s_and_not1_b32 vcc_lo, exec_lo, s2
	s_cbranch_vccnz .LBB16_261
; %bb.260:
	global_load_u8 v1, v[1:2], off
	s_waitcnt vmcnt(0)
	v_cvt_f32_ubyte0_e32 v3, v1
.LBB16_261:
	s_branch .LBB16_24
.LBB16_262:
	s_mov_b32 s26, 0
.LBB16_263:
	s_mov_b32 s2, 0
                                        ; implicit-def: $vgpr5
.LBB16_264:
	s_and_b32 s39, s26, exec_lo
	s_and_b32 s40, s3, exec_lo
	s_or_not1_b32 s3, s2, exec_lo
.LBB16_265:
	s_or_b32 exec_lo, exec_lo, s41
	s_mov_b32 s26, 0
	s_mov_b32 s2, 0
                                        ; implicit-def: $vgpr1_vgpr2
                                        ; implicit-def: $vgpr0
                                        ; implicit-def: $vgpr6
	s_and_saveexec_b32 s41, s3
	s_cbranch_execz .LBB16_912
; %bb.266:
	s_mov_b32 s2, -1
	s_mov_b32 s42, s40
	s_mov_b32 s43, s39
	s_mov_b32 s44, exec_lo
	v_cmpx_gt_i32_e64 s36, v5
	s_cbranch_execz .LBB16_537
; %bb.267:
	s_and_not1_b32 vcc_lo, exec_lo, s31
	s_cbranch_vccnz .LBB16_272
; %bb.268:
	v_dual_mov_b32 v0, 0 :: v_dual_mov_b32 v1, 0
	s_and_not1_b32 vcc_lo, exec_lo, s38
	s_mov_b32 s42, 0
	s_cbranch_vccnz .LBB16_277
; %bb.269:
	v_mov_b32_e32 v0, 0
	s_add_i32 s45, s37, 1
	s_cmp_eq_u32 s29, 2
	s_mov_b32 s43, 0
	s_cbranch_scc1 .LBB16_273
; %bb.270:
	v_dual_mov_b32 v1, 0 :: v_dual_mov_b32 v0, 0
	v_mov_b32_e32 v2, v5
	s_and_b32 s43, s45, 28
	s_mov_b32 s46, 0
	s_mov_b64 s[2:3], s[24:25]
	s_mov_b64 s[26:27], s[20:21]
.LBB16_271:                             ; =>This Inner Loop Header: Depth=1
	s_clause 0x1
	s_load_b256 s[48:55], s[26:27], 0x4
	s_load_b128 s[64:67], s[26:27], 0x24
	s_load_b256 s[56:63], s[2:3], 0x0
	s_add_u32 s26, s26, 48
	s_addc_u32 s27, s27, 0
	s_add_i32 s46, s46, 4
	s_add_u32 s2, s2, 32
	s_addc_u32 s3, s3, 0
	s_cmp_eq_u32 s43, s46
	s_waitcnt vmcnt(0) lgkmcnt(0)
	v_mul_hi_u32 v3, s49, v2
	s_delay_alu instid0(VALU_DEP_1) | instskip(NEXT) | instid1(VALU_DEP_1)
	v_add_nc_u32_e32 v3, v2, v3
	v_lshrrev_b32_e32 v3, s50, v3
	s_delay_alu instid0(VALU_DEP_1) | instskip(SKIP_1) | instid1(VALU_DEP_2)
	v_mul_hi_u32 v6, s52, v3
	v_mul_lo_u32 v8, v3, s48
	v_add_nc_u32_e32 v6, v3, v6
	s_delay_alu instid0(VALU_DEP_2) | instskip(NEXT) | instid1(VALU_DEP_2)
	v_sub_nc_u32_e32 v2, v2, v8
	v_lshrrev_b32_e32 v6, s53, v6
	s_delay_alu instid0(VALU_DEP_2) | instskip(SKIP_1) | instid1(VALU_DEP_3)
	v_mul_lo_u32 v8, v2, s56
	v_mul_lo_u32 v10, v2, s57
	v_mul_hi_u32 v7, s55, v6
	s_delay_alu instid0(VALU_DEP_1) | instskip(NEXT) | instid1(VALU_DEP_1)
	v_add_nc_u32_e32 v7, v6, v7
	v_lshrrev_b32_e32 v7, s64, v7
	s_delay_alu instid0(VALU_DEP_1) | instskip(SKIP_1) | instid1(VALU_DEP_2)
	v_mul_hi_u32 v9, s66, v7
	v_mul_lo_u32 v11, v7, s54
	v_add_nc_u32_e32 v2, v7, v9
	v_mul_lo_u32 v9, v6, s51
	s_delay_alu instid0(VALU_DEP_3) | instskip(NEXT) | instid1(VALU_DEP_3)
	v_sub_nc_u32_e32 v6, v6, v11
	v_lshrrev_b32_e32 v2, s67, v2
	s_delay_alu instid0(VALU_DEP_2) | instskip(SKIP_2) | instid1(VALU_DEP_4)
	v_mul_lo_u32 v11, v6, s60
	v_mul_lo_u32 v6, v6, s61
	v_sub_nc_u32_e32 v3, v3, v9
	v_mul_lo_u32 v12, v2, s65
	s_delay_alu instid0(VALU_DEP_2) | instskip(SKIP_1) | instid1(VALU_DEP_3)
	v_mul_lo_u32 v9, v3, s58
	v_mul_lo_u32 v3, v3, s59
	v_sub_nc_u32_e32 v7, v7, v12
	s_delay_alu instid0(VALU_DEP_3) | instskip(NEXT) | instid1(VALU_DEP_2)
	v_add3_u32 v0, v8, v0, v9
	v_mul_lo_u32 v12, v7, s62
	v_mul_lo_u32 v7, v7, s63
	v_add3_u32 v1, v10, v1, v3
	s_delay_alu instid0(VALU_DEP_3) | instskip(NEXT) | instid1(VALU_DEP_2)
	v_add3_u32 v0, v11, v0, v12
	v_add3_u32 v1, v6, v1, v7
	s_cbranch_scc0 .LBB16_271
	s_branch .LBB16_274
.LBB16_272:
	s_mov_b32 s42, -1
                                        ; implicit-def: $vgpr0
                                        ; implicit-def: $vgpr1
	s_branch .LBB16_277
.LBB16_273:
	v_dual_mov_b32 v2, v5 :: v_dual_mov_b32 v1, 0
.LBB16_274:
	s_and_b32 s45, s45, 3
	s_delay_alu instid0(SALU_CYCLE_1)
	s_cmp_eq_u32 s45, 0
	s_cbranch_scc1 .LBB16_277
; %bb.275:
	s_lshl_b32 s2, s43, 3
	s_mul_i32 s26, s43, 12
	s_add_u32 s2, s2, s20
	s_addc_u32 s3, s21, 0
	s_add_u32 s2, s2, 0xc4
	s_addc_u32 s3, s3, 0
	;; [unrolled: 2-line block ×3, first 2 shown]
	.p2align	6
.LBB16_276:                             ; =>This Inner Loop Header: Depth=1
	s_clause 0x1
	s_load_b64 s[46:47], s[26:27], 0x4
	s_load_b32 s43, s[26:27], 0xc
	s_load_b64 s[48:49], s[2:3], 0x0
	s_add_u32 s26, s26, 12
	s_addc_u32 s27, s27, 0
	s_add_u32 s2, s2, 8
	s_addc_u32 s3, s3, 0
	s_add_i32 s45, s45, -1
	s_delay_alu instid0(SALU_CYCLE_1) | instskip(SKIP_2) | instid1(VALU_DEP_1)
	s_cmp_lg_u32 s45, 0
	s_waitcnt vmcnt(0) lgkmcnt(0)
	v_mul_hi_u32 v3, s47, v2
	v_add_nc_u32_e32 v3, v2, v3
	s_delay_alu instid0(VALU_DEP_1) | instskip(NEXT) | instid1(VALU_DEP_1)
	v_lshrrev_b32_e32 v3, s43, v3
	v_mul_lo_u32 v6, v3, s46
	s_delay_alu instid0(VALU_DEP_1) | instskip(NEXT) | instid1(VALU_DEP_1)
	v_sub_nc_u32_e32 v2, v2, v6
	v_mad_u64_u32 v[6:7], null, v2, s48, v[0:1]
	v_mad_u64_u32 v[7:8], null, v2, s49, v[1:2]
	v_mov_b32_e32 v2, v3
	s_delay_alu instid0(VALU_DEP_2)
	v_dual_mov_b32 v0, v6 :: v_dual_mov_b32 v1, v7
	s_cbranch_scc1 .LBB16_276
.LBB16_277:
	s_and_not1_b32 vcc_lo, exec_lo, s42
	s_cbranch_vccnz .LBB16_280
; %bb.278:
	v_mul_hi_u32 v0, s17, v5
	s_and_not1_b32 vcc_lo, exec_lo, s35
	s_delay_alu instid0(VALU_DEP_1) | instskip(NEXT) | instid1(VALU_DEP_1)
	v_add_nc_u32_e32 v0, v5, v0
	v_lshrrev_b32_e32 v2, s18, v0
	s_delay_alu instid0(VALU_DEP_1) | instskip(NEXT) | instid1(VALU_DEP_1)
	v_mul_lo_u32 v0, v2, s16
	v_sub_nc_u32_e32 v1, v5, v0
	s_delay_alu instid0(VALU_DEP_1)
	v_mul_lo_u32 v0, v1, s12
	v_mul_lo_u32 v1, v1, s13
	s_cbranch_vccnz .LBB16_280
; %bb.279:
	s_waitcnt vmcnt(0)
	v_mul_hi_u32 v3, s22, v2
	s_delay_alu instid0(VALU_DEP_1) | instskip(NEXT) | instid1(VALU_DEP_1)
	v_add_nc_u32_e32 v3, v2, v3
	v_lshrrev_b32_e32 v3, s23, v3
	s_delay_alu instid0(VALU_DEP_1) | instskip(NEXT) | instid1(VALU_DEP_1)
	v_mul_lo_u32 v3, v3, s19
	v_sub_nc_u32_e32 v8, v2, v3
	s_delay_alu instid0(VALU_DEP_1) | instskip(NEXT) | instid1(VALU_DEP_1)
	v_mad_u64_u32 v[2:3], null, v8, s14, v[0:1]
	v_mad_u64_u32 v[6:7], null, v8, s15, v[1:2]
	v_mov_b32_e32 v0, v2
	s_delay_alu instid0(VALU_DEP_2)
	v_mov_b32_e32 v1, v6
.LBB16_280:
	v_cmp_gt_i16_e32 vcc_lo, 11, v4
	s_delay_alu instid0(VALU_DEP_2) | instskip(NEXT) | instid1(VALU_DEP_1)
	v_add_co_u32 v1, s2, s6, v1
	v_add_co_ci_u32_e64 v2, null, s7, 0, s2
	s_mov_b32 s2, 0
	s_cbranch_vccnz .LBB16_287
; %bb.281:
	v_cmp_lt_i16_e32 vcc_lo, 25, v4
	s_cbranch_vccz .LBB16_338
; %bb.282:
	v_cmp_lt_i16_e32 vcc_lo, 28, v4
	s_cbranch_vccz .LBB16_339
	;; [unrolled: 3-line block ×4, first 2 shown]
; %bb.285:
	v_cmp_eq_u16_e32 vcc_lo, 46, v4
	s_mov_b32 s26, 0
	s_cbranch_vccz .LBB16_347
; %bb.286:
	global_load_b32 v3, v[1:2], off
	s_mov_b32 s2, -1
	s_mov_b32 s3, 0
	s_waitcnt vmcnt(0)
	v_lshlrev_b32_e32 v3, 16, v3
	s_branch .LBB16_349
.LBB16_287:
	s_mov_b32 s3, s40
                                        ; implicit-def: $vgpr3
	s_cbranch_execnz .LBB16_486
.LBB16_288:
	s_and_not1_b32 vcc_lo, exec_lo, s2
	s_cbranch_vccnz .LBB16_534
.LBB16_289:
	s_mov_b32 s2, exec_lo
	s_waitcnt vmcnt(0)
	s_delay_alu instid0(VALU_DEP_1)
	v_cmpx_nlg_f32_e64 0x7f800000, |v3|
	s_cbranch_execz .LBB16_291
; %bb.290:
	v_dual_mov_b32 v1, 0 :: v_dual_mov_b32 v2, 1.0
	global_store_b32 v1, v2, s[8:9]
.LBB16_291:
	s_or_b32 exec_lo, exec_lo, s2
	v_mov_b32_e32 v1, 0
	v_and_b32_e64 v6, 0xff, s34
	v_add_co_u32 v0, s2, s4, v0
	s_mov_b32 s26, 0
	global_load_b32 v2, v1, s[10:11]
	v_add_co_ci_u32_e64 v1, null, s5, 0, s2
	v_cmp_gt_i16_e32 vcc_lo, 11, v6
	s_mov_b32 s27, -1
	s_and_b32 vcc_lo, exec_lo, vcc_lo
	s_waitcnt vmcnt(0)
	v_mul_f32_e32 v7, v3, v2
	v_cmp_eq_f32_e64 s2, 1.0, v2
	s_delay_alu instid0(VALU_DEP_1)
	v_cndmask_b32_e64 v2, v7, v3, s2
	s_mov_b32 s2, s39
	s_cbranch_vccnz .LBB16_298
; %bb.292:
	v_cmp_lt_i16_e32 vcc_lo, 25, v6
	s_cbranch_vccz .LBB16_340
; %bb.293:
	v_cmp_lt_i16_e32 vcc_lo, 28, v6
	s_cbranch_vccz .LBB16_342
	;; [unrolled: 3-line block ×4, first 2 shown]
; %bb.296:
	v_cmp_eq_u16_e32 vcc_lo, 46, v6
	s_mov_b32 s27, 0
	s_mov_b32 s2, -1
	s_cbranch_vccz .LBB16_353
; %bb.297:
	v_bfe_u32 v3, v2, 16, 1
	v_cmp_o_f32_e32 vcc_lo, v2, v2
	s_mov_b32 s26, -1
	s_mov_b32 s2, 0
	s_delay_alu instid0(VALU_DEP_2) | instskip(NEXT) | instid1(VALU_DEP_1)
	v_add3_u32 v3, v2, v3, 0x7fff
	v_lshrrev_b32_e32 v3, 16, v3
	s_delay_alu instid0(VALU_DEP_1)
	v_cndmask_b32_e32 v3, 0x7fc0, v3, vcc_lo
	global_store_b32 v[0:1], v3, off
	s_branch .LBB16_353
.LBB16_298:
	s_and_b32 vcc_lo, exec_lo, s27
	s_cbranch_vccz .LBB16_422
; %bb.299:
	v_cmp_gt_i16_e32 vcc_lo, 5, v6
	s_mov_b32 s26, -1
	s_cbranch_vccnz .LBB16_320
; %bb.300:
	v_cmp_gt_i16_e32 vcc_lo, 8, v6
	s_cbranch_vccnz .LBB16_310
; %bb.301:
	v_cmp_gt_i16_e32 vcc_lo, 9, v6
	s_cbranch_vccnz .LBB16_307
; %bb.302:
	v_cmp_lt_i16_e32 vcc_lo, 9, v6
	s_cbranch_vccz .LBB16_304
; %bb.303:
	v_cvt_f64_f32_e32 v[7:8], v2
	v_mov_b32_e32 v9, 0
	s_mov_b32 s26, 0
	s_delay_alu instid0(VALU_DEP_1)
	v_mov_b32_e32 v10, v9
	global_store_b128 v[0:1], v[7:10], off
.LBB16_304:
	s_and_not1_b32 vcc_lo, exec_lo, s26
	s_cbranch_vccnz .LBB16_306
; %bb.305:
	v_mov_b32_e32 v3, 0
	global_store_b64 v[0:1], v[2:3], off
.LBB16_306:
	s_mov_b32 s26, 0
.LBB16_307:
	s_delay_alu instid0(SALU_CYCLE_1)
	s_and_not1_b32 vcc_lo, exec_lo, s26
	s_cbranch_vccnz .LBB16_309
; %bb.308:
	v_cvt_f16_f32_e32 v3, v2
	s_delay_alu instid0(VALU_DEP_1)
	v_and_b32_e32 v3, 0xffff, v3
	global_store_b32 v[0:1], v3, off
.LBB16_309:
	s_mov_b32 s26, 0
.LBB16_310:
	s_delay_alu instid0(SALU_CYCLE_1)
	s_and_not1_b32 vcc_lo, exec_lo, s26
	s_cbranch_vccnz .LBB16_319
; %bb.311:
	v_cmp_gt_i16_e32 vcc_lo, 6, v6
	s_mov_b32 s26, -1
	s_cbranch_vccnz .LBB16_317
; %bb.312:
	v_cmp_lt_i16_e32 vcc_lo, 6, v6
	s_cbranch_vccz .LBB16_314
; %bb.313:
	v_cvt_f64_f32_e32 v[7:8], v2
	s_mov_b32 s26, 0
	global_store_b64 v[0:1], v[7:8], off
.LBB16_314:
	s_and_not1_b32 vcc_lo, exec_lo, s26
	s_cbranch_vccnz .LBB16_316
; %bb.315:
	global_store_b32 v[0:1], v2, off
.LBB16_316:
	s_mov_b32 s26, 0
.LBB16_317:
	s_delay_alu instid0(SALU_CYCLE_1)
	s_and_not1_b32 vcc_lo, exec_lo, s26
	s_cbranch_vccnz .LBB16_319
; %bb.318:
	v_cvt_f16_f32_e32 v3, v2
	global_store_b16 v[0:1], v3, off
.LBB16_319:
	s_mov_b32 s26, 0
.LBB16_320:
	s_delay_alu instid0(SALU_CYCLE_1)
	s_and_not1_b32 vcc_lo, exec_lo, s26
	s_cbranch_vccnz .LBB16_336
; %bb.321:
	v_cmp_gt_i16_e32 vcc_lo, 2, v6
	s_mov_b32 s26, -1
	s_cbranch_vccnz .LBB16_331
; %bb.322:
	v_cmp_gt_i16_e32 vcc_lo, 3, v6
	s_cbranch_vccnz .LBB16_328
; %bb.323:
	v_cmp_lt_i16_e32 vcc_lo, 3, v6
	s_cbranch_vccz .LBB16_325
; %bb.324:
	v_trunc_f32_e32 v3, v2
	s_mov_b32 s26, 0
	s_delay_alu instid0(VALU_DEP_1) | instskip(NEXT) | instid1(VALU_DEP_1)
	v_mul_f32_e64 v7, 0x2f800000, |v3|
	v_floor_f32_e32 v7, v7
	s_delay_alu instid0(VALU_DEP_1) | instskip(SKIP_2) | instid1(VALU_DEP_3)
	v_fma_f32 v8, 0xcf800000, v7, |v3|
	v_ashrrev_i32_e32 v3, 31, v3
	v_cvt_u32_f32_e32 v7, v7
	v_cvt_u32_f32_e32 v8, v8
	s_delay_alu instid0(VALU_DEP_2) | instskip(NEXT) | instid1(VALU_DEP_2)
	v_xor_b32_e32 v9, v7, v3
	v_xor_b32_e32 v8, v8, v3
	s_delay_alu instid0(VALU_DEP_1) | instskip(NEXT) | instid1(VALU_DEP_3)
	v_sub_co_u32 v7, vcc_lo, v8, v3
	v_sub_co_ci_u32_e32 v8, vcc_lo, v9, v3, vcc_lo
	global_store_b64 v[0:1], v[7:8], off
.LBB16_325:
	s_and_not1_b32 vcc_lo, exec_lo, s26
	s_cbranch_vccnz .LBB16_327
; %bb.326:
	v_cvt_i32_f32_e32 v3, v2
	global_store_b32 v[0:1], v3, off
.LBB16_327:
	s_mov_b32 s26, 0
.LBB16_328:
	s_delay_alu instid0(SALU_CYCLE_1)
	s_and_not1_b32 vcc_lo, exec_lo, s26
	s_cbranch_vccnz .LBB16_330
; %bb.329:
	v_cvt_i32_f32_e32 v3, v2
	global_store_b16 v[0:1], v3, off
.LBB16_330:
	s_mov_b32 s26, 0
.LBB16_331:
	s_delay_alu instid0(SALU_CYCLE_1)
	s_and_not1_b32 vcc_lo, exec_lo, s26
	s_cbranch_vccnz .LBB16_336
; %bb.332:
	v_cmp_lt_i16_e32 vcc_lo, 0, v6
	s_mov_b32 s26, -1
	s_cbranch_vccz .LBB16_334
; %bb.333:
	v_cvt_i32_f32_e32 v3, v2
	s_mov_b32 s26, 0
	global_store_b8 v[0:1], v3, off
.LBB16_334:
	s_and_not1_b32 vcc_lo, exec_lo, s26
	s_cbranch_vccnz .LBB16_336
; %bb.335:
	v_trunc_f32_e32 v2, v2
	s_delay_alu instid0(VALU_DEP_1) | instskip(NEXT) | instid1(VALU_DEP_1)
	v_mul_f32_e64 v3, 0x2f800000, |v2|
	v_floor_f32_e32 v3, v3
	s_delay_alu instid0(VALU_DEP_1) | instskip(SKIP_1) | instid1(VALU_DEP_2)
	v_fma_f32 v3, 0xcf800000, v3, |v2|
	v_ashrrev_i32_e32 v2, 31, v2
	v_cvt_u32_f32_e32 v3, v3
	s_delay_alu instid0(VALU_DEP_1) | instskip(NEXT) | instid1(VALU_DEP_1)
	v_xor_b32_e32 v3, v3, v2
	v_sub_nc_u32_e32 v2, v3, v2
	global_store_b8 v[0:1], v2, off
.LBB16_336:
	s_branch .LBB16_423
.LBB16_337:
	s_mov_b32 s26, 0
	s_branch .LBB16_535
.LBB16_338:
	s_mov_b32 s26, -1
	s_mov_b32 s3, s40
                                        ; implicit-def: $vgpr3
	s_branch .LBB16_450
.LBB16_339:
	s_mov_b32 s26, -1
	s_mov_b32 s3, s40
                                        ; implicit-def: $vgpr3
	s_branch .LBB16_431
.LBB16_340:
	s_mov_b32 s2, s39
	s_branch .LBB16_380
.LBB16_341:
	s_mov_b32 s26, -1
	s_mov_b32 s3, s40
                                        ; implicit-def: $vgpr3
	s_branch .LBB16_426
.LBB16_342:
	s_mov_b32 s2, s39
	s_branch .LBB16_363
.LBB16_343:
	s_mov_b32 s26, -1
	s_mov_b32 s3, s40
	s_branch .LBB16_348
.LBB16_344:
	s_mov_b32 s2, s39
	s_branch .LBB16_359
.LBB16_345:
	s_or_saveexec_b32 s39, s39
                                        ; implicit-def: $sgpr40
	s_delay_alu instid0(SALU_CYCLE_1)
	s_xor_b32 exec_lo, exec_lo, s39
	s_cbranch_execz .LBB16_67
.LBB16_346:
	v_add_f32_e64 v3, 0x42800000, |v2|
	s_and_not1_b32 s27, s27, exec_lo
	s_mov_b32 s40, 0
	s_delay_alu instid0(VALU_DEP_1) | instskip(NEXT) | instid1(VALU_DEP_1)
	v_and_b32_e32 v3, 0xff, v3
	v_cmp_ne_u32_e32 vcc_lo, 0, v3
	s_and_b32 s43, vcc_lo, exec_lo
	s_delay_alu instid0(SALU_CYCLE_1)
	s_or_b32 s27, s27, s43
	s_or_b32 exec_lo, exec_lo, s39
	v_mov_b32_e32 v7, s40
	s_and_saveexec_b32 s39, s27
	s_cbranch_execnz .LBB16_68
	s_branch .LBB16_69
.LBB16_347:
	s_mov_b32 s3, -1
.LBB16_348:
                                        ; implicit-def: $vgpr3
.LBB16_349:
	s_and_b32 vcc_lo, exec_lo, s26
	s_cbranch_vccz .LBB16_425
; %bb.350:
	v_cmp_eq_u16_e32 vcc_lo, 44, v4
	s_cbranch_vccz .LBB16_424
; %bb.351:
	global_load_u8 v3, v[1:2], off
	s_mov_b32 s3, 0
	s_mov_b32 s2, -1
	s_waitcnt vmcnt(0)
	v_lshlrev_b32_e32 v6, 23, v3
	v_cmp_ne_u32_e32 vcc_lo, 0xff, v3
	s_delay_alu instid0(VALU_DEP_2) | instskip(SKIP_1) | instid1(VALU_DEP_2)
	v_cndmask_b32_e32 v6, 0x7f800001, v6, vcc_lo
	v_cmp_ne_u32_e32 vcc_lo, 0, v3
	v_cndmask_b32_e32 v3, 0x400000, v6, vcc_lo
	s_branch .LBB16_425
.LBB16_352:
	s_mov_b32 s2, s39
.LBB16_353:
	s_and_b32 vcc_lo, exec_lo, s27
	s_cbranch_vccz .LBB16_358
; %bb.354:
	v_cmp_eq_u16_e32 vcc_lo, 44, v6
	s_mov_b32 s2, -1
	s_cbranch_vccz .LBB16_358
; %bb.355:
	v_bfe_u32 v7, v2, 23, 8
	v_mov_b32_e32 v3, 0xff
	s_mov_b32 s26, exec_lo
	s_delay_alu instid0(VALU_DEP_2)
	v_cmpx_ne_u32_e32 0xff, v7
; %bb.356:
	v_and_b32_e32 v3, 0x400000, v2
	v_and_or_b32 v7, 0x3fffff, v2, v7
	s_delay_alu instid0(VALU_DEP_2) | instskip(NEXT) | instid1(VALU_DEP_2)
	v_cmp_ne_u32_e32 vcc_lo, 0, v3
	v_cmp_ne_u32_e64 s2, 0, v7
	v_lshrrev_b32_e32 v3, 23, v2
	s_delay_alu instid0(VALU_DEP_2) | instskip(NEXT) | instid1(SALU_CYCLE_1)
	s_and_b32 s2, vcc_lo, s2
	v_cndmask_b32_e64 v7, 0, 1, s2
	s_delay_alu instid0(VALU_DEP_1)
	v_add_nc_u32_e32 v3, v3, v7
; %bb.357:
	s_or_b32 exec_lo, exec_lo, s26
	s_mov_b32 s26, -1
	s_mov_b32 s2, 0
	global_store_b8 v[0:1], v3, off
.LBB16_358:
	s_mov_b32 s27, 0
.LBB16_359:
	s_delay_alu instid0(SALU_CYCLE_1)
	s_and_b32 vcc_lo, exec_lo, s27
	s_cbranch_vccz .LBB16_362
; %bb.360:
	v_cmp_eq_u16_e32 vcc_lo, 29, v6
	s_mov_b32 s2, -1
	s_cbranch_vccz .LBB16_362
; %bb.361:
	v_trunc_f32_e32 v3, v2
	s_mov_b32 s26, -1
	s_mov_b32 s2, 0
	s_mov_b32 s27, 0
	s_delay_alu instid0(VALU_DEP_1) | instskip(NEXT) | instid1(VALU_DEP_1)
	v_mul_f32_e32 v7, 0x2f800000, v3
	v_floor_f32_e32 v7, v7
	s_delay_alu instid0(VALU_DEP_1) | instskip(SKIP_1) | instid1(VALU_DEP_2)
	v_fmamk_f32 v3, v7, 0xcf800000, v3
	v_cvt_u32_f32_e32 v8, v7
	v_cvt_u32_f32_e32 v7, v3
	global_store_b64 v[0:1], v[7:8], off
	s_branch .LBB16_363
.LBB16_362:
	s_mov_b32 s27, 0
.LBB16_363:
	s_delay_alu instid0(SALU_CYCLE_1)
	s_and_b32 vcc_lo, exec_lo, s27
	s_cbranch_vccz .LBB16_379
; %bb.364:
	v_cmp_gt_i16_e32 vcc_lo, 27, v6
	s_mov_b32 s26, -1
	s_cbranch_vccnz .LBB16_370
; %bb.365:
	v_cmp_lt_i16_e32 vcc_lo, 27, v6
	s_cbranch_vccz .LBB16_367
; %bb.366:
	v_cvt_u32_f32_e32 v3, v2
	s_mov_b32 s26, 0
	global_store_b32 v[0:1], v3, off
.LBB16_367:
	s_and_not1_b32 vcc_lo, exec_lo, s26
	s_cbranch_vccnz .LBB16_369
; %bb.368:
	v_cvt_u32_f32_e32 v3, v2
	global_store_b16 v[0:1], v3, off
.LBB16_369:
	s_mov_b32 s26, 0
.LBB16_370:
	s_delay_alu instid0(SALU_CYCLE_1)
	s_and_not1_b32 vcc_lo, exec_lo, s26
	s_cbranch_vccnz .LBB16_378
; %bb.371:
	v_and_b32_e32 v3, 0x7fffffff, v2
	v_mov_b32_e32 v7, 0x80
	s_mov_b32 s26, exec_lo
	s_delay_alu instid0(VALU_DEP_2)
	v_cmpx_gt_u32_e32 0x43800000, v3
	s_cbranch_execz .LBB16_377
; %bb.372:
	v_cmp_lt_u32_e32 vcc_lo, 0x3bffffff, v3
	s_mov_b32 s27, 0
                                        ; implicit-def: $vgpr3
	s_and_saveexec_b32 s42, vcc_lo
	s_delay_alu instid0(SALU_CYCLE_1)
	s_xor_b32 s42, exec_lo, s42
	s_cbranch_execz .LBB16_563
; %bb.373:
	v_bfe_u32 v3, v2, 20, 1
	s_mov_b32 s27, exec_lo
	s_delay_alu instid0(VALU_DEP_1) | instskip(NEXT) | instid1(VALU_DEP_1)
	v_add3_u32 v3, v2, v3, 0x487ffff
	v_lshrrev_b32_e32 v3, 20, v3
	s_or_saveexec_b32 s42, s42
                                        ; implicit-def: $sgpr43
	s_delay_alu instid0(SALU_CYCLE_1)
	s_xor_b32 exec_lo, exec_lo, s42
	s_cbranch_execnz .LBB16_564
.LBB16_374:
	s_or_b32 exec_lo, exec_lo, s42
	v_mov_b32_e32 v7, s43
	s_and_saveexec_b32 s42, s27
.LBB16_375:
	v_lshrrev_b32_e32 v7, 24, v2
	s_delay_alu instid0(VALU_DEP_1)
	v_and_or_b32 v7, 0x80, v7, v3
.LBB16_376:
	s_or_b32 exec_lo, exec_lo, s42
.LBB16_377:
	s_delay_alu instid0(SALU_CYCLE_1)
	s_or_b32 exec_lo, exec_lo, s26
	global_store_b8 v[0:1], v7, off
.LBB16_378:
	s_mov_b32 s26, -1
.LBB16_379:
	s_mov_b32 s27, 0
.LBB16_380:
	s_delay_alu instid0(SALU_CYCLE_1)
	s_and_b32 vcc_lo, exec_lo, s27
	s_cbranch_vccz .LBB16_421
; %bb.381:
	v_cmp_lt_i16_e32 vcc_lo, 22, v6
	s_mov_b32 s27, -1
	s_cbranch_vccz .LBB16_413
; %bb.382:
	v_cmp_gt_i16_e32 vcc_lo, 24, v6
	s_mov_b32 s26, -1
	s_cbranch_vccnz .LBB16_402
; %bb.383:
	v_cmp_lt_i16_e32 vcc_lo, 24, v6
	s_cbranch_vccz .LBB16_391
; %bb.384:
	v_and_b32_e32 v3, 0x7fffffff, v2
	v_mov_b32_e32 v7, 0x80
	s_mov_b32 s26, exec_lo
	s_delay_alu instid0(VALU_DEP_2)
	v_cmpx_gt_u32_e32 0x47800000, v3
	s_cbranch_execz .LBB16_390
; %bb.385:
	v_cmp_lt_u32_e32 vcc_lo, 0x37ffffff, v3
	s_mov_b32 s27, 0
                                        ; implicit-def: $vgpr3
	s_and_saveexec_b32 s42, vcc_lo
	s_delay_alu instid0(SALU_CYCLE_1)
	s_xor_b32 s42, exec_lo, s42
	s_cbranch_execz .LBB16_566
; %bb.386:
	v_bfe_u32 v3, v2, 21, 1
	s_mov_b32 s27, exec_lo
	s_delay_alu instid0(VALU_DEP_1) | instskip(NEXT) | instid1(VALU_DEP_1)
	v_add3_u32 v3, v2, v3, 0x88fffff
	v_lshrrev_b32_e32 v3, 21, v3
	s_or_saveexec_b32 s42, s42
                                        ; implicit-def: $sgpr43
	s_delay_alu instid0(SALU_CYCLE_1)
	s_xor_b32 exec_lo, exec_lo, s42
	s_cbranch_execnz .LBB16_567
.LBB16_387:
	s_or_b32 exec_lo, exec_lo, s42
	v_mov_b32_e32 v7, s43
	s_and_saveexec_b32 s42, s27
.LBB16_388:
	v_lshrrev_b32_e32 v7, 24, v2
	s_delay_alu instid0(VALU_DEP_1)
	v_and_or_b32 v7, 0x80, v7, v3
.LBB16_389:
	s_or_b32 exec_lo, exec_lo, s42
.LBB16_390:
	s_delay_alu instid0(SALU_CYCLE_1)
	s_or_b32 exec_lo, exec_lo, s26
	s_mov_b32 s26, 0
	global_store_b8 v[0:1], v7, off
.LBB16_391:
	s_and_b32 vcc_lo, exec_lo, s26
	s_cbranch_vccz .LBB16_401
; %bb.392:
	v_and_b32_e32 v7, 0x7fffffff, v2
	s_mov_b32 s26, exec_lo
                                        ; implicit-def: $vgpr3
	s_delay_alu instid0(VALU_DEP_1)
	v_cmpx_gt_u32_e32 0x43f00000, v7
	s_xor_b32 s26, exec_lo, s26
	s_cbranch_execz .LBB16_398
; %bb.393:
	s_mov_b32 s27, exec_lo
                                        ; implicit-def: $vgpr3
	v_cmpx_lt_u32_e32 0x3c7fffff, v7
	s_xor_b32 s27, exec_lo, s27
; %bb.394:
	v_bfe_u32 v3, v2, 20, 1
	s_delay_alu instid0(VALU_DEP_1) | instskip(NEXT) | instid1(VALU_DEP_1)
	v_add3_u32 v3, v2, v3, 0x407ffff
	v_and_b32_e32 v7, 0xff00000, v3
	v_lshrrev_b32_e32 v3, 20, v3
	s_delay_alu instid0(VALU_DEP_2) | instskip(NEXT) | instid1(VALU_DEP_2)
	v_cmp_ne_u32_e32 vcc_lo, 0x7f00000, v7
	v_cndmask_b32_e32 v3, 0x7e, v3, vcc_lo
; %bb.395:
	s_and_not1_saveexec_b32 s27, s27
; %bb.396:
	v_add_f32_e64 v3, 0x46800000, |v2|
; %bb.397:
	s_or_b32 exec_lo, exec_lo, s27
                                        ; implicit-def: $vgpr7
.LBB16_398:
	s_and_not1_saveexec_b32 s26, s26
; %bb.399:
	v_mov_b32_e32 v3, 0x7f
	v_cmp_lt_u32_e32 vcc_lo, 0x7f800000, v7
	s_delay_alu instid0(VALU_DEP_2)
	v_cndmask_b32_e32 v3, 0x7e, v3, vcc_lo
; %bb.400:
	s_or_b32 exec_lo, exec_lo, s26
	v_lshrrev_b32_e32 v7, 24, v2
	s_delay_alu instid0(VALU_DEP_1)
	v_and_or_b32 v3, 0x80, v7, v3
	global_store_b8 v[0:1], v3, off
.LBB16_401:
	s_mov_b32 s26, 0
.LBB16_402:
	s_delay_alu instid0(SALU_CYCLE_1)
	s_and_not1_b32 vcc_lo, exec_lo, s26
	s_cbranch_vccnz .LBB16_412
; %bb.403:
	v_and_b32_e32 v7, 0x7fffffff, v2
	s_mov_b32 s26, exec_lo
                                        ; implicit-def: $vgpr3
	s_delay_alu instid0(VALU_DEP_1)
	v_cmpx_gt_u32_e32 0x47800000, v7
	s_xor_b32 s26, exec_lo, s26
	s_cbranch_execz .LBB16_409
; %bb.404:
	s_mov_b32 s27, exec_lo
                                        ; implicit-def: $vgpr3
	v_cmpx_lt_u32_e32 0x387fffff, v7
	s_xor_b32 s27, exec_lo, s27
; %bb.405:
	v_bfe_u32 v3, v2, 21, 1
	s_delay_alu instid0(VALU_DEP_1) | instskip(NEXT) | instid1(VALU_DEP_1)
	v_add3_u32 v3, v2, v3, 0x80fffff
	v_lshrrev_b32_e32 v3, 21, v3
; %bb.406:
	s_and_not1_saveexec_b32 s27, s27
; %bb.407:
	v_add_f32_e64 v3, 0x43000000, |v2|
; %bb.408:
	s_or_b32 exec_lo, exec_lo, s27
                                        ; implicit-def: $vgpr7
.LBB16_409:
	s_and_not1_saveexec_b32 s26, s26
; %bb.410:
	v_mov_b32_e32 v3, 0x7f
	v_cmp_lt_u32_e32 vcc_lo, 0x7f800000, v7
	s_delay_alu instid0(VALU_DEP_2)
	v_cndmask_b32_e32 v3, 0x7c, v3, vcc_lo
; %bb.411:
	s_or_b32 exec_lo, exec_lo, s26
	v_lshrrev_b32_e32 v7, 24, v2
	s_delay_alu instid0(VALU_DEP_1)
	v_and_or_b32 v3, 0x80, v7, v3
	global_store_b8 v[0:1], v3, off
.LBB16_412:
	s_mov_b32 s27, 0
	s_mov_b32 s26, -1
.LBB16_413:
	s_and_not1_b32 vcc_lo, exec_lo, s27
	s_cbranch_vccnz .LBB16_421
; %bb.414:
	v_cmp_lt_i16_e32 vcc_lo, 14, v6
	s_mov_b32 s27, -1
	s_cbranch_vccz .LBB16_418
; %bb.415:
	v_cmp_eq_u16_e32 vcc_lo, 15, v6
	s_mov_b32 s2, -1
	s_cbranch_vccz .LBB16_417
; %bb.416:
	v_bfe_u32 v3, v2, 16, 1
	v_cmp_o_f32_e32 vcc_lo, v2, v2
	s_mov_b32 s26, -1
	s_mov_b32 s2, 0
	s_delay_alu instid0(VALU_DEP_2) | instskip(NEXT) | instid1(VALU_DEP_1)
	v_add3_u32 v3, v2, v3, 0x7fff
	v_lshrrev_b32_e32 v3, 16, v3
	s_delay_alu instid0(VALU_DEP_1)
	v_cndmask_b32_e32 v3, 0x7fc0, v3, vcc_lo
	global_store_b16 v[0:1], v3, off
.LBB16_417:
	s_mov_b32 s27, 0
.LBB16_418:
	s_delay_alu instid0(SALU_CYCLE_1)
	s_and_b32 vcc_lo, exec_lo, s27
	s_cbranch_vccz .LBB16_421
; %bb.419:
	v_cmp_eq_u16_e32 vcc_lo, 11, v6
	s_mov_b32 s2, -1
	s_cbranch_vccz .LBB16_421
; %bb.420:
	v_cmp_neq_f32_e32 vcc_lo, 0, v2
	s_mov_b32 s2, 0
	s_mov_b32 s26, -1
	v_cndmask_b32_e64 v3, 0, 1, vcc_lo
	global_store_b8 v[0:1], v3, off
.LBB16_421:
.LBB16_422:
	s_and_not1_b32 vcc_lo, exec_lo, s26
	s_cbranch_vccnz .LBB16_337
.LBB16_423:
	v_add_nc_u32_e32 v5, 0x80, v5
	s_mov_b32 s26, -1
	s_branch .LBB16_536
.LBB16_424:
	s_mov_b32 s3, -1
                                        ; implicit-def: $vgpr3
.LBB16_425:
	s_mov_b32 s26, 0
.LBB16_426:
	s_delay_alu instid0(SALU_CYCLE_1)
	s_and_b32 vcc_lo, exec_lo, s26
	s_cbranch_vccz .LBB16_430
; %bb.427:
	v_cmp_eq_u16_e32 vcc_lo, 29, v4
	s_cbranch_vccz .LBB16_429
; %bb.428:
	global_load_b64 v[6:7], v[1:2], off
	s_mov_b32 s2, -1
	s_mov_b32 s3, 0
	s_mov_b32 s26, 0
	s_waitcnt vmcnt(0)
	v_clz_i32_u32_e32 v3, v7
	s_delay_alu instid0(VALU_DEP_1) | instskip(NEXT) | instid1(VALU_DEP_1)
	v_min_u32_e32 v3, 32, v3
	v_lshlrev_b64 v[6:7], v3, v[6:7]
	v_sub_nc_u32_e32 v3, 32, v3
	s_delay_alu instid0(VALU_DEP_2) | instskip(NEXT) | instid1(VALU_DEP_1)
	v_min_u32_e32 v6, 1, v6
	v_or_b32_e32 v6, v7, v6
	s_delay_alu instid0(VALU_DEP_1) | instskip(NEXT) | instid1(VALU_DEP_1)
	v_cvt_f32_u32_e32 v6, v6
	v_ldexp_f32 v3, v6, v3
	s_branch .LBB16_431
.LBB16_429:
	s_mov_b32 s3, -1
                                        ; implicit-def: $vgpr3
.LBB16_430:
	s_mov_b32 s26, 0
.LBB16_431:
	s_delay_alu instid0(SALU_CYCLE_1)
	s_and_b32 vcc_lo, exec_lo, s26
	s_cbranch_vccz .LBB16_449
; %bb.432:
	v_cmp_gt_i16_e32 vcc_lo, 27, v4
	s_cbranch_vccnz .LBB16_435
; %bb.433:
	v_cmp_lt_i16_e32 vcc_lo, 27, v4
	s_cbranch_vccz .LBB16_436
; %bb.434:
	global_load_b32 v3, v[1:2], off
	s_mov_b32 s2, 0
	s_waitcnt vmcnt(0)
	v_cvt_f32_u32_e32 v3, v3
	s_branch .LBB16_437
.LBB16_435:
	s_mov_b32 s2, -1
                                        ; implicit-def: $vgpr3
	s_branch .LBB16_440
.LBB16_436:
	s_mov_b32 s2, -1
                                        ; implicit-def: $vgpr3
.LBB16_437:
	s_delay_alu instid0(SALU_CYCLE_1)
	s_and_not1_b32 vcc_lo, exec_lo, s2
	s_cbranch_vccnz .LBB16_439
; %bb.438:
	global_load_u16 v3, v[1:2], off
	s_waitcnt vmcnt(0)
	v_cvt_f32_u32_e32 v3, v3
.LBB16_439:
	s_mov_b32 s2, 0
.LBB16_440:
	s_delay_alu instid0(SALU_CYCLE_1)
	s_and_not1_b32 vcc_lo, exec_lo, s2
	s_cbranch_vccnz .LBB16_448
; %bb.441:
	global_load_u8 v6, v[1:2], off
	s_mov_b32 s2, 0
	s_mov_b32 s27, exec_lo
                                        ; implicit-def: $sgpr26
	s_waitcnt vmcnt(0)
	v_cmpx_lt_i16_e32 0x7f, v6
	s_xor_b32 s27, exec_lo, s27
	s_cbranch_execz .LBB16_462
; %bb.442:
	s_mov_b32 s2, -1
	s_mov_b32 s42, exec_lo
                                        ; implicit-def: $sgpr26
	v_cmpx_eq_u16_e32 0x80, v6
; %bb.443:
	s_mov_b32 s26, 0x7f800001
	s_xor_b32 s2, exec_lo, -1
; %bb.444:
	s_or_b32 exec_lo, exec_lo, s42
	s_delay_alu instid0(SALU_CYCLE_1)
	s_and_b32 s2, s2, exec_lo
	s_or_saveexec_b32 s27, s27
	v_mov_b32_e32 v3, s26
	s_xor_b32 exec_lo, exec_lo, s27
	s_cbranch_execnz .LBB16_463
.LBB16_445:
	s_or_b32 exec_lo, exec_lo, s27
	s_and_saveexec_b32 s26, s2
	s_cbranch_execz .LBB16_447
.LBB16_446:
	v_and_b32_e32 v3, 0xffff, v6
	s_delay_alu instid0(VALU_DEP_1) | instskip(NEXT) | instid1(VALU_DEP_1)
	v_and_b32_e32 v7, 7, v3
	v_clz_i32_u32_e32 v8, v7
	s_delay_alu instid0(VALU_DEP_1) | instskip(NEXT) | instid1(VALU_DEP_1)
	v_min_u32_e32 v8, 32, v8
	v_subrev_nc_u32_e32 v9, 28, v8
	v_sub_nc_u32_e32 v8, 29, v8
	s_delay_alu instid0(VALU_DEP_2) | instskip(SKIP_1) | instid1(VALU_DEP_2)
	v_lshlrev_b32_e32 v9, v9, v3
	v_bfe_u32 v3, v3, 3, 4
	v_and_b32_e32 v9, 7, v9
	s_delay_alu instid0(VALU_DEP_2) | instskip(SKIP_1) | instid1(VALU_DEP_1)
	v_cmp_eq_u32_e32 vcc_lo, 0, v3
	v_dual_cndmask_b32 v3, v3, v8 :: v_dual_lshlrev_b32 v6, 24, v6
	v_dual_cndmask_b32 v7, v7, v9 :: v_dual_and_b32 v6, 0x80000000, v6
	s_delay_alu instid0(VALU_DEP_2) | instskip(NEXT) | instid1(VALU_DEP_2)
	v_lshl_add_u32 v3, v3, 23, 0x3b800000
	v_lshlrev_b32_e32 v7, 20, v7
	s_delay_alu instid0(VALU_DEP_1)
	v_or3_b32 v3, v6, v3, v7
.LBB16_447:
	s_or_b32 exec_lo, exec_lo, s26
.LBB16_448:
	s_mov_b32 s2, -1
.LBB16_449:
	s_mov_b32 s26, 0
.LBB16_450:
	s_delay_alu instid0(SALU_CYCLE_1)
	s_and_b32 vcc_lo, exec_lo, s26
	s_cbranch_vccz .LBB16_485
; %bb.451:
	v_cmp_lt_i16_e32 vcc_lo, 22, v4
	s_cbranch_vccz .LBB16_461
; %bb.452:
	v_cmp_gt_i16_e32 vcc_lo, 24, v4
	s_cbranch_vccnz .LBB16_464
; %bb.453:
	v_cmp_lt_i16_e32 vcc_lo, 24, v4
	s_cbranch_vccz .LBB16_465
; %bb.454:
	global_load_u8 v6, v[1:2], off
	s_mov_b32 s2, 0
	s_mov_b32 s27, exec_lo
                                        ; implicit-def: $sgpr26
	s_waitcnt vmcnt(0)
	v_cmpx_lt_i16_e32 0x7f, v6
	s_xor_b32 s27, exec_lo, s27
	s_cbranch_execz .LBB16_477
; %bb.455:
	s_mov_b32 s2, -1
	s_mov_b32 s42, exec_lo
                                        ; implicit-def: $sgpr26
	v_cmpx_eq_u16_e32 0x80, v6
; %bb.456:
	s_mov_b32 s26, 0x7f800001
	s_xor_b32 s2, exec_lo, -1
; %bb.457:
	s_or_b32 exec_lo, exec_lo, s42
	s_delay_alu instid0(SALU_CYCLE_1)
	s_and_b32 s2, s2, exec_lo
	s_or_saveexec_b32 s27, s27
	v_mov_b32_e32 v3, s26
	s_xor_b32 exec_lo, exec_lo, s27
	s_cbranch_execnz .LBB16_478
.LBB16_458:
	s_or_b32 exec_lo, exec_lo, s27
	s_and_saveexec_b32 s26, s2
	s_cbranch_execz .LBB16_460
.LBB16_459:
	v_and_b32_e32 v3, 0xffff, v6
	s_delay_alu instid0(VALU_DEP_1) | instskip(NEXT) | instid1(VALU_DEP_1)
	v_and_b32_e32 v7, 3, v3
	v_clz_i32_u32_e32 v8, v7
	s_delay_alu instid0(VALU_DEP_1) | instskip(NEXT) | instid1(VALU_DEP_1)
	v_min_u32_e32 v8, 32, v8
	v_subrev_nc_u32_e32 v9, 29, v8
	v_sub_nc_u32_e32 v8, 30, v8
	s_delay_alu instid0(VALU_DEP_2) | instskip(SKIP_1) | instid1(VALU_DEP_2)
	v_lshlrev_b32_e32 v9, v9, v3
	v_bfe_u32 v3, v3, 2, 5
	v_and_b32_e32 v9, 3, v9
	s_delay_alu instid0(VALU_DEP_2) | instskip(SKIP_1) | instid1(VALU_DEP_1)
	v_cmp_eq_u32_e32 vcc_lo, 0, v3
	v_dual_cndmask_b32 v3, v3, v8 :: v_dual_lshlrev_b32 v6, 24, v6
	v_dual_cndmask_b32 v7, v7, v9 :: v_dual_and_b32 v6, 0x80000000, v6
	s_delay_alu instid0(VALU_DEP_2) | instskip(NEXT) | instid1(VALU_DEP_2)
	v_lshl_add_u32 v3, v3, 23, 0x37800000
	v_lshlrev_b32_e32 v7, 21, v7
	s_delay_alu instid0(VALU_DEP_1)
	v_or3_b32 v3, v6, v3, v7
.LBB16_460:
	s_or_b32 exec_lo, exec_lo, s26
	s_mov_b32 s2, 0
	s_branch .LBB16_466
.LBB16_461:
	s_mov_b32 s26, -1
                                        ; implicit-def: $vgpr3
	s_branch .LBB16_472
.LBB16_462:
	s_or_saveexec_b32 s27, s27
	v_mov_b32_e32 v3, s26
	s_xor_b32 exec_lo, exec_lo, s27
	s_cbranch_execz .LBB16_445
.LBB16_463:
	v_cmp_ne_u16_e32 vcc_lo, 0, v6
	v_mov_b32_e32 v3, 0
	s_and_not1_b32 s2, s2, exec_lo
	s_and_b32 s26, vcc_lo, exec_lo
	s_delay_alu instid0(SALU_CYCLE_1)
	s_or_b32 s2, s2, s26
	s_or_b32 exec_lo, exec_lo, s27
	s_and_saveexec_b32 s26, s2
	s_cbranch_execnz .LBB16_446
	s_branch .LBB16_447
.LBB16_464:
	s_mov_b32 s2, -1
                                        ; implicit-def: $vgpr3
	s_branch .LBB16_469
.LBB16_465:
	s_mov_b32 s2, -1
                                        ; implicit-def: $vgpr3
.LBB16_466:
	s_delay_alu instid0(SALU_CYCLE_1)
	s_and_b32 vcc_lo, exec_lo, s2
	s_cbranch_vccz .LBB16_468
; %bb.467:
	global_load_u8 v3, v[1:2], off
	s_waitcnt vmcnt(0)
	v_lshlrev_b32_e32 v3, 24, v3
	s_delay_alu instid0(VALU_DEP_1) | instskip(NEXT) | instid1(VALU_DEP_1)
	v_and_b32_e32 v6, 0x7f000000, v3
	v_clz_i32_u32_e32 v7, v6
	v_cmp_ne_u32_e32 vcc_lo, 0, v6
	v_add_nc_u32_e32 v9, 0x1000000, v6
	s_delay_alu instid0(VALU_DEP_3) | instskip(NEXT) | instid1(VALU_DEP_1)
	v_min_u32_e32 v7, 32, v7
	v_sub_nc_u32_e64 v7, v7, 4 clamp
	s_delay_alu instid0(VALU_DEP_1) | instskip(SKIP_1) | instid1(VALU_DEP_2)
	v_lshlrev_b32_e32 v8, v7, v6
	v_lshlrev_b32_e32 v7, 23, v7
	v_lshrrev_b32_e32 v8, 4, v8
	s_delay_alu instid0(VALU_DEP_1) | instskip(SKIP_1) | instid1(VALU_DEP_2)
	v_sub_nc_u32_e32 v7, v8, v7
	v_ashrrev_i32_e32 v8, 8, v9
	v_add_nc_u32_e32 v7, 0x3c000000, v7
	s_delay_alu instid0(VALU_DEP_1) | instskip(NEXT) | instid1(VALU_DEP_1)
	v_and_or_b32 v7, 0x7f800000, v8, v7
	v_cndmask_b32_e32 v6, 0, v7, vcc_lo
	s_delay_alu instid0(VALU_DEP_1)
	v_and_or_b32 v3, 0x80000000, v3, v6
.LBB16_468:
	s_mov_b32 s2, 0
.LBB16_469:
	s_delay_alu instid0(SALU_CYCLE_1)
	s_and_not1_b32 vcc_lo, exec_lo, s2
	s_cbranch_vccnz .LBB16_471
; %bb.470:
	global_load_u8 v3, v[1:2], off
	s_waitcnt vmcnt(0)
	v_lshlrev_b32_e32 v6, 25, v3
	v_lshlrev_b16 v3, 8, v3
	s_delay_alu instid0(VALU_DEP_2) | instskip(NEXT) | instid1(VALU_DEP_2)
	v_lshrrev_b32_e32 v7, 4, v6
	v_and_or_b32 v8, 0x7f00, v3, 0.5
	v_cmp_gt_u32_e32 vcc_lo, 0x8000000, v6
	v_bfe_i32 v3, v3, 0, 16
	s_delay_alu instid0(VALU_DEP_4) | instskip(NEXT) | instid1(VALU_DEP_1)
	v_or_b32_e32 v7, 0x70000000, v7
	v_dual_add_f32 v8, -0.5, v8 :: v_dual_mul_f32 v7, 0x7800000, v7
	s_delay_alu instid0(VALU_DEP_1) | instskip(NEXT) | instid1(VALU_DEP_1)
	v_cndmask_b32_e32 v6, v7, v8, vcc_lo
	v_and_or_b32 v3, 0x80000000, v3, v6
.LBB16_471:
	s_mov_b32 s26, 0
	s_mov_b32 s2, -1
.LBB16_472:
	s_and_not1_b32 vcc_lo, exec_lo, s26
	s_cbranch_vccnz .LBB16_485
; %bb.473:
	v_cmp_lt_i16_e32 vcc_lo, 14, v4
	s_cbranch_vccz .LBB16_476
; %bb.474:
	v_cmp_eq_u16_e32 vcc_lo, 15, v4
	s_cbranch_vccz .LBB16_479
; %bb.475:
	global_load_u16 v3, v[1:2], off
	s_mov_b32 s2, -1
	s_mov_b32 s3, 0
	s_waitcnt vmcnt(0)
	v_lshlrev_b32_e32 v3, 16, v3
	s_branch .LBB16_480
.LBB16_476:
	s_mov_b32 s26, -1
                                        ; implicit-def: $vgpr3
	s_branch .LBB16_481
.LBB16_477:
	s_or_saveexec_b32 s27, s27
	v_mov_b32_e32 v3, s26
	s_xor_b32 exec_lo, exec_lo, s27
	s_cbranch_execz .LBB16_458
.LBB16_478:
	v_cmp_ne_u16_e32 vcc_lo, 0, v6
	v_mov_b32_e32 v3, 0
	s_and_not1_b32 s2, s2, exec_lo
	s_and_b32 s26, vcc_lo, exec_lo
	s_delay_alu instid0(SALU_CYCLE_1)
	s_or_b32 s2, s2, s26
	s_or_b32 exec_lo, exec_lo, s27
	s_and_saveexec_b32 s26, s2
	s_cbranch_execnz .LBB16_459
	s_branch .LBB16_460
.LBB16_479:
	s_mov_b32 s3, -1
                                        ; implicit-def: $vgpr3
.LBB16_480:
	s_mov_b32 s26, 0
.LBB16_481:
	s_delay_alu instid0(SALU_CYCLE_1)
	s_and_b32 vcc_lo, exec_lo, s26
	s_cbranch_vccz .LBB16_485
; %bb.482:
	v_cmp_eq_u16_e32 vcc_lo, 11, v4
	s_cbranch_vccz .LBB16_484
; %bb.483:
	global_load_u8 v3, v[1:2], off
	s_mov_b32 s3, 0
	s_mov_b32 s2, -1
	s_waitcnt vmcnt(0)
	v_cmp_ne_u16_e32 vcc_lo, 0, v3
	v_cndmask_b32_e64 v3, 0, 1.0, vcc_lo
	s_branch .LBB16_485
.LBB16_484:
	s_mov_b32 s3, -1
                                        ; implicit-def: $vgpr3
.LBB16_485:
	s_branch .LBB16_288
.LBB16_486:
	v_cmp_gt_i16_e32 vcc_lo, 5, v4
	s_cbranch_vccnz .LBB16_491
; %bb.487:
	v_cmp_gt_i16_e32 vcc_lo, 8, v4
	s_cbranch_vccnz .LBB16_492
; %bb.488:
	;; [unrolled: 3-line block ×3, first 2 shown]
	v_cmp_lt_i16_e32 vcc_lo, 9, v4
	s_cbranch_vccz .LBB16_494
; %bb.490:
	global_load_b64 v[6:7], v[1:2], off
	s_mov_b32 s2, 0
	s_waitcnt vmcnt(0)
	v_cvt_f32_f64_e32 v3, v[6:7]
	s_branch .LBB16_495
.LBB16_491:
	s_mov_b32 s2, -1
                                        ; implicit-def: $vgpr3
	s_branch .LBB16_513
.LBB16_492:
	s_mov_b32 s2, -1
                                        ; implicit-def: $vgpr3
	s_branch .LBB16_501
.LBB16_493:
	s_mov_b32 s2, -1
                                        ; implicit-def: $vgpr3
	s_branch .LBB16_498
.LBB16_494:
	s_mov_b32 s2, -1
                                        ; implicit-def: $vgpr3
.LBB16_495:
	s_delay_alu instid0(SALU_CYCLE_1)
	s_and_not1_b32 vcc_lo, exec_lo, s2
	s_cbranch_vccnz .LBB16_497
; %bb.496:
	global_load_b32 v3, v[1:2], off
.LBB16_497:
	s_mov_b32 s2, 0
.LBB16_498:
	s_delay_alu instid0(SALU_CYCLE_1)
	s_and_not1_b32 vcc_lo, exec_lo, s2
	s_cbranch_vccnz .LBB16_500
; %bb.499:
	global_load_b32 v3, v[1:2], off
	s_waitcnt vmcnt(0)
	v_cvt_f32_f16_e32 v3, v3
.LBB16_500:
	s_mov_b32 s2, 0
.LBB16_501:
	s_delay_alu instid0(SALU_CYCLE_1)
	s_and_not1_b32 vcc_lo, exec_lo, s2
	s_cbranch_vccnz .LBB16_512
; %bb.502:
	v_cmp_gt_i16_e32 vcc_lo, 6, v4
	s_cbranch_vccnz .LBB16_505
; %bb.503:
	v_cmp_lt_i16_e32 vcc_lo, 6, v4
	s_cbranch_vccz .LBB16_506
; %bb.504:
	global_load_b64 v[6:7], v[1:2], off
	s_mov_b32 s2, 0
	s_waitcnt vmcnt(0)
	v_cvt_f32_f64_e32 v3, v[6:7]
	s_branch .LBB16_507
.LBB16_505:
	s_mov_b32 s2, -1
                                        ; implicit-def: $vgpr3
	s_branch .LBB16_510
.LBB16_506:
	s_mov_b32 s2, -1
                                        ; implicit-def: $vgpr3
.LBB16_507:
	s_delay_alu instid0(SALU_CYCLE_1)
	s_and_not1_b32 vcc_lo, exec_lo, s2
	s_cbranch_vccnz .LBB16_509
; %bb.508:
	global_load_b32 v3, v[1:2], off
.LBB16_509:
	s_mov_b32 s2, 0
.LBB16_510:
	s_delay_alu instid0(SALU_CYCLE_1)
	s_and_not1_b32 vcc_lo, exec_lo, s2
	s_cbranch_vccnz .LBB16_512
; %bb.511:
	global_load_u16 v3, v[1:2], off
	s_waitcnt vmcnt(0)
	v_cvt_f32_f16_e32 v3, v3
.LBB16_512:
	s_mov_b32 s2, 0
.LBB16_513:
	s_delay_alu instid0(SALU_CYCLE_1)
	s_and_not1_b32 vcc_lo, exec_lo, s2
	s_cbranch_vccnz .LBB16_533
; %bb.514:
	v_cmp_gt_i16_e32 vcc_lo, 2, v4
	s_cbranch_vccnz .LBB16_518
; %bb.515:
	v_cmp_gt_i16_e32 vcc_lo, 3, v4
	s_cbranch_vccnz .LBB16_519
; %bb.516:
	v_cmp_lt_i16_e32 vcc_lo, 3, v4
	s_cbranch_vccz .LBB16_520
; %bb.517:
	global_load_b64 v[6:7], v[1:2], off
	s_mov_b32 s2, 0
	s_waitcnt vmcnt(0)
	v_xor_b32_e32 v3, v6, v7
	v_cls_i32_e32 v8, v7
	s_delay_alu instid0(VALU_DEP_2) | instskip(NEXT) | instid1(VALU_DEP_2)
	v_ashrrev_i32_e32 v3, 31, v3
	v_add_nc_u32_e32 v8, -1, v8
	s_delay_alu instid0(VALU_DEP_2) | instskip(NEXT) | instid1(VALU_DEP_1)
	v_add_nc_u32_e32 v3, 32, v3
	v_min_u32_e32 v3, v8, v3
	s_delay_alu instid0(VALU_DEP_1) | instskip(SKIP_1) | instid1(VALU_DEP_2)
	v_lshlrev_b64 v[6:7], v3, v[6:7]
	v_sub_nc_u32_e32 v3, 32, v3
	v_min_u32_e32 v6, 1, v6
	s_delay_alu instid0(VALU_DEP_1) | instskip(NEXT) | instid1(VALU_DEP_1)
	v_or_b32_e32 v6, v7, v6
	v_cvt_f32_i32_e32 v6, v6
	s_delay_alu instid0(VALU_DEP_1)
	v_ldexp_f32 v3, v6, v3
	s_branch .LBB16_521
.LBB16_518:
	s_mov_b32 s2, -1
                                        ; implicit-def: $vgpr3
	s_branch .LBB16_527
.LBB16_519:
	s_mov_b32 s2, -1
                                        ; implicit-def: $vgpr3
	s_branch .LBB16_524
.LBB16_520:
	s_mov_b32 s2, -1
                                        ; implicit-def: $vgpr3
.LBB16_521:
	s_delay_alu instid0(SALU_CYCLE_1)
	s_and_not1_b32 vcc_lo, exec_lo, s2
	s_cbranch_vccnz .LBB16_523
; %bb.522:
	global_load_b32 v3, v[1:2], off
	s_waitcnt vmcnt(0)
	v_cvt_f32_i32_e32 v3, v3
.LBB16_523:
	s_mov_b32 s2, 0
.LBB16_524:
	s_delay_alu instid0(SALU_CYCLE_1)
	s_and_not1_b32 vcc_lo, exec_lo, s2
	s_cbranch_vccnz .LBB16_526
; %bb.525:
	global_load_i16 v3, v[1:2], off
	s_waitcnt vmcnt(0)
	v_cvt_f32_i32_e32 v3, v3
.LBB16_526:
	s_mov_b32 s2, 0
.LBB16_527:
	s_delay_alu instid0(SALU_CYCLE_1)
	s_and_not1_b32 vcc_lo, exec_lo, s2
	s_cbranch_vccnz .LBB16_533
; %bb.528:
	v_cmp_lt_i16_e32 vcc_lo, 0, v4
	s_mov_b32 s2, 0
	s_cbranch_vccz .LBB16_530
; %bb.529:
	global_load_i8 v3, v[1:2], off
	s_waitcnt vmcnt(0)
	v_cvt_f32_i32_e32 v3, v3
	s_branch .LBB16_531
.LBB16_530:
	s_mov_b32 s2, -1
                                        ; implicit-def: $vgpr3
.LBB16_531:
	s_delay_alu instid0(SALU_CYCLE_1)
	s_and_not1_b32 vcc_lo, exec_lo, s2
	s_cbranch_vccnz .LBB16_533
; %bb.532:
	global_load_u8 v1, v[1:2], off
	s_waitcnt vmcnt(0)
	v_cvt_f32_ubyte0_e32 v3, v1
.LBB16_533:
	s_branch .LBB16_289
.LBB16_534:
	s_mov_b32 s26, 0
	s_mov_b32 s2, s39
.LBB16_535:
                                        ; implicit-def: $vgpr5
.LBB16_536:
	s_and_not1_b32 s27, s39, exec_lo
	s_and_b32 s2, s2, exec_lo
	s_and_not1_b32 s42, s40, exec_lo
	s_and_b32 s3, s3, exec_lo
	s_or_b32 s43, s27, s2
	s_or_b32 s42, s42, s3
	s_or_not1_b32 s2, s26, exec_lo
.LBB16_537:
	s_or_b32 exec_lo, exec_lo, s44
	s_mov_b32 s3, 0
	s_mov_b32 s27, 0
	;; [unrolled: 1-line block ×3, first 2 shown]
                                        ; implicit-def: $vgpr1_vgpr2
                                        ; implicit-def: $vgpr0
                                        ; implicit-def: $vgpr6
	s_and_saveexec_b32 s44, s2
	s_cbranch_execz .LBB16_911
; %bb.538:
	s_mov_b32 s47, -1
	s_mov_b32 s26, s42
	s_mov_b32 s27, s43
	s_mov_b32 s45, exec_lo
	v_cmpx_gt_i32_e64 s36, v5
	s_cbranch_execz .LBB16_812
; %bb.539:
	s_and_not1_b32 vcc_lo, exec_lo, s31
	s_cbranch_vccnz .LBB16_544
; %bb.540:
	v_dual_mov_b32 v0, 0 :: v_dual_mov_b32 v1, 0
	s_and_not1_b32 vcc_lo, exec_lo, s38
	s_mov_b32 s46, 0
	s_cbranch_vccnz .LBB16_549
; %bb.541:
	v_mov_b32_e32 v0, 0
	s_add_i32 s48, s37, 1
	s_cmp_eq_u32 s29, 2
	s_mov_b32 s47, 0
	s_cbranch_scc1 .LBB16_545
; %bb.542:
	v_dual_mov_b32 v1, 0 :: v_dual_mov_b32 v0, 0
	v_mov_b32_e32 v2, v5
	s_and_b32 s47, s48, 28
	s_mov_b32 s49, 0
	s_mov_b64 s[2:3], s[24:25]
	s_mov_b64 s[26:27], s[20:21]
.LBB16_543:                             ; =>This Inner Loop Header: Depth=1
	s_clause 0x1
	s_load_b256 s[52:59], s[26:27], 0x4
	s_load_b128 s[68:71], s[26:27], 0x24
	s_load_b256 s[60:67], s[2:3], 0x0
	s_add_u32 s26, s26, 48
	s_addc_u32 s27, s27, 0
	s_add_i32 s49, s49, 4
	s_add_u32 s2, s2, 32
	s_addc_u32 s3, s3, 0
	s_cmp_eq_u32 s47, s49
	s_waitcnt vmcnt(0) lgkmcnt(0)
	v_mul_hi_u32 v3, s53, v2
	s_delay_alu instid0(VALU_DEP_1) | instskip(NEXT) | instid1(VALU_DEP_1)
	v_add_nc_u32_e32 v3, v2, v3
	v_lshrrev_b32_e32 v3, s54, v3
	s_delay_alu instid0(VALU_DEP_1) | instskip(SKIP_1) | instid1(VALU_DEP_2)
	v_mul_hi_u32 v6, s56, v3
	v_mul_lo_u32 v8, v3, s52
	v_add_nc_u32_e32 v6, v3, v6
	s_delay_alu instid0(VALU_DEP_2) | instskip(NEXT) | instid1(VALU_DEP_2)
	v_sub_nc_u32_e32 v2, v2, v8
	v_lshrrev_b32_e32 v6, s57, v6
	s_delay_alu instid0(VALU_DEP_2) | instskip(SKIP_1) | instid1(VALU_DEP_3)
	v_mul_lo_u32 v8, v2, s60
	v_mul_lo_u32 v10, v2, s61
	v_mul_hi_u32 v7, s59, v6
	s_delay_alu instid0(VALU_DEP_1) | instskip(NEXT) | instid1(VALU_DEP_1)
	v_add_nc_u32_e32 v7, v6, v7
	v_lshrrev_b32_e32 v7, s68, v7
	s_delay_alu instid0(VALU_DEP_1) | instskip(SKIP_1) | instid1(VALU_DEP_2)
	v_mul_hi_u32 v9, s70, v7
	v_mul_lo_u32 v11, v7, s58
	v_add_nc_u32_e32 v2, v7, v9
	v_mul_lo_u32 v9, v6, s55
	s_delay_alu instid0(VALU_DEP_3) | instskip(NEXT) | instid1(VALU_DEP_3)
	v_sub_nc_u32_e32 v6, v6, v11
	v_lshrrev_b32_e32 v2, s71, v2
	s_delay_alu instid0(VALU_DEP_2) | instskip(SKIP_2) | instid1(VALU_DEP_4)
	v_mul_lo_u32 v11, v6, s64
	v_mul_lo_u32 v6, v6, s65
	v_sub_nc_u32_e32 v3, v3, v9
	v_mul_lo_u32 v12, v2, s69
	s_delay_alu instid0(VALU_DEP_2) | instskip(SKIP_1) | instid1(VALU_DEP_3)
	v_mul_lo_u32 v9, v3, s62
	v_mul_lo_u32 v3, v3, s63
	v_sub_nc_u32_e32 v7, v7, v12
	s_delay_alu instid0(VALU_DEP_3) | instskip(NEXT) | instid1(VALU_DEP_2)
	v_add3_u32 v0, v8, v0, v9
	v_mul_lo_u32 v12, v7, s66
	v_mul_lo_u32 v7, v7, s67
	v_add3_u32 v1, v10, v1, v3
	s_delay_alu instid0(VALU_DEP_3) | instskip(NEXT) | instid1(VALU_DEP_2)
	v_add3_u32 v0, v11, v0, v12
	v_add3_u32 v1, v6, v1, v7
	s_cbranch_scc0 .LBB16_543
	s_branch .LBB16_546
.LBB16_544:
	s_mov_b32 s46, -1
                                        ; implicit-def: $vgpr0
                                        ; implicit-def: $vgpr1
	s_branch .LBB16_549
.LBB16_545:
	v_dual_mov_b32 v2, v5 :: v_dual_mov_b32 v1, 0
.LBB16_546:
	s_and_b32 s48, s48, 3
	s_delay_alu instid0(SALU_CYCLE_1)
	s_cmp_eq_u32 s48, 0
	s_cbranch_scc1 .LBB16_549
; %bb.547:
	s_lshl_b32 s2, s47, 3
	s_mul_i32 s26, s47, 12
	s_add_u32 s2, s2, s20
	s_addc_u32 s3, s21, 0
	s_add_u32 s2, s2, 0xc4
	s_addc_u32 s3, s3, 0
	;; [unrolled: 2-line block ×3, first 2 shown]
	.p2align	6
.LBB16_548:                             ; =>This Inner Loop Header: Depth=1
	s_clause 0x1
	s_load_b64 s[50:51], s[26:27], 0x4
	s_load_b32 s47, s[26:27], 0xc
	s_load_b64 s[52:53], s[2:3], 0x0
	s_add_u32 s26, s26, 12
	s_addc_u32 s27, s27, 0
	s_add_u32 s2, s2, 8
	s_addc_u32 s3, s3, 0
	s_add_i32 s48, s48, -1
	s_delay_alu instid0(SALU_CYCLE_1) | instskip(SKIP_2) | instid1(VALU_DEP_1)
	s_cmp_lg_u32 s48, 0
	s_waitcnt vmcnt(0) lgkmcnt(0)
	v_mul_hi_u32 v3, s51, v2
	v_add_nc_u32_e32 v3, v2, v3
	s_delay_alu instid0(VALU_DEP_1) | instskip(NEXT) | instid1(VALU_DEP_1)
	v_lshrrev_b32_e32 v3, s47, v3
	v_mul_lo_u32 v6, v3, s50
	s_delay_alu instid0(VALU_DEP_1) | instskip(NEXT) | instid1(VALU_DEP_1)
	v_sub_nc_u32_e32 v2, v2, v6
	v_mad_u64_u32 v[6:7], null, v2, s52, v[0:1]
	v_mad_u64_u32 v[7:8], null, v2, s53, v[1:2]
	v_mov_b32_e32 v2, v3
	s_delay_alu instid0(VALU_DEP_2)
	v_dual_mov_b32 v0, v6 :: v_dual_mov_b32 v1, v7
	s_cbranch_scc1 .LBB16_548
.LBB16_549:
	s_and_not1_b32 vcc_lo, exec_lo, s46
	s_cbranch_vccnz .LBB16_552
; %bb.550:
	v_mul_hi_u32 v0, s17, v5
	s_and_not1_b32 vcc_lo, exec_lo, s35
	s_delay_alu instid0(VALU_DEP_1) | instskip(NEXT) | instid1(VALU_DEP_1)
	v_add_nc_u32_e32 v0, v5, v0
	v_lshrrev_b32_e32 v2, s18, v0
	s_delay_alu instid0(VALU_DEP_1) | instskip(NEXT) | instid1(VALU_DEP_1)
	v_mul_lo_u32 v0, v2, s16
	v_sub_nc_u32_e32 v1, v5, v0
	s_delay_alu instid0(VALU_DEP_1)
	v_mul_lo_u32 v0, v1, s12
	v_mul_lo_u32 v1, v1, s13
	s_cbranch_vccnz .LBB16_552
; %bb.551:
	s_waitcnt vmcnt(0)
	v_mul_hi_u32 v3, s22, v2
	s_delay_alu instid0(VALU_DEP_1) | instskip(NEXT) | instid1(VALU_DEP_1)
	v_add_nc_u32_e32 v3, v2, v3
	v_lshrrev_b32_e32 v3, s23, v3
	s_delay_alu instid0(VALU_DEP_1) | instskip(NEXT) | instid1(VALU_DEP_1)
	v_mul_lo_u32 v3, v3, s19
	v_sub_nc_u32_e32 v8, v2, v3
	s_delay_alu instid0(VALU_DEP_1) | instskip(NEXT) | instid1(VALU_DEP_1)
	v_mad_u64_u32 v[2:3], null, v8, s14, v[0:1]
	v_mad_u64_u32 v[6:7], null, v8, s15, v[1:2]
	v_mov_b32_e32 v0, v2
	s_delay_alu instid0(VALU_DEP_2)
	v_mov_b32_e32 v1, v6
.LBB16_552:
	v_cmp_gt_i16_e32 vcc_lo, 11, v4
	s_delay_alu instid0(VALU_DEP_2) | instskip(NEXT) | instid1(VALU_DEP_1)
	v_add_co_u32 v1, s2, s6, v1
	v_add_co_ci_u32_e64 v2, null, s7, 0, s2
	s_mov_b32 s2, 0
	s_cbranch_vccnz .LBB16_559
; %bb.553:
	v_cmp_lt_i16_e32 vcc_lo, 25, v4
	s_cbranch_vccz .LBB16_560
; %bb.554:
	v_cmp_lt_i16_e32 vcc_lo, 28, v4
	s_cbranch_vccz .LBB16_561
	;; [unrolled: 3-line block ×4, first 2 shown]
; %bb.557:
	v_cmp_eq_u16_e32 vcc_lo, 46, v4
	s_mov_b32 s26, 0
	s_cbranch_vccz .LBB16_568
; %bb.558:
	global_load_b32 v3, v[1:2], off
	s_mov_b32 s2, -1
	s_mov_b32 s3, 0
	s_waitcnt vmcnt(0)
	v_lshlrev_b32_e32 v3, 16, v3
	s_branch .LBB16_570
.LBB16_559:
	s_mov_b32 s26, -1
	s_mov_b32 s3, s42
                                        ; implicit-def: $vgpr3
	s_branch .LBB16_635
.LBB16_560:
	s_mov_b32 s26, -1
	s_mov_b32 s3, s42
                                        ; implicit-def: $vgpr3
	s_branch .LBB16_599
.LBB16_561:
	s_mov_b32 s26, -1
	s_mov_b32 s3, s42
                                        ; implicit-def: $vgpr3
	s_branch .LBB16_580
.LBB16_562:
	s_mov_b32 s26, -1
	s_mov_b32 s3, s42
                                        ; implicit-def: $vgpr3
	s_branch .LBB16_575
.LBB16_563:
	s_or_saveexec_b32 s42, s42
                                        ; implicit-def: $sgpr43
	s_delay_alu instid0(SALU_CYCLE_1)
	s_xor_b32 exec_lo, exec_lo, s42
	s_cbranch_execz .LBB16_374
.LBB16_564:
	v_add_f32_e64 v3, 0x46000000, |v2|
	s_and_not1_b32 s27, s27, exec_lo
	s_mov_b32 s43, 0
	s_delay_alu instid0(VALU_DEP_1) | instskip(NEXT) | instid1(VALU_DEP_1)
	v_and_b32_e32 v3, 0xff, v3
	v_cmp_ne_u32_e32 vcc_lo, 0, v3
	s_and_b32 s45, vcc_lo, exec_lo
	s_delay_alu instid0(SALU_CYCLE_1)
	s_or_b32 s27, s27, s45
	s_or_b32 exec_lo, exec_lo, s42
	v_mov_b32_e32 v7, s43
	s_and_saveexec_b32 s42, s27
	s_cbranch_execnz .LBB16_375
	s_branch .LBB16_376
.LBB16_565:
	s_mov_b32 s26, -1
	s_mov_b32 s3, s42
	s_branch .LBB16_569
.LBB16_566:
	s_or_saveexec_b32 s42, s42
                                        ; implicit-def: $sgpr43
	s_delay_alu instid0(SALU_CYCLE_1)
	s_xor_b32 exec_lo, exec_lo, s42
	s_cbranch_execz .LBB16_387
.LBB16_567:
	v_add_f32_e64 v3, 0x42800000, |v2|
	s_and_not1_b32 s27, s27, exec_lo
	s_mov_b32 s43, 0
	s_delay_alu instid0(VALU_DEP_1) | instskip(NEXT) | instid1(VALU_DEP_1)
	v_and_b32_e32 v3, 0xff, v3
	v_cmp_ne_u32_e32 vcc_lo, 0, v3
	s_and_b32 s45, vcc_lo, exec_lo
	s_delay_alu instid0(SALU_CYCLE_1)
	s_or_b32 s27, s27, s45
	s_or_b32 exec_lo, exec_lo, s42
	v_mov_b32_e32 v7, s43
	s_and_saveexec_b32 s42, s27
	s_cbranch_execnz .LBB16_388
	s_branch .LBB16_389
.LBB16_568:
	s_mov_b32 s3, -1
.LBB16_569:
                                        ; implicit-def: $vgpr3
.LBB16_570:
	s_and_b32 vcc_lo, exec_lo, s26
	s_cbranch_vccz .LBB16_574
; %bb.571:
	v_cmp_eq_u16_e32 vcc_lo, 44, v4
	s_cbranch_vccz .LBB16_573
; %bb.572:
	global_load_u8 v3, v[1:2], off
	s_mov_b32 s3, 0
	s_mov_b32 s2, -1
	s_waitcnt vmcnt(0)
	v_lshlrev_b32_e32 v6, 23, v3
	v_cmp_ne_u32_e32 vcc_lo, 0xff, v3
	s_delay_alu instid0(VALU_DEP_2) | instskip(SKIP_1) | instid1(VALU_DEP_2)
	v_cndmask_b32_e32 v6, 0x7f800001, v6, vcc_lo
	v_cmp_ne_u32_e32 vcc_lo, 0, v3
	v_cndmask_b32_e32 v3, 0x400000, v6, vcc_lo
	s_branch .LBB16_574
.LBB16_573:
	s_mov_b32 s3, -1
                                        ; implicit-def: $vgpr3
.LBB16_574:
	s_mov_b32 s26, 0
.LBB16_575:
	s_delay_alu instid0(SALU_CYCLE_1)
	s_and_b32 vcc_lo, exec_lo, s26
	s_cbranch_vccz .LBB16_579
; %bb.576:
	v_cmp_eq_u16_e32 vcc_lo, 29, v4
	s_cbranch_vccz .LBB16_578
; %bb.577:
	global_load_b64 v[6:7], v[1:2], off
	s_mov_b32 s2, -1
	s_mov_b32 s3, 0
	s_mov_b32 s26, 0
	s_waitcnt vmcnt(0)
	v_clz_i32_u32_e32 v3, v7
	s_delay_alu instid0(VALU_DEP_1) | instskip(NEXT) | instid1(VALU_DEP_1)
	v_min_u32_e32 v3, 32, v3
	v_lshlrev_b64 v[6:7], v3, v[6:7]
	v_sub_nc_u32_e32 v3, 32, v3
	s_delay_alu instid0(VALU_DEP_2) | instskip(NEXT) | instid1(VALU_DEP_1)
	v_min_u32_e32 v6, 1, v6
	v_or_b32_e32 v6, v7, v6
	s_delay_alu instid0(VALU_DEP_1) | instskip(NEXT) | instid1(VALU_DEP_1)
	v_cvt_f32_u32_e32 v6, v6
	v_ldexp_f32 v3, v6, v3
	s_branch .LBB16_580
.LBB16_578:
	s_mov_b32 s3, -1
                                        ; implicit-def: $vgpr3
.LBB16_579:
	s_mov_b32 s26, 0
.LBB16_580:
	s_delay_alu instid0(SALU_CYCLE_1)
	s_and_b32 vcc_lo, exec_lo, s26
	s_cbranch_vccz .LBB16_598
; %bb.581:
	v_cmp_gt_i16_e32 vcc_lo, 27, v4
	s_cbranch_vccnz .LBB16_584
; %bb.582:
	v_cmp_lt_i16_e32 vcc_lo, 27, v4
	s_cbranch_vccz .LBB16_585
; %bb.583:
	global_load_b32 v3, v[1:2], off
	s_mov_b32 s2, 0
	s_waitcnt vmcnt(0)
	v_cvt_f32_u32_e32 v3, v3
	s_branch .LBB16_586
.LBB16_584:
	s_mov_b32 s2, -1
                                        ; implicit-def: $vgpr3
	s_branch .LBB16_589
.LBB16_585:
	s_mov_b32 s2, -1
                                        ; implicit-def: $vgpr3
.LBB16_586:
	s_delay_alu instid0(SALU_CYCLE_1)
	s_and_not1_b32 vcc_lo, exec_lo, s2
	s_cbranch_vccnz .LBB16_588
; %bb.587:
	global_load_u16 v3, v[1:2], off
	s_waitcnt vmcnt(0)
	v_cvt_f32_u32_e32 v3, v3
.LBB16_588:
	s_mov_b32 s2, 0
.LBB16_589:
	s_delay_alu instid0(SALU_CYCLE_1)
	s_and_not1_b32 vcc_lo, exec_lo, s2
	s_cbranch_vccnz .LBB16_597
; %bb.590:
	global_load_u8 v6, v[1:2], off
	s_mov_b32 s2, 0
	s_mov_b32 s27, exec_lo
                                        ; implicit-def: $sgpr26
	s_waitcnt vmcnt(0)
	v_cmpx_lt_i16_e32 0x7f, v6
	s_xor_b32 s27, exec_lo, s27
	s_cbranch_execz .LBB16_611
; %bb.591:
	s_mov_b32 s2, -1
	s_mov_b32 s46, exec_lo
                                        ; implicit-def: $sgpr26
	v_cmpx_eq_u16_e32 0x80, v6
; %bb.592:
	s_mov_b32 s26, 0x7f800001
	s_xor_b32 s2, exec_lo, -1
; %bb.593:
	s_or_b32 exec_lo, exec_lo, s46
	s_delay_alu instid0(SALU_CYCLE_1)
	s_and_b32 s2, s2, exec_lo
	s_or_saveexec_b32 s27, s27
	v_mov_b32_e32 v3, s26
	s_xor_b32 exec_lo, exec_lo, s27
	s_cbranch_execnz .LBB16_612
.LBB16_594:
	s_or_b32 exec_lo, exec_lo, s27
	s_and_saveexec_b32 s26, s2
	s_cbranch_execz .LBB16_596
.LBB16_595:
	v_and_b32_e32 v3, 0xffff, v6
	s_delay_alu instid0(VALU_DEP_1) | instskip(NEXT) | instid1(VALU_DEP_1)
	v_and_b32_e32 v7, 7, v3
	v_clz_i32_u32_e32 v8, v7
	s_delay_alu instid0(VALU_DEP_1) | instskip(NEXT) | instid1(VALU_DEP_1)
	v_min_u32_e32 v8, 32, v8
	v_subrev_nc_u32_e32 v9, 28, v8
	v_sub_nc_u32_e32 v8, 29, v8
	s_delay_alu instid0(VALU_DEP_2) | instskip(SKIP_1) | instid1(VALU_DEP_2)
	v_lshlrev_b32_e32 v9, v9, v3
	v_bfe_u32 v3, v3, 3, 4
	v_and_b32_e32 v9, 7, v9
	s_delay_alu instid0(VALU_DEP_2) | instskip(SKIP_1) | instid1(VALU_DEP_1)
	v_cmp_eq_u32_e32 vcc_lo, 0, v3
	v_dual_cndmask_b32 v3, v3, v8 :: v_dual_lshlrev_b32 v6, 24, v6
	v_dual_cndmask_b32 v7, v7, v9 :: v_dual_and_b32 v6, 0x80000000, v6
	s_delay_alu instid0(VALU_DEP_2) | instskip(NEXT) | instid1(VALU_DEP_2)
	v_lshl_add_u32 v3, v3, 23, 0x3b800000
	v_lshlrev_b32_e32 v7, 20, v7
	s_delay_alu instid0(VALU_DEP_1)
	v_or3_b32 v3, v6, v3, v7
.LBB16_596:
	s_or_b32 exec_lo, exec_lo, s26
.LBB16_597:
	s_mov_b32 s2, -1
.LBB16_598:
	s_mov_b32 s26, 0
.LBB16_599:
	s_delay_alu instid0(SALU_CYCLE_1)
	s_and_b32 vcc_lo, exec_lo, s26
	s_cbranch_vccz .LBB16_634
; %bb.600:
	v_cmp_lt_i16_e32 vcc_lo, 22, v4
	s_cbranch_vccz .LBB16_610
; %bb.601:
	v_cmp_gt_i16_e32 vcc_lo, 24, v4
	s_cbranch_vccnz .LBB16_613
; %bb.602:
	v_cmp_lt_i16_e32 vcc_lo, 24, v4
	s_cbranch_vccz .LBB16_614
; %bb.603:
	global_load_u8 v6, v[1:2], off
	s_mov_b32 s2, 0
	s_mov_b32 s27, exec_lo
                                        ; implicit-def: $sgpr26
	s_waitcnt vmcnt(0)
	v_cmpx_lt_i16_e32 0x7f, v6
	s_xor_b32 s27, exec_lo, s27
	s_cbranch_execz .LBB16_626
; %bb.604:
	s_mov_b32 s2, -1
	s_mov_b32 s46, exec_lo
                                        ; implicit-def: $sgpr26
	v_cmpx_eq_u16_e32 0x80, v6
; %bb.605:
	s_mov_b32 s26, 0x7f800001
	s_xor_b32 s2, exec_lo, -1
; %bb.606:
	s_or_b32 exec_lo, exec_lo, s46
	s_delay_alu instid0(SALU_CYCLE_1)
	s_and_b32 s2, s2, exec_lo
	s_or_saveexec_b32 s27, s27
	v_mov_b32_e32 v3, s26
	s_xor_b32 exec_lo, exec_lo, s27
	s_cbranch_execnz .LBB16_627
.LBB16_607:
	s_or_b32 exec_lo, exec_lo, s27
	s_and_saveexec_b32 s26, s2
	s_cbranch_execz .LBB16_609
.LBB16_608:
	v_and_b32_e32 v3, 0xffff, v6
	s_delay_alu instid0(VALU_DEP_1) | instskip(NEXT) | instid1(VALU_DEP_1)
	v_and_b32_e32 v7, 3, v3
	v_clz_i32_u32_e32 v8, v7
	s_delay_alu instid0(VALU_DEP_1) | instskip(NEXT) | instid1(VALU_DEP_1)
	v_min_u32_e32 v8, 32, v8
	v_subrev_nc_u32_e32 v9, 29, v8
	v_sub_nc_u32_e32 v8, 30, v8
	s_delay_alu instid0(VALU_DEP_2) | instskip(SKIP_1) | instid1(VALU_DEP_2)
	v_lshlrev_b32_e32 v9, v9, v3
	v_bfe_u32 v3, v3, 2, 5
	v_and_b32_e32 v9, 3, v9
	s_delay_alu instid0(VALU_DEP_2) | instskip(SKIP_1) | instid1(VALU_DEP_1)
	v_cmp_eq_u32_e32 vcc_lo, 0, v3
	v_dual_cndmask_b32 v3, v3, v8 :: v_dual_lshlrev_b32 v6, 24, v6
	v_dual_cndmask_b32 v7, v7, v9 :: v_dual_and_b32 v6, 0x80000000, v6
	s_delay_alu instid0(VALU_DEP_2) | instskip(NEXT) | instid1(VALU_DEP_2)
	v_lshl_add_u32 v3, v3, 23, 0x37800000
	v_lshlrev_b32_e32 v7, 21, v7
	s_delay_alu instid0(VALU_DEP_1)
	v_or3_b32 v3, v6, v3, v7
.LBB16_609:
	s_or_b32 exec_lo, exec_lo, s26
	s_mov_b32 s2, 0
	s_branch .LBB16_615
.LBB16_610:
	s_mov_b32 s26, -1
                                        ; implicit-def: $vgpr3
	s_branch .LBB16_621
.LBB16_611:
	s_or_saveexec_b32 s27, s27
	v_mov_b32_e32 v3, s26
	s_xor_b32 exec_lo, exec_lo, s27
	s_cbranch_execz .LBB16_594
.LBB16_612:
	v_cmp_ne_u16_e32 vcc_lo, 0, v6
	v_mov_b32_e32 v3, 0
	s_and_not1_b32 s2, s2, exec_lo
	s_and_b32 s26, vcc_lo, exec_lo
	s_delay_alu instid0(SALU_CYCLE_1)
	s_or_b32 s2, s2, s26
	s_or_b32 exec_lo, exec_lo, s27
	s_and_saveexec_b32 s26, s2
	s_cbranch_execnz .LBB16_595
	s_branch .LBB16_596
.LBB16_613:
	s_mov_b32 s2, -1
                                        ; implicit-def: $vgpr3
	s_branch .LBB16_618
.LBB16_614:
	s_mov_b32 s2, -1
                                        ; implicit-def: $vgpr3
.LBB16_615:
	s_delay_alu instid0(SALU_CYCLE_1)
	s_and_b32 vcc_lo, exec_lo, s2
	s_cbranch_vccz .LBB16_617
; %bb.616:
	global_load_u8 v3, v[1:2], off
	s_waitcnt vmcnt(0)
	v_lshlrev_b32_e32 v3, 24, v3
	s_delay_alu instid0(VALU_DEP_1) | instskip(NEXT) | instid1(VALU_DEP_1)
	v_and_b32_e32 v6, 0x7f000000, v3
	v_clz_i32_u32_e32 v7, v6
	v_cmp_ne_u32_e32 vcc_lo, 0, v6
	v_add_nc_u32_e32 v9, 0x1000000, v6
	s_delay_alu instid0(VALU_DEP_3) | instskip(NEXT) | instid1(VALU_DEP_1)
	v_min_u32_e32 v7, 32, v7
	v_sub_nc_u32_e64 v7, v7, 4 clamp
	s_delay_alu instid0(VALU_DEP_1) | instskip(SKIP_1) | instid1(VALU_DEP_2)
	v_lshlrev_b32_e32 v8, v7, v6
	v_lshlrev_b32_e32 v7, 23, v7
	v_lshrrev_b32_e32 v8, 4, v8
	s_delay_alu instid0(VALU_DEP_1) | instskip(SKIP_1) | instid1(VALU_DEP_2)
	v_sub_nc_u32_e32 v7, v8, v7
	v_ashrrev_i32_e32 v8, 8, v9
	v_add_nc_u32_e32 v7, 0x3c000000, v7
	s_delay_alu instid0(VALU_DEP_1) | instskip(NEXT) | instid1(VALU_DEP_1)
	v_and_or_b32 v7, 0x7f800000, v8, v7
	v_cndmask_b32_e32 v6, 0, v7, vcc_lo
	s_delay_alu instid0(VALU_DEP_1)
	v_and_or_b32 v3, 0x80000000, v3, v6
.LBB16_617:
	s_mov_b32 s2, 0
.LBB16_618:
	s_delay_alu instid0(SALU_CYCLE_1)
	s_and_not1_b32 vcc_lo, exec_lo, s2
	s_cbranch_vccnz .LBB16_620
; %bb.619:
	global_load_u8 v3, v[1:2], off
	s_waitcnt vmcnt(0)
	v_lshlrev_b32_e32 v6, 25, v3
	v_lshlrev_b16 v3, 8, v3
	s_delay_alu instid0(VALU_DEP_2) | instskip(NEXT) | instid1(VALU_DEP_2)
	v_lshrrev_b32_e32 v7, 4, v6
	v_and_or_b32 v8, 0x7f00, v3, 0.5
	v_cmp_gt_u32_e32 vcc_lo, 0x8000000, v6
	v_bfe_i32 v3, v3, 0, 16
	s_delay_alu instid0(VALU_DEP_4) | instskip(NEXT) | instid1(VALU_DEP_1)
	v_or_b32_e32 v7, 0x70000000, v7
	v_dual_add_f32 v8, -0.5, v8 :: v_dual_mul_f32 v7, 0x7800000, v7
	s_delay_alu instid0(VALU_DEP_1) | instskip(NEXT) | instid1(VALU_DEP_1)
	v_cndmask_b32_e32 v6, v7, v8, vcc_lo
	v_and_or_b32 v3, 0x80000000, v3, v6
.LBB16_620:
	s_mov_b32 s26, 0
	s_mov_b32 s2, -1
.LBB16_621:
	s_and_not1_b32 vcc_lo, exec_lo, s26
	s_cbranch_vccnz .LBB16_634
; %bb.622:
	v_cmp_lt_i16_e32 vcc_lo, 14, v4
	s_cbranch_vccz .LBB16_625
; %bb.623:
	v_cmp_eq_u16_e32 vcc_lo, 15, v4
	s_cbranch_vccz .LBB16_628
; %bb.624:
	global_load_u16 v3, v[1:2], off
	s_mov_b32 s2, -1
	s_mov_b32 s3, 0
	s_waitcnt vmcnt(0)
	v_lshlrev_b32_e32 v3, 16, v3
	s_branch .LBB16_629
.LBB16_625:
	s_mov_b32 s26, -1
                                        ; implicit-def: $vgpr3
	s_branch .LBB16_630
.LBB16_626:
	s_or_saveexec_b32 s27, s27
	v_mov_b32_e32 v3, s26
	s_xor_b32 exec_lo, exec_lo, s27
	s_cbranch_execz .LBB16_607
.LBB16_627:
	v_cmp_ne_u16_e32 vcc_lo, 0, v6
	v_mov_b32_e32 v3, 0
	s_and_not1_b32 s2, s2, exec_lo
	s_and_b32 s26, vcc_lo, exec_lo
	s_delay_alu instid0(SALU_CYCLE_1)
	s_or_b32 s2, s2, s26
	s_or_b32 exec_lo, exec_lo, s27
	s_and_saveexec_b32 s26, s2
	s_cbranch_execnz .LBB16_608
	s_branch .LBB16_609
.LBB16_628:
	s_mov_b32 s3, -1
                                        ; implicit-def: $vgpr3
.LBB16_629:
	s_mov_b32 s26, 0
.LBB16_630:
	s_delay_alu instid0(SALU_CYCLE_1)
	s_and_b32 vcc_lo, exec_lo, s26
	s_cbranch_vccz .LBB16_634
; %bb.631:
	v_cmp_eq_u16_e32 vcc_lo, 11, v4
	s_cbranch_vccz .LBB16_633
; %bb.632:
	global_load_u8 v3, v[1:2], off
	s_mov_b32 s3, 0
	s_mov_b32 s2, -1
	s_waitcnt vmcnt(0)
	v_cmp_ne_u16_e32 vcc_lo, 0, v3
	v_cndmask_b32_e64 v3, 0, 1.0, vcc_lo
	s_branch .LBB16_634
.LBB16_633:
	s_mov_b32 s3, -1
                                        ; implicit-def: $vgpr3
.LBB16_634:
	s_mov_b32 s26, 0
.LBB16_635:
	s_delay_alu instid0(SALU_CYCLE_1)
	s_and_b32 vcc_lo, exec_lo, s26
	s_cbranch_vccz .LBB16_684
; %bb.636:
	v_cmp_gt_i16_e32 vcc_lo, 5, v4
	s_cbranch_vccnz .LBB16_641
; %bb.637:
	v_cmp_gt_i16_e32 vcc_lo, 8, v4
	s_cbranch_vccnz .LBB16_642
	;; [unrolled: 3-line block ×3, first 2 shown]
; %bb.639:
	v_cmp_lt_i16_e32 vcc_lo, 9, v4
	s_cbranch_vccz .LBB16_644
; %bb.640:
	global_load_b64 v[6:7], v[1:2], off
	s_mov_b32 s2, 0
	s_waitcnt vmcnt(0)
	v_cvt_f32_f64_e32 v3, v[6:7]
	s_branch .LBB16_645
.LBB16_641:
	s_mov_b32 s2, -1
                                        ; implicit-def: $vgpr3
	s_branch .LBB16_663
.LBB16_642:
	s_mov_b32 s2, -1
                                        ; implicit-def: $vgpr3
	s_branch .LBB16_651
.LBB16_643:
	s_mov_b32 s2, -1
                                        ; implicit-def: $vgpr3
	s_branch .LBB16_648
.LBB16_644:
	s_mov_b32 s2, -1
                                        ; implicit-def: $vgpr3
.LBB16_645:
	s_delay_alu instid0(SALU_CYCLE_1)
	s_and_not1_b32 vcc_lo, exec_lo, s2
	s_cbranch_vccnz .LBB16_647
; %bb.646:
	global_load_b32 v3, v[1:2], off
.LBB16_647:
	s_mov_b32 s2, 0
.LBB16_648:
	s_delay_alu instid0(SALU_CYCLE_1)
	s_and_not1_b32 vcc_lo, exec_lo, s2
	s_cbranch_vccnz .LBB16_650
; %bb.649:
	global_load_b32 v3, v[1:2], off
	s_waitcnt vmcnt(0)
	v_cvt_f32_f16_e32 v3, v3
.LBB16_650:
	s_mov_b32 s2, 0
.LBB16_651:
	s_delay_alu instid0(SALU_CYCLE_1)
	s_and_not1_b32 vcc_lo, exec_lo, s2
	s_cbranch_vccnz .LBB16_662
; %bb.652:
	v_cmp_gt_i16_e32 vcc_lo, 6, v4
	s_cbranch_vccnz .LBB16_655
; %bb.653:
	v_cmp_lt_i16_e32 vcc_lo, 6, v4
	s_cbranch_vccz .LBB16_656
; %bb.654:
	global_load_b64 v[6:7], v[1:2], off
	s_mov_b32 s2, 0
	s_waitcnt vmcnt(0)
	v_cvt_f32_f64_e32 v3, v[6:7]
	s_branch .LBB16_657
.LBB16_655:
	s_mov_b32 s2, -1
                                        ; implicit-def: $vgpr3
	s_branch .LBB16_660
.LBB16_656:
	s_mov_b32 s2, -1
                                        ; implicit-def: $vgpr3
.LBB16_657:
	s_delay_alu instid0(SALU_CYCLE_1)
	s_and_not1_b32 vcc_lo, exec_lo, s2
	s_cbranch_vccnz .LBB16_659
; %bb.658:
	global_load_b32 v3, v[1:2], off
.LBB16_659:
	s_mov_b32 s2, 0
.LBB16_660:
	s_delay_alu instid0(SALU_CYCLE_1)
	s_and_not1_b32 vcc_lo, exec_lo, s2
	s_cbranch_vccnz .LBB16_662
; %bb.661:
	global_load_u16 v3, v[1:2], off
	s_waitcnt vmcnt(0)
	v_cvt_f32_f16_e32 v3, v3
.LBB16_662:
	s_mov_b32 s2, 0
.LBB16_663:
	s_delay_alu instid0(SALU_CYCLE_1)
	s_and_not1_b32 vcc_lo, exec_lo, s2
	s_cbranch_vccnz .LBB16_683
; %bb.664:
	v_cmp_gt_i16_e32 vcc_lo, 2, v4
	s_cbranch_vccnz .LBB16_668
; %bb.665:
	v_cmp_gt_i16_e32 vcc_lo, 3, v4
	s_cbranch_vccnz .LBB16_669
; %bb.666:
	v_cmp_lt_i16_e32 vcc_lo, 3, v4
	s_cbranch_vccz .LBB16_670
; %bb.667:
	global_load_b64 v[6:7], v[1:2], off
	s_mov_b32 s2, 0
	s_waitcnt vmcnt(0)
	v_xor_b32_e32 v3, v6, v7
	v_cls_i32_e32 v8, v7
	s_delay_alu instid0(VALU_DEP_2) | instskip(NEXT) | instid1(VALU_DEP_2)
	v_ashrrev_i32_e32 v3, 31, v3
	v_add_nc_u32_e32 v8, -1, v8
	s_delay_alu instid0(VALU_DEP_2) | instskip(NEXT) | instid1(VALU_DEP_1)
	v_add_nc_u32_e32 v3, 32, v3
	v_min_u32_e32 v3, v8, v3
	s_delay_alu instid0(VALU_DEP_1) | instskip(SKIP_1) | instid1(VALU_DEP_2)
	v_lshlrev_b64 v[6:7], v3, v[6:7]
	v_sub_nc_u32_e32 v3, 32, v3
	v_min_u32_e32 v6, 1, v6
	s_delay_alu instid0(VALU_DEP_1) | instskip(NEXT) | instid1(VALU_DEP_1)
	v_or_b32_e32 v6, v7, v6
	v_cvt_f32_i32_e32 v6, v6
	s_delay_alu instid0(VALU_DEP_1)
	v_ldexp_f32 v3, v6, v3
	s_branch .LBB16_671
.LBB16_668:
	s_mov_b32 s2, -1
                                        ; implicit-def: $vgpr3
	s_branch .LBB16_677
.LBB16_669:
	s_mov_b32 s2, -1
                                        ; implicit-def: $vgpr3
	s_branch .LBB16_674
.LBB16_670:
	s_mov_b32 s2, -1
                                        ; implicit-def: $vgpr3
.LBB16_671:
	s_delay_alu instid0(SALU_CYCLE_1)
	s_and_not1_b32 vcc_lo, exec_lo, s2
	s_cbranch_vccnz .LBB16_673
; %bb.672:
	global_load_b32 v3, v[1:2], off
	s_waitcnt vmcnt(0)
	v_cvt_f32_i32_e32 v3, v3
.LBB16_673:
	s_mov_b32 s2, 0
.LBB16_674:
	s_delay_alu instid0(SALU_CYCLE_1)
	s_and_not1_b32 vcc_lo, exec_lo, s2
	s_cbranch_vccnz .LBB16_676
; %bb.675:
	global_load_i16 v3, v[1:2], off
	s_waitcnt vmcnt(0)
	v_cvt_f32_i32_e32 v3, v3
.LBB16_676:
	s_mov_b32 s2, 0
.LBB16_677:
	s_delay_alu instid0(SALU_CYCLE_1)
	s_and_not1_b32 vcc_lo, exec_lo, s2
	s_cbranch_vccnz .LBB16_683
; %bb.678:
	v_cmp_lt_i16_e32 vcc_lo, 0, v4
	s_mov_b32 s2, 0
	s_cbranch_vccz .LBB16_680
; %bb.679:
	global_load_i8 v3, v[1:2], off
	s_waitcnt vmcnt(0)
	v_cvt_f32_i32_e32 v3, v3
	s_branch .LBB16_681
.LBB16_680:
	s_mov_b32 s2, -1
                                        ; implicit-def: $vgpr3
.LBB16_681:
	s_delay_alu instid0(SALU_CYCLE_1)
	s_and_not1_b32 vcc_lo, exec_lo, s2
	s_cbranch_vccnz .LBB16_683
; %bb.682:
	global_load_u8 v1, v[1:2], off
	s_waitcnt vmcnt(0)
	v_cvt_f32_ubyte0_e32 v3, v1
.LBB16_683:
	s_mov_b32 s2, -1
.LBB16_684:
	s_delay_alu instid0(SALU_CYCLE_1)
	s_and_not1_b32 vcc_lo, exec_lo, s2
	s_cbranch_vccnz .LBB16_694
; %bb.685:
	s_mov_b32 s2, exec_lo
	s_waitcnt vmcnt(0)
	s_delay_alu instid0(VALU_DEP_1)
	v_cmpx_nlg_f32_e64 0x7f800000, |v3|
	s_cbranch_execz .LBB16_687
; %bb.686:
	v_dual_mov_b32 v1, 0 :: v_dual_mov_b32 v2, 1.0
	global_store_b32 v1, v2, s[8:9]
.LBB16_687:
	s_or_b32 exec_lo, exec_lo, s2
	v_mov_b32_e32 v1, 0
	v_and_b32_e64 v6, 0xff, s34
	v_add_co_u32 v0, s2, s4, v0
	s_mov_b32 s26, 0
	global_load_b32 v2, v1, s[10:11]
	v_add_co_ci_u32_e64 v1, null, s5, 0, s2
	v_cmp_gt_i16_e32 vcc_lo, 11, v6
	s_mov_b32 s27, -1
	s_and_b32 vcc_lo, exec_lo, vcc_lo
	s_waitcnt vmcnt(0)
	v_mul_f32_e32 v7, v3, v2
	v_cmp_eq_f32_e64 s2, 1.0, v2
	s_delay_alu instid0(VALU_DEP_1)
	v_cndmask_b32_e64 v2, v7, v3, s2
	s_mov_b32 s2, s43
	s_cbranch_vccnz .LBB16_695
; %bb.688:
	v_cmp_lt_i16_e32 vcc_lo, 25, v6
	s_cbranch_vccz .LBB16_736
; %bb.689:
	v_cmp_lt_i16_e32 vcc_lo, 28, v6
	s_cbranch_vccz .LBB16_737
	;; [unrolled: 3-line block ×4, first 2 shown]
; %bb.692:
	v_cmp_eq_u16_e32 vcc_lo, 46, v6
	s_mov_b32 s27, 0
	s_mov_b32 s2, -1
	s_cbranch_vccz .LBB16_740
; %bb.693:
	v_bfe_u32 v3, v2, 16, 1
	v_cmp_o_f32_e32 vcc_lo, v2, v2
	s_mov_b32 s26, -1
	s_mov_b32 s2, 0
	s_delay_alu instid0(VALU_DEP_2) | instskip(NEXT) | instid1(VALU_DEP_1)
	v_add3_u32 v3, v2, v3, 0x7fff
	v_lshrrev_b32_e32 v3, 16, v3
	s_delay_alu instid0(VALU_DEP_1)
	v_cndmask_b32_e32 v3, 0x7fc0, v3, vcc_lo
	global_store_b32 v[0:1], v3, off
	s_branch .LBB16_740
.LBB16_694:
	s_mov_b32 s46, 0
	s_mov_b32 s2, s43
	s_branch .LBB16_735
.LBB16_695:
	s_and_b32 vcc_lo, exec_lo, s27
	s_cbranch_vccz .LBB16_809
; %bb.696:
	v_cmp_gt_i16_e32 vcc_lo, 5, v6
	s_mov_b32 s26, -1
	s_cbranch_vccnz .LBB16_717
; %bb.697:
	v_cmp_gt_i16_e32 vcc_lo, 8, v6
	s_cbranch_vccnz .LBB16_707
; %bb.698:
	v_cmp_gt_i16_e32 vcc_lo, 9, v6
	s_cbranch_vccnz .LBB16_704
; %bb.699:
	v_cmp_lt_i16_e32 vcc_lo, 9, v6
	s_cbranch_vccz .LBB16_701
; %bb.700:
	v_cvt_f64_f32_e32 v[7:8], v2
	v_mov_b32_e32 v9, 0
	s_mov_b32 s26, 0
	s_delay_alu instid0(VALU_DEP_1)
	v_mov_b32_e32 v10, v9
	global_store_b128 v[0:1], v[7:10], off
.LBB16_701:
	s_and_not1_b32 vcc_lo, exec_lo, s26
	s_cbranch_vccnz .LBB16_703
; %bb.702:
	v_mov_b32_e32 v3, 0
	global_store_b64 v[0:1], v[2:3], off
.LBB16_703:
	s_mov_b32 s26, 0
.LBB16_704:
	s_delay_alu instid0(SALU_CYCLE_1)
	s_and_not1_b32 vcc_lo, exec_lo, s26
	s_cbranch_vccnz .LBB16_706
; %bb.705:
	v_cvt_f16_f32_e32 v3, v2
	s_delay_alu instid0(VALU_DEP_1)
	v_and_b32_e32 v3, 0xffff, v3
	global_store_b32 v[0:1], v3, off
.LBB16_706:
	s_mov_b32 s26, 0
.LBB16_707:
	s_delay_alu instid0(SALU_CYCLE_1)
	s_and_not1_b32 vcc_lo, exec_lo, s26
	s_cbranch_vccnz .LBB16_716
; %bb.708:
	v_cmp_gt_i16_e32 vcc_lo, 6, v6
	s_mov_b32 s26, -1
	s_cbranch_vccnz .LBB16_714
; %bb.709:
	v_cmp_lt_i16_e32 vcc_lo, 6, v6
	s_cbranch_vccz .LBB16_711
; %bb.710:
	v_cvt_f64_f32_e32 v[7:8], v2
	s_mov_b32 s26, 0
	global_store_b64 v[0:1], v[7:8], off
.LBB16_711:
	s_and_not1_b32 vcc_lo, exec_lo, s26
	s_cbranch_vccnz .LBB16_713
; %bb.712:
	global_store_b32 v[0:1], v2, off
.LBB16_713:
	s_mov_b32 s26, 0
.LBB16_714:
	s_delay_alu instid0(SALU_CYCLE_1)
	s_and_not1_b32 vcc_lo, exec_lo, s26
	s_cbranch_vccnz .LBB16_716
; %bb.715:
	v_cvt_f16_f32_e32 v3, v2
	global_store_b16 v[0:1], v3, off
.LBB16_716:
	s_mov_b32 s26, 0
.LBB16_717:
	s_delay_alu instid0(SALU_CYCLE_1)
	s_and_not1_b32 vcc_lo, exec_lo, s26
	s_cbranch_vccnz .LBB16_733
; %bb.718:
	v_cmp_gt_i16_e32 vcc_lo, 2, v6
	s_mov_b32 s26, -1
	s_cbranch_vccnz .LBB16_728
; %bb.719:
	v_cmp_gt_i16_e32 vcc_lo, 3, v6
	s_cbranch_vccnz .LBB16_725
; %bb.720:
	v_cmp_lt_i16_e32 vcc_lo, 3, v6
	s_cbranch_vccz .LBB16_722
; %bb.721:
	v_trunc_f32_e32 v3, v2
	s_mov_b32 s26, 0
	s_delay_alu instid0(VALU_DEP_1) | instskip(NEXT) | instid1(VALU_DEP_1)
	v_mul_f32_e64 v7, 0x2f800000, |v3|
	v_floor_f32_e32 v7, v7
	s_delay_alu instid0(VALU_DEP_1) | instskip(SKIP_2) | instid1(VALU_DEP_3)
	v_fma_f32 v8, 0xcf800000, v7, |v3|
	v_ashrrev_i32_e32 v3, 31, v3
	v_cvt_u32_f32_e32 v7, v7
	v_cvt_u32_f32_e32 v8, v8
	s_delay_alu instid0(VALU_DEP_2) | instskip(NEXT) | instid1(VALU_DEP_2)
	v_xor_b32_e32 v9, v7, v3
	v_xor_b32_e32 v8, v8, v3
	s_delay_alu instid0(VALU_DEP_1) | instskip(NEXT) | instid1(VALU_DEP_3)
	v_sub_co_u32 v7, vcc_lo, v8, v3
	v_sub_co_ci_u32_e32 v8, vcc_lo, v9, v3, vcc_lo
	global_store_b64 v[0:1], v[7:8], off
.LBB16_722:
	s_and_not1_b32 vcc_lo, exec_lo, s26
	s_cbranch_vccnz .LBB16_724
; %bb.723:
	v_cvt_i32_f32_e32 v3, v2
	global_store_b32 v[0:1], v3, off
.LBB16_724:
	s_mov_b32 s26, 0
.LBB16_725:
	s_delay_alu instid0(SALU_CYCLE_1)
	s_and_not1_b32 vcc_lo, exec_lo, s26
	s_cbranch_vccnz .LBB16_727
; %bb.726:
	v_cvt_i32_f32_e32 v3, v2
	global_store_b16 v[0:1], v3, off
.LBB16_727:
	s_mov_b32 s26, 0
.LBB16_728:
	s_delay_alu instid0(SALU_CYCLE_1)
	s_and_not1_b32 vcc_lo, exec_lo, s26
	s_cbranch_vccnz .LBB16_733
; %bb.729:
	v_cmp_lt_i16_e32 vcc_lo, 0, v6
	s_mov_b32 s26, -1
	s_cbranch_vccz .LBB16_731
; %bb.730:
	v_cvt_i32_f32_e32 v3, v2
	s_mov_b32 s26, 0
	global_store_b8 v[0:1], v3, off
.LBB16_731:
	s_and_not1_b32 vcc_lo, exec_lo, s26
	s_cbranch_vccnz .LBB16_733
; %bb.732:
	v_trunc_f32_e32 v2, v2
	s_delay_alu instid0(VALU_DEP_1) | instskip(NEXT) | instid1(VALU_DEP_1)
	v_mul_f32_e64 v3, 0x2f800000, |v2|
	v_floor_f32_e32 v3, v3
	s_delay_alu instid0(VALU_DEP_1) | instskip(SKIP_1) | instid1(VALU_DEP_2)
	v_fma_f32 v3, 0xcf800000, v3, |v2|
	v_ashrrev_i32_e32 v2, 31, v2
	v_cvt_u32_f32_e32 v3, v3
	s_delay_alu instid0(VALU_DEP_1) | instskip(NEXT) | instid1(VALU_DEP_1)
	v_xor_b32_e32 v3, v3, v2
	v_sub_nc_u32_e32 v2, v3, v2
	global_store_b8 v[0:1], v2, off
.LBB16_733:
	s_branch .LBB16_810
.LBB16_734:
	s_mov_b32 s46, 0
.LBB16_735:
                                        ; implicit-def: $vgpr5
	s_branch .LBB16_811
.LBB16_736:
	s_mov_b32 s2, s43
	s_branch .LBB16_767
.LBB16_737:
	s_mov_b32 s2, s43
	s_branch .LBB16_750
.LBB16_738:
	s_mov_b32 s2, s43
	s_branch .LBB16_746
.LBB16_739:
	s_mov_b32 s2, s43
.LBB16_740:
	s_and_b32 vcc_lo, exec_lo, s27
	s_cbranch_vccz .LBB16_745
; %bb.741:
	v_cmp_eq_u16_e32 vcc_lo, 44, v6
	s_mov_b32 s2, -1
	s_cbranch_vccz .LBB16_745
; %bb.742:
	v_bfe_u32 v7, v2, 23, 8
	v_mov_b32_e32 v3, 0xff
	s_mov_b32 s26, exec_lo
	s_delay_alu instid0(VALU_DEP_2)
	v_cmpx_ne_u32_e32 0xff, v7
; %bb.743:
	v_and_b32_e32 v3, 0x400000, v2
	v_and_or_b32 v7, 0x3fffff, v2, v7
	s_delay_alu instid0(VALU_DEP_2) | instskip(NEXT) | instid1(VALU_DEP_2)
	v_cmp_ne_u32_e32 vcc_lo, 0, v3
	v_cmp_ne_u32_e64 s2, 0, v7
	v_lshrrev_b32_e32 v3, 23, v2
	s_delay_alu instid0(VALU_DEP_2) | instskip(NEXT) | instid1(SALU_CYCLE_1)
	s_and_b32 s2, vcc_lo, s2
	v_cndmask_b32_e64 v7, 0, 1, s2
	s_delay_alu instid0(VALU_DEP_1)
	v_add_nc_u32_e32 v3, v3, v7
; %bb.744:
	s_or_b32 exec_lo, exec_lo, s26
	s_mov_b32 s26, -1
	s_mov_b32 s2, 0
	global_store_b8 v[0:1], v3, off
.LBB16_745:
	s_mov_b32 s27, 0
.LBB16_746:
	s_delay_alu instid0(SALU_CYCLE_1)
	s_and_b32 vcc_lo, exec_lo, s27
	s_cbranch_vccz .LBB16_749
; %bb.747:
	v_cmp_eq_u16_e32 vcc_lo, 29, v6
	s_mov_b32 s2, -1
	s_cbranch_vccz .LBB16_749
; %bb.748:
	v_trunc_f32_e32 v3, v2
	s_mov_b32 s26, -1
	s_mov_b32 s2, 0
	s_mov_b32 s27, 0
	s_delay_alu instid0(VALU_DEP_1) | instskip(NEXT) | instid1(VALU_DEP_1)
	v_mul_f32_e32 v7, 0x2f800000, v3
	v_floor_f32_e32 v7, v7
	s_delay_alu instid0(VALU_DEP_1) | instskip(SKIP_1) | instid1(VALU_DEP_2)
	v_fmamk_f32 v3, v7, 0xcf800000, v3
	v_cvt_u32_f32_e32 v8, v7
	v_cvt_u32_f32_e32 v7, v3
	global_store_b64 v[0:1], v[7:8], off
	s_branch .LBB16_750
.LBB16_749:
	s_mov_b32 s27, 0
.LBB16_750:
	s_delay_alu instid0(SALU_CYCLE_1)
	s_and_b32 vcc_lo, exec_lo, s27
	s_cbranch_vccz .LBB16_766
; %bb.751:
	v_cmp_gt_i16_e32 vcc_lo, 27, v6
	s_mov_b32 s26, -1
	s_cbranch_vccnz .LBB16_757
; %bb.752:
	v_cmp_lt_i16_e32 vcc_lo, 27, v6
	s_cbranch_vccz .LBB16_754
; %bb.753:
	v_cvt_u32_f32_e32 v3, v2
	s_mov_b32 s26, 0
	global_store_b32 v[0:1], v3, off
.LBB16_754:
	s_and_not1_b32 vcc_lo, exec_lo, s26
	s_cbranch_vccnz .LBB16_756
; %bb.755:
	v_cvt_u32_f32_e32 v3, v2
	global_store_b16 v[0:1], v3, off
.LBB16_756:
	s_mov_b32 s26, 0
.LBB16_757:
	s_delay_alu instid0(SALU_CYCLE_1)
	s_and_not1_b32 vcc_lo, exec_lo, s26
	s_cbranch_vccnz .LBB16_765
; %bb.758:
	v_and_b32_e32 v3, 0x7fffffff, v2
	v_mov_b32_e32 v7, 0x80
	s_mov_b32 s26, exec_lo
	s_delay_alu instid0(VALU_DEP_2)
	v_cmpx_gt_u32_e32 0x43800000, v3
	s_cbranch_execz .LBB16_764
; %bb.759:
	v_cmp_lt_u32_e32 vcc_lo, 0x3bffffff, v3
	s_mov_b32 s27, 0
                                        ; implicit-def: $vgpr3
	s_and_saveexec_b32 s46, vcc_lo
	s_delay_alu instid0(SALU_CYCLE_1)
	s_xor_b32 s46, exec_lo, s46
	s_cbranch_execz .LBB16_838
; %bb.760:
	v_bfe_u32 v3, v2, 20, 1
	s_mov_b32 s27, exec_lo
	s_delay_alu instid0(VALU_DEP_1) | instskip(NEXT) | instid1(VALU_DEP_1)
	v_add3_u32 v3, v2, v3, 0x487ffff
	v_lshrrev_b32_e32 v3, 20, v3
	s_or_saveexec_b32 s46, s46
                                        ; implicit-def: $sgpr47
	s_delay_alu instid0(SALU_CYCLE_1)
	s_xor_b32 exec_lo, exec_lo, s46
	s_cbranch_execnz .LBB16_839
.LBB16_761:
	s_or_b32 exec_lo, exec_lo, s46
	v_mov_b32_e32 v7, s47
	s_and_saveexec_b32 s46, s27
.LBB16_762:
	v_lshrrev_b32_e32 v7, 24, v2
	s_delay_alu instid0(VALU_DEP_1)
	v_and_or_b32 v7, 0x80, v7, v3
.LBB16_763:
	s_or_b32 exec_lo, exec_lo, s46
.LBB16_764:
	s_delay_alu instid0(SALU_CYCLE_1)
	s_or_b32 exec_lo, exec_lo, s26
	global_store_b8 v[0:1], v7, off
.LBB16_765:
	s_mov_b32 s26, -1
.LBB16_766:
	s_mov_b32 s27, 0
.LBB16_767:
	s_delay_alu instid0(SALU_CYCLE_1)
	s_and_b32 vcc_lo, exec_lo, s27
	s_cbranch_vccz .LBB16_808
; %bb.768:
	v_cmp_lt_i16_e32 vcc_lo, 22, v6
	s_mov_b32 s27, -1
	s_cbranch_vccz .LBB16_800
; %bb.769:
	v_cmp_gt_i16_e32 vcc_lo, 24, v6
	s_mov_b32 s26, -1
	s_cbranch_vccnz .LBB16_789
; %bb.770:
	v_cmp_lt_i16_e32 vcc_lo, 24, v6
	s_cbranch_vccz .LBB16_778
; %bb.771:
	v_and_b32_e32 v3, 0x7fffffff, v2
	v_mov_b32_e32 v7, 0x80
	s_mov_b32 s26, exec_lo
	s_delay_alu instid0(VALU_DEP_2)
	v_cmpx_gt_u32_e32 0x47800000, v3
	s_cbranch_execz .LBB16_777
; %bb.772:
	v_cmp_lt_u32_e32 vcc_lo, 0x37ffffff, v3
	s_mov_b32 s27, 0
                                        ; implicit-def: $vgpr3
	s_and_saveexec_b32 s46, vcc_lo
	s_delay_alu instid0(SALU_CYCLE_1)
	s_xor_b32 s46, exec_lo, s46
	s_cbranch_execz .LBB16_841
; %bb.773:
	v_bfe_u32 v3, v2, 21, 1
	s_mov_b32 s27, exec_lo
	s_delay_alu instid0(VALU_DEP_1) | instskip(NEXT) | instid1(VALU_DEP_1)
	v_add3_u32 v3, v2, v3, 0x88fffff
	v_lshrrev_b32_e32 v3, 21, v3
	s_or_saveexec_b32 s46, s46
                                        ; implicit-def: $sgpr47
	s_delay_alu instid0(SALU_CYCLE_1)
	s_xor_b32 exec_lo, exec_lo, s46
	s_cbranch_execnz .LBB16_842
.LBB16_774:
	s_or_b32 exec_lo, exec_lo, s46
	v_mov_b32_e32 v7, s47
	s_and_saveexec_b32 s46, s27
.LBB16_775:
	v_lshrrev_b32_e32 v7, 24, v2
	s_delay_alu instid0(VALU_DEP_1)
	v_and_or_b32 v7, 0x80, v7, v3
.LBB16_776:
	s_or_b32 exec_lo, exec_lo, s46
.LBB16_777:
	s_delay_alu instid0(SALU_CYCLE_1)
	s_or_b32 exec_lo, exec_lo, s26
	s_mov_b32 s26, 0
	global_store_b8 v[0:1], v7, off
.LBB16_778:
	s_and_b32 vcc_lo, exec_lo, s26
	s_cbranch_vccz .LBB16_788
; %bb.779:
	v_and_b32_e32 v7, 0x7fffffff, v2
	s_mov_b32 s26, exec_lo
                                        ; implicit-def: $vgpr3
	s_delay_alu instid0(VALU_DEP_1)
	v_cmpx_gt_u32_e32 0x43f00000, v7
	s_xor_b32 s26, exec_lo, s26
	s_cbranch_execz .LBB16_785
; %bb.780:
	s_mov_b32 s27, exec_lo
                                        ; implicit-def: $vgpr3
	v_cmpx_lt_u32_e32 0x3c7fffff, v7
	s_xor_b32 s27, exec_lo, s27
; %bb.781:
	v_bfe_u32 v3, v2, 20, 1
	s_delay_alu instid0(VALU_DEP_1) | instskip(NEXT) | instid1(VALU_DEP_1)
	v_add3_u32 v3, v2, v3, 0x407ffff
	v_and_b32_e32 v7, 0xff00000, v3
	v_lshrrev_b32_e32 v3, 20, v3
	s_delay_alu instid0(VALU_DEP_2) | instskip(NEXT) | instid1(VALU_DEP_2)
	v_cmp_ne_u32_e32 vcc_lo, 0x7f00000, v7
	v_cndmask_b32_e32 v3, 0x7e, v3, vcc_lo
; %bb.782:
	s_and_not1_saveexec_b32 s27, s27
; %bb.783:
	v_add_f32_e64 v3, 0x46800000, |v2|
; %bb.784:
	s_or_b32 exec_lo, exec_lo, s27
                                        ; implicit-def: $vgpr7
.LBB16_785:
	s_and_not1_saveexec_b32 s26, s26
; %bb.786:
	v_mov_b32_e32 v3, 0x7f
	v_cmp_lt_u32_e32 vcc_lo, 0x7f800000, v7
	s_delay_alu instid0(VALU_DEP_2)
	v_cndmask_b32_e32 v3, 0x7e, v3, vcc_lo
; %bb.787:
	s_or_b32 exec_lo, exec_lo, s26
	v_lshrrev_b32_e32 v7, 24, v2
	s_delay_alu instid0(VALU_DEP_1)
	v_and_or_b32 v3, 0x80, v7, v3
	global_store_b8 v[0:1], v3, off
.LBB16_788:
	s_mov_b32 s26, 0
.LBB16_789:
	s_delay_alu instid0(SALU_CYCLE_1)
	s_and_not1_b32 vcc_lo, exec_lo, s26
	s_cbranch_vccnz .LBB16_799
; %bb.790:
	v_and_b32_e32 v7, 0x7fffffff, v2
	s_mov_b32 s26, exec_lo
                                        ; implicit-def: $vgpr3
	s_delay_alu instid0(VALU_DEP_1)
	v_cmpx_gt_u32_e32 0x47800000, v7
	s_xor_b32 s26, exec_lo, s26
	s_cbranch_execz .LBB16_796
; %bb.791:
	s_mov_b32 s27, exec_lo
                                        ; implicit-def: $vgpr3
	v_cmpx_lt_u32_e32 0x387fffff, v7
	s_xor_b32 s27, exec_lo, s27
; %bb.792:
	v_bfe_u32 v3, v2, 21, 1
	s_delay_alu instid0(VALU_DEP_1) | instskip(NEXT) | instid1(VALU_DEP_1)
	v_add3_u32 v3, v2, v3, 0x80fffff
	v_lshrrev_b32_e32 v3, 21, v3
; %bb.793:
	s_and_not1_saveexec_b32 s27, s27
; %bb.794:
	v_add_f32_e64 v3, 0x43000000, |v2|
; %bb.795:
	s_or_b32 exec_lo, exec_lo, s27
                                        ; implicit-def: $vgpr7
.LBB16_796:
	s_and_not1_saveexec_b32 s26, s26
; %bb.797:
	v_mov_b32_e32 v3, 0x7f
	v_cmp_lt_u32_e32 vcc_lo, 0x7f800000, v7
	s_delay_alu instid0(VALU_DEP_2)
	v_cndmask_b32_e32 v3, 0x7c, v3, vcc_lo
; %bb.798:
	s_or_b32 exec_lo, exec_lo, s26
	v_lshrrev_b32_e32 v7, 24, v2
	s_delay_alu instid0(VALU_DEP_1)
	v_and_or_b32 v3, 0x80, v7, v3
	global_store_b8 v[0:1], v3, off
.LBB16_799:
	s_mov_b32 s27, 0
	s_mov_b32 s26, -1
.LBB16_800:
	s_and_not1_b32 vcc_lo, exec_lo, s27
	s_cbranch_vccnz .LBB16_808
; %bb.801:
	v_cmp_lt_i16_e32 vcc_lo, 14, v6
	s_mov_b32 s27, -1
	s_cbranch_vccz .LBB16_805
; %bb.802:
	v_cmp_eq_u16_e32 vcc_lo, 15, v6
	s_mov_b32 s2, -1
	s_cbranch_vccz .LBB16_804
; %bb.803:
	v_bfe_u32 v3, v2, 16, 1
	v_cmp_o_f32_e32 vcc_lo, v2, v2
	s_mov_b32 s26, -1
	s_mov_b32 s2, 0
	s_delay_alu instid0(VALU_DEP_2) | instskip(NEXT) | instid1(VALU_DEP_1)
	v_add3_u32 v3, v2, v3, 0x7fff
	v_lshrrev_b32_e32 v3, 16, v3
	s_delay_alu instid0(VALU_DEP_1)
	v_cndmask_b32_e32 v3, 0x7fc0, v3, vcc_lo
	global_store_b16 v[0:1], v3, off
.LBB16_804:
	s_mov_b32 s27, 0
.LBB16_805:
	s_delay_alu instid0(SALU_CYCLE_1)
	s_and_b32 vcc_lo, exec_lo, s27
	s_cbranch_vccz .LBB16_808
; %bb.806:
	v_cmp_eq_u16_e32 vcc_lo, 11, v6
	s_mov_b32 s2, -1
	s_cbranch_vccz .LBB16_808
; %bb.807:
	v_cmp_neq_f32_e32 vcc_lo, 0, v2
	s_mov_b32 s2, 0
	s_mov_b32 s26, -1
	v_cndmask_b32_e64 v3, 0, 1, vcc_lo
	global_store_b8 v[0:1], v3, off
.LBB16_808:
.LBB16_809:
	s_and_not1_b32 vcc_lo, exec_lo, s26
	s_cbranch_vccnz .LBB16_734
.LBB16_810:
	v_add_nc_u32_e32 v5, 0x80, v5
	s_mov_b32 s46, -1
.LBB16_811:
	s_and_not1_b32 s26, s43, exec_lo
	s_and_b32 s2, s2, exec_lo
	s_and_not1_b32 s47, s42, exec_lo
	s_and_b32 s3, s3, exec_lo
	s_or_b32 s27, s26, s2
	s_or_b32 s26, s47, s3
	s_or_not1_b32 s47, s46, exec_lo
.LBB16_812:
	s_or_b32 exec_lo, exec_lo, s45
	s_mov_b32 s2, 0
	s_mov_b32 s3, 0
	s_mov_b32 s46, 0
                                        ; implicit-def: $vgpr1_vgpr2
                                        ; implicit-def: $vgpr0
                                        ; implicit-def: $vgpr6
	s_and_saveexec_b32 s45, s47
	s_cbranch_execz .LBB16_910
; %bb.813:
	v_cmp_gt_i32_e32 vcc_lo, s36, v5
	s_mov_b32 s48, s26
	s_mov_b32 s47, 0
                                        ; implicit-def: $vgpr1_vgpr2
                                        ; implicit-def: $vgpr0
                                        ; implicit-def: $vgpr6
	s_and_saveexec_b32 s36, vcc_lo
	s_cbranch_execz .LBB16_909
; %bb.814:
	s_and_not1_b32 vcc_lo, exec_lo, s31
	s_cbranch_vccnz .LBB16_819
; %bb.815:
	v_dual_mov_b32 v0, 0 :: v_dual_mov_b32 v1, 0
	s_and_not1_b32 vcc_lo, exec_lo, s38
	s_mov_b32 s38, 0
	s_cbranch_vccnz .LBB16_824
; %bb.816:
	v_mov_b32_e32 v0, 0
	s_add_i32 s46, s37, 1
	s_cmp_eq_u32 s29, 2
	s_mov_b32 s37, 0
	s_cbranch_scc1 .LBB16_820
; %bb.817:
	v_dual_mov_b32 v1, 0 :: v_dual_mov_b32 v0, 0
	v_mov_b32_e32 v2, v5
	s_and_b32 s37, s46, 28
	s_mov_b64 s[2:3], s[20:21]
.LBB16_818:                             ; =>This Inner Loop Header: Depth=1
	s_clause 0x1
	s_load_b256 s[48:55], s[2:3], 0x4
	s_load_b128 s[64:67], s[2:3], 0x24
	s_load_b256 s[56:63], s[24:25], 0x0
	s_add_u32 s2, s2, 48
	s_addc_u32 s3, s3, 0
	s_add_i32 s47, s47, 4
	s_add_u32 s24, s24, 32
	s_addc_u32 s25, s25, 0
	s_cmp_eq_u32 s37, s47
	s_waitcnt vmcnt(0) lgkmcnt(0)
	v_mul_hi_u32 v3, s49, v2
	s_delay_alu instid0(VALU_DEP_1) | instskip(NEXT) | instid1(VALU_DEP_1)
	v_add_nc_u32_e32 v3, v2, v3
	v_lshrrev_b32_e32 v3, s50, v3
	s_delay_alu instid0(VALU_DEP_1) | instskip(SKIP_1) | instid1(VALU_DEP_2)
	v_mul_hi_u32 v6, s52, v3
	v_mul_lo_u32 v8, v3, s48
	v_add_nc_u32_e32 v6, v3, v6
	s_delay_alu instid0(VALU_DEP_2) | instskip(NEXT) | instid1(VALU_DEP_2)
	v_sub_nc_u32_e32 v2, v2, v8
	v_lshrrev_b32_e32 v6, s53, v6
	s_delay_alu instid0(VALU_DEP_2) | instskip(SKIP_1) | instid1(VALU_DEP_3)
	v_mul_lo_u32 v8, v2, s56
	v_mul_lo_u32 v10, v2, s57
	v_mul_hi_u32 v7, s55, v6
	s_delay_alu instid0(VALU_DEP_1) | instskip(NEXT) | instid1(VALU_DEP_1)
	v_add_nc_u32_e32 v7, v6, v7
	v_lshrrev_b32_e32 v7, s64, v7
	s_delay_alu instid0(VALU_DEP_1) | instskip(SKIP_1) | instid1(VALU_DEP_2)
	v_mul_hi_u32 v9, s66, v7
	v_mul_lo_u32 v11, v7, s54
	v_add_nc_u32_e32 v2, v7, v9
	v_mul_lo_u32 v9, v6, s51
	s_delay_alu instid0(VALU_DEP_3) | instskip(NEXT) | instid1(VALU_DEP_3)
	v_sub_nc_u32_e32 v6, v6, v11
	v_lshrrev_b32_e32 v2, s67, v2
	s_delay_alu instid0(VALU_DEP_2) | instskip(SKIP_2) | instid1(VALU_DEP_4)
	v_mul_lo_u32 v11, v6, s60
	v_mul_lo_u32 v6, v6, s61
	v_sub_nc_u32_e32 v3, v3, v9
	v_mul_lo_u32 v12, v2, s65
	s_delay_alu instid0(VALU_DEP_2) | instskip(SKIP_1) | instid1(VALU_DEP_3)
	v_mul_lo_u32 v9, v3, s58
	v_mul_lo_u32 v3, v3, s59
	v_sub_nc_u32_e32 v7, v7, v12
	s_delay_alu instid0(VALU_DEP_3) | instskip(NEXT) | instid1(VALU_DEP_2)
	v_add3_u32 v0, v8, v0, v9
	v_mul_lo_u32 v12, v7, s62
	v_mul_lo_u32 v7, v7, s63
	v_add3_u32 v1, v10, v1, v3
	s_delay_alu instid0(VALU_DEP_3) | instskip(NEXT) | instid1(VALU_DEP_2)
	v_add3_u32 v0, v11, v0, v12
	v_add3_u32 v1, v6, v1, v7
	s_cbranch_scc0 .LBB16_818
	s_branch .LBB16_821
.LBB16_819:
	s_mov_b32 s38, -1
                                        ; implicit-def: $vgpr0
                                        ; implicit-def: $vgpr1
	s_branch .LBB16_824
.LBB16_820:
	v_dual_mov_b32 v2, v5 :: v_dual_mov_b32 v1, 0
.LBB16_821:
	s_and_b32 s46, s46, 3
	s_delay_alu instid0(SALU_CYCLE_1)
	s_cmp_eq_u32 s46, 0
	s_cbranch_scc1 .LBB16_824
; %bb.822:
	s_lshl_b32 s2, s37, 3
	s_mul_i32 s24, s37, 12
	s_add_u32 s2, s2, s20
	s_addc_u32 s3, s21, 0
	s_add_u32 s2, s2, 0xc4
	s_addc_u32 s3, s3, 0
	;; [unrolled: 2-line block ×3, first 2 shown]
.LBB16_823:                             ; =>This Inner Loop Header: Depth=1
	s_clause 0x1
	s_load_b64 s[48:49], s[24:25], 0x4
	s_load_b32 s37, s[24:25], 0xc
	s_load_b64 s[50:51], s[2:3], 0x0
	s_add_u32 s24, s24, 12
	s_addc_u32 s25, s25, 0
	s_add_u32 s2, s2, 8
	s_addc_u32 s3, s3, 0
	s_add_i32 s46, s46, -1
	s_delay_alu instid0(SALU_CYCLE_1) | instskip(SKIP_2) | instid1(VALU_DEP_1)
	s_cmp_lg_u32 s46, 0
	s_waitcnt vmcnt(0) lgkmcnt(0)
	v_mul_hi_u32 v3, s49, v2
	v_add_nc_u32_e32 v3, v2, v3
	s_delay_alu instid0(VALU_DEP_1) | instskip(NEXT) | instid1(VALU_DEP_1)
	v_lshrrev_b32_e32 v3, s37, v3
	v_mul_lo_u32 v6, v3, s48
	s_delay_alu instid0(VALU_DEP_1) | instskip(NEXT) | instid1(VALU_DEP_1)
	v_sub_nc_u32_e32 v2, v2, v6
	v_mad_u64_u32 v[6:7], null, v2, s50, v[0:1]
	v_mad_u64_u32 v[7:8], null, v2, s51, v[1:2]
	v_mov_b32_e32 v2, v3
	s_delay_alu instid0(VALU_DEP_2)
	v_dual_mov_b32 v0, v6 :: v_dual_mov_b32 v1, v7
	s_cbranch_scc1 .LBB16_823
.LBB16_824:
	s_and_not1_b32 vcc_lo, exec_lo, s38
	s_cbranch_vccnz .LBB16_827
; %bb.825:
	v_mul_hi_u32 v0, s17, v5
	s_and_not1_b32 vcc_lo, exec_lo, s35
	s_delay_alu instid0(VALU_DEP_1) | instskip(NEXT) | instid1(VALU_DEP_1)
	v_add_nc_u32_e32 v0, v5, v0
	v_lshrrev_b32_e32 v2, s18, v0
	s_delay_alu instid0(VALU_DEP_1) | instskip(NEXT) | instid1(VALU_DEP_1)
	v_mul_lo_u32 v0, v2, s16
	v_sub_nc_u32_e32 v1, v5, v0
	s_delay_alu instid0(VALU_DEP_1)
	v_mul_lo_u32 v0, v1, s12
	v_mul_lo_u32 v1, v1, s13
	s_cbranch_vccnz .LBB16_827
; %bb.826:
	s_waitcnt vmcnt(0)
	v_mul_hi_u32 v3, s22, v2
	s_delay_alu instid0(VALU_DEP_1) | instskip(NEXT) | instid1(VALU_DEP_1)
	v_add_nc_u32_e32 v3, v2, v3
	v_lshrrev_b32_e32 v3, s23, v3
	s_delay_alu instid0(VALU_DEP_1) | instskip(NEXT) | instid1(VALU_DEP_1)
	v_mul_lo_u32 v3, v3, s19
	v_sub_nc_u32_e32 v7, v2, v3
	s_delay_alu instid0(VALU_DEP_1) | instskip(NEXT) | instid1(VALU_DEP_1)
	v_mad_u64_u32 v[2:3], null, v7, s14, v[0:1]
	v_mad_u64_u32 v[5:6], null, v7, s15, v[1:2]
	s_delay_alu instid0(VALU_DEP_1)
	v_dual_mov_b32 v0, v2 :: v_dual_mov_b32 v1, v5
.LBB16_827:
	v_cmp_gt_i16_e32 vcc_lo, 11, v4
	s_delay_alu instid0(VALU_DEP_2) | instskip(NEXT) | instid1(VALU_DEP_1)
	v_add_co_u32 v1, s2, s6, v1
	v_add_co_ci_u32_e64 v2, null, s7, 0, s2
	s_mov_b32 s6, 0
	s_cbranch_vccnz .LBB16_834
; %bb.828:
	v_cmp_lt_i16_e32 vcc_lo, 25, v4
	s_mov_b32 s3, 0
	s_cbranch_vccz .LBB16_835
; %bb.829:
	v_cmp_lt_i16_e32 vcc_lo, 28, v4
	s_cbranch_vccz .LBB16_836
; %bb.830:
	v_cmp_lt_i16_e32 vcc_lo, 43, v4
	;; [unrolled: 3-line block ×3, first 2 shown]
	s_cbranch_vccz .LBB16_840
; %bb.832:
	v_cmp_eq_u16_e32 vcc_lo, 46, v4
	s_mov_b32 s7, 0
	s_cbranch_vccz .LBB16_843
; %bb.833:
	global_load_b32 v3, v[1:2], off
	s_mov_b32 s2, 0
	s_mov_b32 s6, -1
	s_waitcnt vmcnt(0)
	v_lshlrev_b32_e32 v6, 16, v3
	s_branch .LBB16_845
.LBB16_834:
	s_mov_b32 s7, -1
	s_mov_b32 s3, 0
	s_mov_b32 s2, s26
                                        ; implicit-def: $vgpr6
	s_branch .LBB16_908
.LBB16_835:
	s_mov_b32 s7, -1
	s_mov_b32 s2, s26
                                        ; implicit-def: $vgpr6
	s_branch .LBB16_874
.LBB16_836:
	s_mov_b32 s7, -1
	s_mov_b32 s2, s26
                                        ; implicit-def: $vgpr6
	s_branch .LBB16_855
.LBB16_837:
	s_mov_b32 s7, -1
	s_mov_b32 s2, s26
                                        ; implicit-def: $vgpr6
	s_branch .LBB16_850
.LBB16_838:
	s_or_saveexec_b32 s46, s46
                                        ; implicit-def: $sgpr47
	s_delay_alu instid0(SALU_CYCLE_1)
	s_xor_b32 exec_lo, exec_lo, s46
	s_cbranch_execz .LBB16_761
.LBB16_839:
	v_add_f32_e64 v3, 0x46000000, |v2|
	s_and_not1_b32 s27, s27, exec_lo
	s_mov_b32 s47, 0
	s_delay_alu instid0(VALU_DEP_1) | instskip(NEXT) | instid1(VALU_DEP_1)
	v_and_b32_e32 v3, 0xff, v3
	v_cmp_ne_u32_e32 vcc_lo, 0, v3
	s_and_b32 s48, vcc_lo, exec_lo
	s_delay_alu instid0(SALU_CYCLE_1)
	s_or_b32 s27, s27, s48
	s_or_b32 exec_lo, exec_lo, s46
	v_mov_b32_e32 v7, s47
	s_and_saveexec_b32 s46, s27
	s_cbranch_execnz .LBB16_762
	s_branch .LBB16_763
.LBB16_840:
	s_mov_b32 s7, -1
	s_mov_b32 s2, s26
	s_branch .LBB16_844
.LBB16_841:
	s_or_saveexec_b32 s46, s46
                                        ; implicit-def: $sgpr47
	s_delay_alu instid0(SALU_CYCLE_1)
	s_xor_b32 exec_lo, exec_lo, s46
	s_cbranch_execz .LBB16_774
.LBB16_842:
	v_add_f32_e64 v3, 0x42800000, |v2|
	s_and_not1_b32 s27, s27, exec_lo
	s_mov_b32 s47, 0
	s_delay_alu instid0(VALU_DEP_1) | instskip(NEXT) | instid1(VALU_DEP_1)
	v_and_b32_e32 v3, 0xff, v3
	v_cmp_ne_u32_e32 vcc_lo, 0, v3
	s_and_b32 s48, vcc_lo, exec_lo
	s_delay_alu instid0(SALU_CYCLE_1)
	s_or_b32 s27, s27, s48
	s_or_b32 exec_lo, exec_lo, s46
	v_mov_b32_e32 v7, s47
	s_and_saveexec_b32 s46, s27
	s_cbranch_execnz .LBB16_775
	s_branch .LBB16_776
.LBB16_843:
	s_mov_b32 s2, -1
.LBB16_844:
                                        ; implicit-def: $vgpr6
.LBB16_845:
	s_and_b32 vcc_lo, exec_lo, s7
	s_cbranch_vccz .LBB16_849
; %bb.846:
	v_cmp_eq_u16_e32 vcc_lo, 44, v4
	s_cbranch_vccz .LBB16_848
; %bb.847:
	global_load_u8 v3, v[1:2], off
	s_mov_b32 s2, 0
	s_mov_b32 s6, -1
	s_waitcnt vmcnt(0)
	v_lshlrev_b32_e32 v5, 23, v3
	v_cmp_ne_u32_e32 vcc_lo, 0xff, v3
	s_delay_alu instid0(VALU_DEP_2) | instskip(SKIP_1) | instid1(VALU_DEP_2)
	v_cndmask_b32_e32 v5, 0x7f800001, v5, vcc_lo
	v_cmp_ne_u32_e32 vcc_lo, 0, v3
	v_cndmask_b32_e32 v6, 0x400000, v5, vcc_lo
	s_branch .LBB16_849
.LBB16_848:
	s_mov_b32 s2, -1
                                        ; implicit-def: $vgpr6
.LBB16_849:
	s_mov_b32 s7, 0
.LBB16_850:
	s_delay_alu instid0(SALU_CYCLE_1)
	s_and_b32 vcc_lo, exec_lo, s7
	s_cbranch_vccz .LBB16_854
; %bb.851:
	v_cmp_eq_u16_e32 vcc_lo, 29, v4
	s_cbranch_vccz .LBB16_853
; %bb.852:
	global_load_b64 v[5:6], v[1:2], off
	s_mov_b32 s2, 0
	s_mov_b32 s6, -1
	s_mov_b32 s7, 0
	s_waitcnt vmcnt(0)
	v_clz_i32_u32_e32 v3, v6
	s_delay_alu instid0(VALU_DEP_1) | instskip(NEXT) | instid1(VALU_DEP_1)
	v_min_u32_e32 v3, 32, v3
	v_lshlrev_b64 v[5:6], v3, v[5:6]
	v_sub_nc_u32_e32 v3, 32, v3
	s_delay_alu instid0(VALU_DEP_2) | instskip(NEXT) | instid1(VALU_DEP_1)
	v_min_u32_e32 v5, 1, v5
	v_or_b32_e32 v5, v6, v5
	s_delay_alu instid0(VALU_DEP_1) | instskip(NEXT) | instid1(VALU_DEP_1)
	v_cvt_f32_u32_e32 v5, v5
	v_ldexp_f32 v6, v5, v3
	s_branch .LBB16_855
.LBB16_853:
	s_mov_b32 s2, -1
                                        ; implicit-def: $vgpr6
.LBB16_854:
	s_mov_b32 s7, 0
.LBB16_855:
	s_delay_alu instid0(SALU_CYCLE_1)
	s_and_b32 vcc_lo, exec_lo, s7
	s_cbranch_vccz .LBB16_873
; %bb.856:
	v_cmp_gt_i16_e32 vcc_lo, 27, v4
	s_cbranch_vccnz .LBB16_859
; %bb.857:
	v_cmp_lt_i16_e32 vcc_lo, 27, v4
	s_cbranch_vccz .LBB16_860
; %bb.858:
	global_load_b32 v3, v[1:2], off
	s_mov_b32 s6, 0
	s_waitcnt vmcnt(0)
	v_cvt_f32_u32_e32 v6, v3
	s_branch .LBB16_861
.LBB16_859:
	s_mov_b32 s6, -1
                                        ; implicit-def: $vgpr6
	s_branch .LBB16_864
.LBB16_860:
	s_mov_b32 s6, -1
                                        ; implicit-def: $vgpr6
.LBB16_861:
	s_delay_alu instid0(SALU_CYCLE_1)
	s_and_not1_b32 vcc_lo, exec_lo, s6
	s_cbranch_vccnz .LBB16_863
; %bb.862:
	global_load_u16 v3, v[1:2], off
	s_waitcnt vmcnt(0)
	v_cvt_f32_u32_e32 v6, v3
.LBB16_863:
	s_mov_b32 s6, 0
.LBB16_864:
	s_delay_alu instid0(SALU_CYCLE_1)
	s_and_not1_b32 vcc_lo, exec_lo, s6
	s_cbranch_vccnz .LBB16_872
; %bb.865:
	global_load_u8 v3, v[1:2], off
	s_mov_b32 s6, 0
	s_mov_b32 s12, exec_lo
                                        ; implicit-def: $sgpr7
	s_waitcnt vmcnt(0)
	v_cmpx_lt_i16_e32 0x7f, v3
	s_xor_b32 s12, exec_lo, s12
	s_cbranch_execz .LBB16_886
; %bb.866:
	s_mov_b32 s6, -1
	s_mov_b32 s13, exec_lo
                                        ; implicit-def: $sgpr7
	v_cmpx_eq_u16_e32 0x80, v3
; %bb.867:
	s_mov_b32 s7, 0x7f800001
	s_xor_b32 s6, exec_lo, -1
; %bb.868:
	s_or_b32 exec_lo, exec_lo, s13
	s_delay_alu instid0(SALU_CYCLE_1)
	s_and_b32 s6, s6, exec_lo
	s_or_saveexec_b32 s12, s12
	v_mov_b32_e32 v6, s7
	s_xor_b32 exec_lo, exec_lo, s12
	s_cbranch_execnz .LBB16_887
.LBB16_869:
	s_or_b32 exec_lo, exec_lo, s12
	s_and_saveexec_b32 s7, s6
	s_cbranch_execz .LBB16_871
.LBB16_870:
	v_and_b32_e32 v5, 0xffff, v3
	v_lshlrev_b32_e32 v3, 24, v3
	s_delay_alu instid0(VALU_DEP_2) | instskip(NEXT) | instid1(VALU_DEP_2)
	v_and_b32_e32 v6, 7, v5
	v_and_b32_e32 v3, 0x80000000, v3
	s_delay_alu instid0(VALU_DEP_2) | instskip(NEXT) | instid1(VALU_DEP_1)
	v_clz_i32_u32_e32 v7, v6
	v_min_u32_e32 v7, 32, v7
	s_delay_alu instid0(VALU_DEP_1) | instskip(SKIP_1) | instid1(VALU_DEP_2)
	v_subrev_nc_u32_e32 v8, 28, v7
	v_sub_nc_u32_e32 v7, 29, v7
	v_lshlrev_b32_e32 v8, v8, v5
	v_bfe_u32 v5, v5, 3, 4
	s_delay_alu instid0(VALU_DEP_2) | instskip(NEXT) | instid1(VALU_DEP_2)
	v_and_b32_e32 v8, 7, v8
	v_cmp_eq_u32_e32 vcc_lo, 0, v5
	s_delay_alu instid0(VALU_DEP_2) | instskip(NEXT) | instid1(VALU_DEP_1)
	v_dual_cndmask_b32 v5, v5, v7 :: v_dual_cndmask_b32 v6, v6, v8
	v_lshl_add_u32 v5, v5, 23, 0x3b800000
	s_delay_alu instid0(VALU_DEP_2) | instskip(NEXT) | instid1(VALU_DEP_1)
	v_lshlrev_b32_e32 v6, 20, v6
	v_or3_b32 v6, v3, v5, v6
.LBB16_871:
	s_or_b32 exec_lo, exec_lo, s7
.LBB16_872:
	s_mov_b32 s6, -1
.LBB16_873:
	s_mov_b32 s7, 0
.LBB16_874:
	s_delay_alu instid0(SALU_CYCLE_1)
	s_and_b32 vcc_lo, exec_lo, s7
	s_cbranch_vccz .LBB16_907
; %bb.875:
	v_cmp_lt_i16_e32 vcc_lo, 22, v4
	s_cbranch_vccz .LBB16_885
; %bb.876:
	v_cmp_gt_i16_e32 vcc_lo, 24, v4
	s_cbranch_vccnz .LBB16_888
; %bb.877:
	v_cmp_lt_i16_e32 vcc_lo, 24, v4
	s_cbranch_vccz .LBB16_889
; %bb.878:
	global_load_u8 v3, v[1:2], off
	s_mov_b32 s7, exec_lo
                                        ; implicit-def: $sgpr6
	s_waitcnt vmcnt(0)
	v_cmpx_lt_i16_e32 0x7f, v3
	s_xor_b32 s7, exec_lo, s7
	s_cbranch_execz .LBB16_901
; %bb.879:
	s_mov_b32 s3, -1
	s_mov_b32 s12, exec_lo
                                        ; implicit-def: $sgpr6
	v_cmpx_eq_u16_e32 0x80, v3
; %bb.880:
	s_mov_b32 s6, 0x7f800001
	s_xor_b32 s3, exec_lo, -1
; %bb.881:
	s_or_b32 exec_lo, exec_lo, s12
	s_delay_alu instid0(SALU_CYCLE_1)
	s_and_b32 s3, s3, exec_lo
	s_or_saveexec_b32 s7, s7
	v_mov_b32_e32 v6, s6
	s_xor_b32 exec_lo, exec_lo, s7
	s_cbranch_execnz .LBB16_902
.LBB16_882:
	s_or_b32 exec_lo, exec_lo, s7
	s_and_saveexec_b32 s6, s3
	s_cbranch_execz .LBB16_884
.LBB16_883:
	v_and_b32_e32 v5, 0xffff, v3
	v_lshlrev_b32_e32 v3, 24, v3
	s_delay_alu instid0(VALU_DEP_2) | instskip(NEXT) | instid1(VALU_DEP_2)
	v_and_b32_e32 v6, 3, v5
	v_and_b32_e32 v3, 0x80000000, v3
	s_delay_alu instid0(VALU_DEP_2) | instskip(NEXT) | instid1(VALU_DEP_1)
	v_clz_i32_u32_e32 v7, v6
	v_min_u32_e32 v7, 32, v7
	s_delay_alu instid0(VALU_DEP_1) | instskip(SKIP_1) | instid1(VALU_DEP_2)
	v_subrev_nc_u32_e32 v8, 29, v7
	v_sub_nc_u32_e32 v7, 30, v7
	v_lshlrev_b32_e32 v8, v8, v5
	v_bfe_u32 v5, v5, 2, 5
	s_delay_alu instid0(VALU_DEP_2) | instskip(NEXT) | instid1(VALU_DEP_2)
	v_and_b32_e32 v8, 3, v8
	v_cmp_eq_u32_e32 vcc_lo, 0, v5
	s_delay_alu instid0(VALU_DEP_2) | instskip(NEXT) | instid1(VALU_DEP_1)
	v_dual_cndmask_b32 v5, v5, v7 :: v_dual_cndmask_b32 v6, v6, v8
	v_lshl_add_u32 v5, v5, 23, 0x37800000
	s_delay_alu instid0(VALU_DEP_2) | instskip(NEXT) | instid1(VALU_DEP_1)
	v_lshlrev_b32_e32 v6, 21, v6
	v_or3_b32 v6, v3, v5, v6
.LBB16_884:
	s_or_b32 exec_lo, exec_lo, s6
	s_mov_b32 s3, 0
	s_branch .LBB16_890
.LBB16_885:
	s_mov_b32 s3, -1
                                        ; implicit-def: $vgpr6
	s_branch .LBB16_896
.LBB16_886:
	s_or_saveexec_b32 s12, s12
	v_mov_b32_e32 v6, s7
	s_xor_b32 exec_lo, exec_lo, s12
	s_cbranch_execz .LBB16_869
.LBB16_887:
	v_cmp_ne_u16_e32 vcc_lo, 0, v3
	v_mov_b32_e32 v6, 0
	s_and_not1_b32 s6, s6, exec_lo
	s_and_b32 s7, vcc_lo, exec_lo
	s_delay_alu instid0(SALU_CYCLE_1)
	s_or_b32 s6, s6, s7
	s_or_b32 exec_lo, exec_lo, s12
	s_and_saveexec_b32 s7, s6
	s_cbranch_execnz .LBB16_870
	s_branch .LBB16_871
.LBB16_888:
	s_mov_b32 s3, -1
                                        ; implicit-def: $vgpr6
	s_branch .LBB16_893
.LBB16_889:
	s_mov_b32 s3, -1
                                        ; implicit-def: $vgpr6
.LBB16_890:
	s_delay_alu instid0(SALU_CYCLE_1)
	s_and_b32 vcc_lo, exec_lo, s3
	s_cbranch_vccz .LBB16_892
; %bb.891:
	global_load_u8 v3, v[1:2], off
	s_waitcnt vmcnt(0)
	v_lshlrev_b32_e32 v3, 24, v3
	s_delay_alu instid0(VALU_DEP_1) | instskip(NEXT) | instid1(VALU_DEP_1)
	v_and_b32_e32 v5, 0x7f000000, v3
	v_clz_i32_u32_e32 v6, v5
	v_cmp_ne_u32_e32 vcc_lo, 0, v5
	v_add_nc_u32_e32 v8, 0x1000000, v5
	s_delay_alu instid0(VALU_DEP_3) | instskip(NEXT) | instid1(VALU_DEP_1)
	v_min_u32_e32 v6, 32, v6
	v_sub_nc_u32_e64 v6, v6, 4 clamp
	s_delay_alu instid0(VALU_DEP_1) | instskip(SKIP_1) | instid1(VALU_DEP_2)
	v_lshlrev_b32_e32 v7, v6, v5
	v_lshlrev_b32_e32 v6, 23, v6
	v_lshrrev_b32_e32 v7, 4, v7
	s_delay_alu instid0(VALU_DEP_1) | instskip(SKIP_1) | instid1(VALU_DEP_2)
	v_sub_nc_u32_e32 v6, v7, v6
	v_ashrrev_i32_e32 v7, 8, v8
	v_add_nc_u32_e32 v6, 0x3c000000, v6
	s_delay_alu instid0(VALU_DEP_1) | instskip(NEXT) | instid1(VALU_DEP_1)
	v_and_or_b32 v6, 0x7f800000, v7, v6
	v_cndmask_b32_e32 v5, 0, v6, vcc_lo
	s_delay_alu instid0(VALU_DEP_1)
	v_and_or_b32 v6, 0x80000000, v3, v5
.LBB16_892:
	s_mov_b32 s3, 0
.LBB16_893:
	s_delay_alu instid0(SALU_CYCLE_1)
	s_and_not1_b32 vcc_lo, exec_lo, s3
	s_cbranch_vccnz .LBB16_895
; %bb.894:
	global_load_u8 v3, v[1:2], off
	s_waitcnt vmcnt(0)
	v_lshlrev_b32_e32 v5, 25, v3
	v_lshlrev_b16 v3, 8, v3
	s_delay_alu instid0(VALU_DEP_2) | instskip(NEXT) | instid1(VALU_DEP_2)
	v_lshrrev_b32_e32 v6, 4, v5
	v_and_or_b32 v7, 0x7f00, v3, 0.5
	v_bfe_i32 v3, v3, 0, 16
	s_delay_alu instid0(VALU_DEP_3) | instskip(NEXT) | instid1(VALU_DEP_1)
	v_or_b32_e32 v6, 0x70000000, v6
	v_dual_add_f32 v7, -0.5, v7 :: v_dual_mul_f32 v6, 0x7800000, v6
	v_cmp_gt_u32_e32 vcc_lo, 0x8000000, v5
	s_delay_alu instid0(VALU_DEP_2) | instskip(NEXT) | instid1(VALU_DEP_1)
	v_cndmask_b32_e32 v5, v6, v7, vcc_lo
	v_and_or_b32 v6, 0x80000000, v3, v5
.LBB16_895:
	s_mov_b32 s3, 0
	s_mov_b32 s6, -1
.LBB16_896:
	s_and_not1_b32 vcc_lo, exec_lo, s3
	s_mov_b32 s3, 0
	s_cbranch_vccnz .LBB16_907
; %bb.897:
	v_cmp_lt_i16_e32 vcc_lo, 14, v4
	s_cbranch_vccz .LBB16_900
; %bb.898:
	v_cmp_eq_u16_e32 vcc_lo, 15, v4
	s_cbranch_vccz .LBB16_903
; %bb.899:
	global_load_u16 v3, v[1:2], off
	s_mov_b32 s2, 0
	s_mov_b32 s6, -1
	s_waitcnt vmcnt(0)
	v_lshlrev_b32_e32 v6, 16, v3
	s_branch .LBB16_905
.LBB16_900:
	s_mov_b32 s3, -1
	s_branch .LBB16_904
.LBB16_901:
	s_or_saveexec_b32 s7, s7
	v_mov_b32_e32 v6, s6
	s_xor_b32 exec_lo, exec_lo, s7
	s_cbranch_execz .LBB16_882
.LBB16_902:
	v_cmp_ne_u16_e32 vcc_lo, 0, v3
	v_mov_b32_e32 v6, 0
	s_and_not1_b32 s3, s3, exec_lo
	s_and_b32 s6, vcc_lo, exec_lo
	s_delay_alu instid0(SALU_CYCLE_1)
	s_or_b32 s3, s3, s6
	s_or_b32 exec_lo, exec_lo, s7
	s_and_saveexec_b32 s6, s3
	s_cbranch_execnz .LBB16_883
	s_branch .LBB16_884
.LBB16_903:
	s_mov_b32 s2, -1
.LBB16_904:
                                        ; implicit-def: $vgpr6
.LBB16_905:
	s_and_b32 vcc_lo, exec_lo, s3
	s_mov_b32 s3, 0
	s_cbranch_vccz .LBB16_907
; %bb.906:
	v_cmp_ne_u16_e32 vcc_lo, 11, v4
	s_and_not1_b32 s2, s2, exec_lo
	s_mov_b32 s3, -1
                                        ; implicit-def: $vgpr6
	s_and_b32 s7, vcc_lo, exec_lo
	s_delay_alu instid0(SALU_CYCLE_1)
	s_or_b32 s2, s2, s7
.LBB16_907:
	s_mov_b32 s7, 0
.LBB16_908:
	s_and_b32 s46, s6, exec_lo
	s_and_b32 s47, s7, exec_lo
	s_and_not1_b32 s6, s26, exec_lo
	s_and_b32 s7, s2, exec_lo
	s_and_b32 s2, s3, exec_lo
	s_or_b32 s48, s6, s7
.LBB16_909:
	s_or_b32 exec_lo, exec_lo, s36
	s_delay_alu instid0(SALU_CYCLE_1)
	s_and_not1_b32 s6, s26, exec_lo
	s_and_b32 s7, s48, exec_lo
	s_and_b32 s46, s46, exec_lo
	s_and_b32 s3, s47, exec_lo
	s_and_b32 s2, s2, exec_lo
	s_or_b32 s26, s6, s7
.LBB16_910:
	s_or_b32 exec_lo, exec_lo, s45
	s_delay_alu instid0(SALU_CYCLE_1)
	s_and_not1_b32 s6, s43, exec_lo
	s_and_b32 s7, s27, exec_lo
	s_and_b32 s45, s46, exec_lo
	s_or_b32 s43, s6, s7
	s_and_not1_b32 s6, s42, exec_lo
	s_and_b32 s7, s26, exec_lo
	s_and_b32 s27, s3, exec_lo
	s_and_b32 s3, s2, exec_lo
	s_or_b32 s42, s6, s7
.LBB16_911:
	s_or_b32 exec_lo, exec_lo, s44
	s_delay_alu instid0(SALU_CYCLE_1)
	s_and_not1_b32 s2, s39, exec_lo
	s_and_b32 s6, s43, exec_lo
	s_and_b32 s7, s42, exec_lo
	s_or_b32 s39, s2, s6
	s_and_not1_b32 s6, s40, exec_lo
	s_and_b32 s2, s45, exec_lo
	s_and_b32 s26, s27, exec_lo
	;; [unrolled: 1-line block ×3, first 2 shown]
	s_or_b32 s40, s6, s7
.LBB16_912:
	s_or_b32 exec_lo, exec_lo, s41
	s_mov_b32 s3, 0
	s_and_saveexec_b32 s6, s40
	s_cbranch_execnz .LBB16_924
; %bb.913:
	s_or_b32 exec_lo, exec_lo, s6
	s_and_saveexec_b32 s6, s42
	s_delay_alu instid0(SALU_CYCLE_1)
	s_xor_b32 s6, exec_lo, s6
	s_cbranch_execz .LBB16_915
.LBB16_914:
	global_load_u8 v3, v[1:2], off
	s_or_b32 s2, s2, exec_lo
	s_waitcnt vmcnt(0)
	v_cmp_ne_u16_e32 vcc_lo, 0, v3
	v_cndmask_b32_e64 v6, 0, 1.0, vcc_lo
.LBB16_915:
	s_or_b32 exec_lo, exec_lo, s6
	s_and_saveexec_b32 s6, s26
	s_cbranch_execz .LBB16_963
; %bb.916:
	v_cmp_gt_i16_e32 vcc_lo, 5, v4
	s_cbranch_vccnz .LBB16_921
; %bb.917:
	v_cmp_gt_i16_e32 vcc_lo, 8, v4
	s_cbranch_vccnz .LBB16_922
	;; [unrolled: 3-line block ×3, first 2 shown]
; %bb.919:
	v_cmp_lt_i16_e32 vcc_lo, 9, v4
	s_cbranch_vccz .LBB16_926
; %bb.920:
	global_load_b64 v[5:6], v[1:2], off
	s_mov_b32 s7, 0
	s_waitcnt vmcnt(0)
	v_cvt_f32_f64_e32 v6, v[5:6]
	s_branch .LBB16_927
.LBB16_921:
                                        ; implicit-def: $vgpr6
	s_branch .LBB16_944
.LBB16_922:
                                        ; implicit-def: $vgpr6
	s_branch .LBB16_933
.LBB16_923:
	s_mov_b32 s7, -1
                                        ; implicit-def: $vgpr6
	s_branch .LBB16_930
.LBB16_924:
	s_cbranch_execnz .LBB16_1196
; %bb.925:
	s_mov_b32 s3, exec_lo
	s_and_not1_b32 s42, s42, exec_lo
                                        ; implicit-def: $vgpr6
	s_or_b32 exec_lo, exec_lo, s6
	s_and_saveexec_b32 s6, s42
	s_delay_alu instid0(SALU_CYCLE_1)
	s_xor_b32 s6, exec_lo, s6
	s_cbranch_execnz .LBB16_914
	s_branch .LBB16_915
.LBB16_926:
	s_mov_b32 s7, -1
                                        ; implicit-def: $vgpr6
.LBB16_927:
	s_delay_alu instid0(SALU_CYCLE_1)
	s_and_not1_b32 vcc_lo, exec_lo, s7
	s_cbranch_vccnz .LBB16_929
; %bb.928:
	global_load_b32 v6, v[1:2], off
.LBB16_929:
	s_mov_b32 s7, 0
.LBB16_930:
	s_delay_alu instid0(SALU_CYCLE_1)
	s_and_not1_b32 vcc_lo, exec_lo, s7
	s_cbranch_vccnz .LBB16_932
; %bb.931:
	global_load_b32 v3, v[1:2], off
	s_waitcnt vmcnt(0)
	v_cvt_f32_f16_e32 v6, v3
.LBB16_932:
	s_cbranch_execnz .LBB16_943
.LBB16_933:
	v_cmp_gt_i16_e32 vcc_lo, 6, v4
	s_cbranch_vccnz .LBB16_936
; %bb.934:
	v_cmp_lt_i16_e32 vcc_lo, 6, v4
	s_cbranch_vccz .LBB16_937
; %bb.935:
	global_load_b64 v[5:6], v[1:2], off
	s_mov_b32 s7, 0
	s_waitcnt vmcnt(0)
	v_cvt_f32_f64_e32 v6, v[5:6]
	s_branch .LBB16_938
.LBB16_936:
	s_mov_b32 s7, -1
                                        ; implicit-def: $vgpr6
	s_branch .LBB16_941
.LBB16_937:
	s_mov_b32 s7, -1
                                        ; implicit-def: $vgpr6
.LBB16_938:
	s_delay_alu instid0(SALU_CYCLE_1)
	s_and_not1_b32 vcc_lo, exec_lo, s7
	s_cbranch_vccnz .LBB16_940
; %bb.939:
	global_load_b32 v6, v[1:2], off
.LBB16_940:
	s_mov_b32 s7, 0
.LBB16_941:
	s_delay_alu instid0(SALU_CYCLE_1)
	s_and_not1_b32 vcc_lo, exec_lo, s7
	s_cbranch_vccnz .LBB16_943
; %bb.942:
	global_load_u16 v3, v[1:2], off
	s_waitcnt vmcnt(0)
	v_cvt_f32_f16_e32 v6, v3
.LBB16_943:
	s_cbranch_execnz .LBB16_962
.LBB16_944:
	v_cmp_gt_i16_e32 vcc_lo, 2, v4
	s_cbranch_vccnz .LBB16_948
; %bb.945:
	v_cmp_gt_i16_e32 vcc_lo, 3, v4
	s_cbranch_vccnz .LBB16_949
; %bb.946:
	v_cmp_lt_i16_e32 vcc_lo, 3, v4
	s_cbranch_vccz .LBB16_950
; %bb.947:
	global_load_b64 v[5:6], v[1:2], off
	s_mov_b32 s7, 0
	s_waitcnt vmcnt(0)
	v_xor_b32_e32 v3, v5, v6
	v_cls_i32_e32 v7, v6
	s_delay_alu instid0(VALU_DEP_2) | instskip(NEXT) | instid1(VALU_DEP_2)
	v_ashrrev_i32_e32 v3, 31, v3
	v_add_nc_u32_e32 v7, -1, v7
	s_delay_alu instid0(VALU_DEP_2) | instskip(NEXT) | instid1(VALU_DEP_1)
	v_add_nc_u32_e32 v3, 32, v3
	v_min_u32_e32 v3, v7, v3
	s_delay_alu instid0(VALU_DEP_1) | instskip(SKIP_1) | instid1(VALU_DEP_2)
	v_lshlrev_b64 v[5:6], v3, v[5:6]
	v_sub_nc_u32_e32 v3, 32, v3
	v_min_u32_e32 v5, 1, v5
	s_delay_alu instid0(VALU_DEP_1) | instskip(NEXT) | instid1(VALU_DEP_1)
	v_or_b32_e32 v5, v6, v5
	v_cvt_f32_i32_e32 v5, v5
	s_delay_alu instid0(VALU_DEP_1)
	v_ldexp_f32 v6, v5, v3
	s_branch .LBB16_951
.LBB16_948:
                                        ; implicit-def: $vgpr6
	s_branch .LBB16_957
.LBB16_949:
	s_mov_b32 s7, -1
                                        ; implicit-def: $vgpr6
	s_branch .LBB16_954
.LBB16_950:
	s_mov_b32 s7, -1
                                        ; implicit-def: $vgpr6
.LBB16_951:
	s_delay_alu instid0(SALU_CYCLE_1)
	s_and_not1_b32 vcc_lo, exec_lo, s7
	s_cbranch_vccnz .LBB16_953
; %bb.952:
	global_load_b32 v3, v[1:2], off
	s_waitcnt vmcnt(0)
	v_cvt_f32_i32_e32 v6, v3
.LBB16_953:
	s_mov_b32 s7, 0
.LBB16_954:
	s_delay_alu instid0(SALU_CYCLE_1)
	s_and_not1_b32 vcc_lo, exec_lo, s7
	s_cbranch_vccnz .LBB16_956
; %bb.955:
	global_load_i16 v3, v[1:2], off
	s_waitcnt vmcnt(0)
	v_cvt_f32_i32_e32 v6, v3
.LBB16_956:
	s_cbranch_execnz .LBB16_962
.LBB16_957:
	v_cmp_lt_i16_e32 vcc_lo, 0, v4
	s_mov_b32 s7, 0
	s_cbranch_vccz .LBB16_959
; %bb.958:
	global_load_i8 v3, v[1:2], off
	s_waitcnt vmcnt(0)
	v_cvt_f32_i32_e32 v6, v3
	s_branch .LBB16_960
.LBB16_959:
	s_mov_b32 s7, -1
                                        ; implicit-def: $vgpr6
.LBB16_960:
	s_delay_alu instid0(SALU_CYCLE_1)
	s_and_not1_b32 vcc_lo, exec_lo, s7
	s_cbranch_vccnz .LBB16_962
; %bb.961:
	global_load_u8 v1, v[1:2], off
	s_waitcnt vmcnt(0)
	v_cvt_f32_ubyte0_e32 v6, v1
.LBB16_962:
	s_or_b32 s2, s2, exec_lo
.LBB16_963:
	s_or_b32 exec_lo, exec_lo, s6
	s_mov_b32 s12, 0
	s_mov_b32 s7, 0
                                        ; implicit-def: $vgpr5
                                        ; implicit-def: $vgpr1_vgpr2
                                        ; implicit-def: $vgpr3
	s_and_saveexec_b32 s6, s2
	s_cbranch_execz .LBB16_1042
; %bb.964:
	s_mov_b32 s2, exec_lo
	s_waitcnt vmcnt(0)
	s_delay_alu instid0(VALU_DEP_1)
	v_cmpx_nlg_f32_e64 0x7f800000, |v6|
	s_cbranch_execz .LBB16_966
; %bb.965:
	v_dual_mov_b32 v1, 0 :: v_dual_mov_b32 v2, 1.0
	global_store_b32 v1, v2, s[8:9]
.LBB16_966:
	s_or_b32 exec_lo, exec_lo, s2
	v_mov_b32_e32 v1, 0
	v_and_b32_e64 v5, 0xff, s34
	s_mov_b32 s8, 0
	global_load_b32 v3, v1, s[10:11]
	v_add_co_u32 v1, s2, s4, v0
	s_delay_alu instid0(VALU_DEP_1)
	v_add_co_ci_u32_e64 v2, null, s5, 0, s2
	v_cmp_gt_i16_e32 vcc_lo, 11, v5
	s_mov_b32 s4, -1
	s_and_b32 vcc_lo, exec_lo, vcc_lo
	s_waitcnt vmcnt(0)
	v_mul_f32_e32 v4, v6, v3
	v_cmp_eq_f32_e64 s2, 1.0, v3
	s_delay_alu instid0(VALU_DEP_1)
	v_cndmask_b32_e64 v3, v4, v6, s2
	s_mov_b32 s2, s39
	s_cbranch_vccnz .LBB16_1041
; %bb.967:
	v_cmp_lt_i16_e32 vcc_lo, 25, v5
	s_mov_b32 s2, s39
	s_cbranch_vccz .LBB16_1000
; %bb.968:
	v_cmp_lt_i16_e32 vcc_lo, 28, v5
	s_mov_b32 s2, s39
	s_cbranch_vccz .LBB16_984
	;; [unrolled: 4-line block ×4, first 2 shown]
; %bb.971:
	v_cmp_eq_u16_e32 vcc_lo, 46, v5
	s_mov_b32 s2, -1
	s_cbranch_vccz .LBB16_973
; %bb.972:
	v_bfe_u32 v0, v3, 16, 1
	v_cmp_o_f32_e32 vcc_lo, v3, v3
	s_mov_b32 s2, 0
	s_delay_alu instid0(VALU_DEP_2) | instskip(NEXT) | instid1(VALU_DEP_1)
	v_add3_u32 v0, v3, v0, 0x7fff
	v_lshrrev_b32_e32 v0, 16, v0
	s_delay_alu instid0(VALU_DEP_1)
	v_cndmask_b32_e32 v0, 0x7fc0, v0, vcc_lo
	global_store_b32 v[1:2], v0, off
.LBB16_973:
	s_mov_b32 s4, 0
.LBB16_974:
	s_delay_alu instid0(SALU_CYCLE_1)
	s_and_b32 vcc_lo, exec_lo, s4
	s_cbranch_vccz .LBB16_979
; %bb.975:
	v_cmp_eq_u16_e32 vcc_lo, 44, v5
	s_mov_b32 s2, -1
	s_cbranch_vccz .LBB16_979
; %bb.976:
	v_bfe_u32 v4, v3, 23, 8
	v_mov_b32_e32 v0, 0xff
	s_mov_b32 s4, exec_lo
	s_delay_alu instid0(VALU_DEP_2)
	v_cmpx_ne_u32_e32 0xff, v4
; %bb.977:
	v_and_b32_e32 v0, 0x400000, v3
	v_and_or_b32 v4, 0x3fffff, v3, v4
	s_delay_alu instid0(VALU_DEP_2) | instskip(NEXT) | instid1(VALU_DEP_2)
	v_cmp_ne_u32_e32 vcc_lo, 0, v0
	v_cmp_ne_u32_e64 s2, 0, v4
	v_lshrrev_b32_e32 v0, 23, v3
	s_delay_alu instid0(VALU_DEP_2) | instskip(NEXT) | instid1(SALU_CYCLE_1)
	s_and_b32 s2, vcc_lo, s2
	v_cndmask_b32_e64 v4, 0, 1, s2
	s_delay_alu instid0(VALU_DEP_1)
	v_add_nc_u32_e32 v0, v0, v4
; %bb.978:
	s_or_b32 exec_lo, exec_lo, s4
	s_mov_b32 s2, 0
	global_store_b8 v[1:2], v0, off
.LBB16_979:
	s_mov_b32 s4, 0
.LBB16_980:
	s_delay_alu instid0(SALU_CYCLE_1)
	s_and_b32 vcc_lo, exec_lo, s4
	s_cbranch_vccz .LBB16_983
; %bb.981:
	v_cmp_eq_u16_e32 vcc_lo, 29, v5
	s_mov_b32 s2, -1
	s_cbranch_vccz .LBB16_983
; %bb.982:
	v_trunc_f32_e32 v0, v3
	s_mov_b32 s2, 0
	s_delay_alu instid0(VALU_DEP_1) | instskip(NEXT) | instid1(VALU_DEP_1)
	v_mul_f32_e32 v4, 0x2f800000, v0
	v_floor_f32_e32 v4, v4
	s_delay_alu instid0(VALU_DEP_1) | instskip(SKIP_1) | instid1(VALU_DEP_2)
	v_fmamk_f32 v0, v4, 0xcf800000, v0
	v_cvt_u32_f32_e32 v7, v4
	v_cvt_u32_f32_e32 v6, v0
	global_store_b64 v[1:2], v[6:7], off
.LBB16_983:
	s_mov_b32 s4, 0
.LBB16_984:
	s_delay_alu instid0(SALU_CYCLE_1)
	s_and_b32 vcc_lo, exec_lo, s4
	s_cbranch_vccz .LBB16_999
; %bb.985:
	v_cmp_gt_i16_e32 vcc_lo, 27, v5
	s_mov_b32 s4, -1
	s_cbranch_vccnz .LBB16_991
; %bb.986:
	v_cmp_lt_i16_e32 vcc_lo, 27, v5
	v_cvt_u32_f32_e32 v0, v3
	s_cbranch_vccz .LBB16_988
; %bb.987:
	s_mov_b32 s4, 0
	global_store_b32 v[1:2], v0, off
.LBB16_988:
	s_and_not1_b32 vcc_lo, exec_lo, s4
	s_cbranch_vccnz .LBB16_990
; %bb.989:
	global_store_b16 v[1:2], v0, off
.LBB16_990:
	s_mov_b32 s4, 0
.LBB16_991:
	s_delay_alu instid0(SALU_CYCLE_1)
	s_and_not1_b32 vcc_lo, exec_lo, s4
	s_cbranch_vccnz .LBB16_999
; %bb.992:
	v_and_b32_e32 v0, 0x7fffffff, v3
	v_mov_b32_e32 v4, 0x80
	s_mov_b32 s4, exec_lo
	s_delay_alu instid0(VALU_DEP_2)
	v_cmpx_gt_u32_e32 0x43800000, v0
	s_cbranch_execz .LBB16_998
; %bb.993:
	v_cmp_lt_u32_e32 vcc_lo, 0x3bffffff, v0
	s_mov_b32 s5, 0
                                        ; implicit-def: $vgpr0
	s_and_saveexec_b32 s7, vcc_lo
	s_delay_alu instid0(SALU_CYCLE_1)
	s_xor_b32 s7, exec_lo, s7
	s_cbranch_execz .LBB16_1289
; %bb.994:
	v_bfe_u32 v0, v3, 20, 1
	s_mov_b32 s5, exec_lo
	s_delay_alu instid0(VALU_DEP_1) | instskip(NEXT) | instid1(VALU_DEP_1)
	v_add3_u32 v0, v3, v0, 0x487ffff
	v_lshrrev_b32_e32 v0, 20, v0
	s_or_saveexec_b32 s7, s7
                                        ; implicit-def: $sgpr8
	s_delay_alu instid0(SALU_CYCLE_1)
	s_xor_b32 exec_lo, exec_lo, s7
	s_cbranch_execnz .LBB16_1290
.LBB16_995:
	s_or_b32 exec_lo, exec_lo, s7
	v_mov_b32_e32 v4, s8
	s_and_saveexec_b32 s7, s5
.LBB16_996:
	v_lshrrev_b32_e32 v4, 24, v3
	s_delay_alu instid0(VALU_DEP_1)
	v_and_or_b32 v4, 0x80, v4, v0
.LBB16_997:
	s_or_b32 exec_lo, exec_lo, s7
.LBB16_998:
	s_delay_alu instid0(SALU_CYCLE_1)
	s_or_b32 exec_lo, exec_lo, s4
	global_store_b8 v[1:2], v4, off
.LBB16_999:
	s_mov_b32 s4, 0
.LBB16_1000:
	s_delay_alu instid0(SALU_CYCLE_1)
	s_and_b32 vcc_lo, exec_lo, s4
	s_mov_b32 s4, 0
	s_cbranch_vccz .LBB16_1040
; %bb.1001:
	v_cmp_lt_i16_e32 vcc_lo, 22, v5
	s_mov_b32 s5, -1
	s_cbranch_vccz .LBB16_1033
; %bb.1002:
	v_cmp_gt_i16_e32 vcc_lo, 24, v5
	s_cbranch_vccnz .LBB16_1022
; %bb.1003:
	v_cmp_lt_i16_e32 vcc_lo, 24, v5
	s_cbranch_vccz .LBB16_1011
; %bb.1004:
	v_and_b32_e32 v0, 0x7fffffff, v3
	v_mov_b32_e32 v4, 0x80
	s_mov_b32 s5, exec_lo
	s_delay_alu instid0(VALU_DEP_2)
	v_cmpx_gt_u32_e32 0x47800000, v0
	s_cbranch_execz .LBB16_1010
; %bb.1005:
	v_cmp_lt_u32_e32 vcc_lo, 0x37ffffff, v0
	s_mov_b32 s7, 0
                                        ; implicit-def: $vgpr0
	s_and_saveexec_b32 s8, vcc_lo
	s_delay_alu instid0(SALU_CYCLE_1)
	s_xor_b32 s8, exec_lo, s8
	s_cbranch_execz .LBB16_1333
; %bb.1006:
	v_bfe_u32 v0, v3, 21, 1
	s_mov_b32 s7, exec_lo
	s_delay_alu instid0(VALU_DEP_1) | instskip(NEXT) | instid1(VALU_DEP_1)
	v_add3_u32 v0, v3, v0, 0x88fffff
	v_lshrrev_b32_e32 v0, 21, v0
	s_or_saveexec_b32 s8, s8
                                        ; implicit-def: $sgpr9
	s_delay_alu instid0(SALU_CYCLE_1)
	s_xor_b32 exec_lo, exec_lo, s8
	s_cbranch_execnz .LBB16_1334
.LBB16_1007:
	s_or_b32 exec_lo, exec_lo, s8
	v_mov_b32_e32 v4, s9
	s_and_saveexec_b32 s8, s7
.LBB16_1008:
	v_lshrrev_b32_e32 v4, 24, v3
	s_delay_alu instid0(VALU_DEP_1)
	v_and_or_b32 v4, 0x80, v4, v0
.LBB16_1009:
	s_or_b32 exec_lo, exec_lo, s8
.LBB16_1010:
	s_delay_alu instid0(SALU_CYCLE_1)
	s_or_b32 exec_lo, exec_lo, s5
	s_mov_b32 s5, 0
	global_store_b8 v[1:2], v4, off
.LBB16_1011:
	s_and_b32 vcc_lo, exec_lo, s5
	s_cbranch_vccz .LBB16_1021
; %bb.1012:
	v_and_b32_e32 v4, 0x7fffffff, v3
	s_mov_b32 s5, exec_lo
                                        ; implicit-def: $vgpr0
	s_delay_alu instid0(VALU_DEP_1)
	v_cmpx_gt_u32_e32 0x43f00000, v4
	s_xor_b32 s5, exec_lo, s5
	s_cbranch_execz .LBB16_1018
; %bb.1013:
	s_mov_b32 s7, exec_lo
                                        ; implicit-def: $vgpr0
	v_cmpx_lt_u32_e32 0x3c7fffff, v4
	s_xor_b32 s7, exec_lo, s7
; %bb.1014:
	v_bfe_u32 v0, v3, 20, 1
	s_delay_alu instid0(VALU_DEP_1) | instskip(NEXT) | instid1(VALU_DEP_1)
	v_add3_u32 v0, v3, v0, 0x407ffff
	v_and_b32_e32 v4, 0xff00000, v0
	v_lshrrev_b32_e32 v0, 20, v0
	s_delay_alu instid0(VALU_DEP_2) | instskip(NEXT) | instid1(VALU_DEP_2)
	v_cmp_ne_u32_e32 vcc_lo, 0x7f00000, v4
	v_cndmask_b32_e32 v0, 0x7e, v0, vcc_lo
; %bb.1015:
	s_and_not1_saveexec_b32 s7, s7
; %bb.1016:
	v_add_f32_e64 v0, 0x46800000, |v3|
; %bb.1017:
	s_or_b32 exec_lo, exec_lo, s7
                                        ; implicit-def: $vgpr4
.LBB16_1018:
	s_and_not1_saveexec_b32 s5, s5
; %bb.1019:
	v_mov_b32_e32 v0, 0x7f
	v_cmp_lt_u32_e32 vcc_lo, 0x7f800000, v4
	s_delay_alu instid0(VALU_DEP_2)
	v_cndmask_b32_e32 v0, 0x7e, v0, vcc_lo
; %bb.1020:
	s_or_b32 exec_lo, exec_lo, s5
	v_lshrrev_b32_e32 v4, 24, v3
	s_delay_alu instid0(VALU_DEP_1)
	v_and_or_b32 v0, 0x80, v4, v0
	global_store_b8 v[1:2], v0, off
.LBB16_1021:
	s_mov_b32 s5, 0
.LBB16_1022:
	s_delay_alu instid0(SALU_CYCLE_1)
	s_and_not1_b32 vcc_lo, exec_lo, s5
	s_cbranch_vccnz .LBB16_1032
; %bb.1023:
	v_and_b32_e32 v4, 0x7fffffff, v3
	s_mov_b32 s5, exec_lo
                                        ; implicit-def: $vgpr0
	s_delay_alu instid0(VALU_DEP_1)
	v_cmpx_gt_u32_e32 0x47800000, v4
	s_xor_b32 s5, exec_lo, s5
	s_cbranch_execz .LBB16_1029
; %bb.1024:
	s_mov_b32 s7, exec_lo
                                        ; implicit-def: $vgpr0
	v_cmpx_lt_u32_e32 0x387fffff, v4
	s_xor_b32 s7, exec_lo, s7
; %bb.1025:
	v_bfe_u32 v0, v3, 21, 1
	s_delay_alu instid0(VALU_DEP_1) | instskip(NEXT) | instid1(VALU_DEP_1)
	v_add3_u32 v0, v3, v0, 0x80fffff
	v_lshrrev_b32_e32 v0, 21, v0
; %bb.1026:
	s_and_not1_saveexec_b32 s7, s7
; %bb.1027:
	v_add_f32_e64 v0, 0x43000000, |v3|
; %bb.1028:
	s_or_b32 exec_lo, exec_lo, s7
                                        ; implicit-def: $vgpr4
.LBB16_1029:
	s_and_not1_saveexec_b32 s5, s5
; %bb.1030:
	v_mov_b32_e32 v0, 0x7f
	v_cmp_lt_u32_e32 vcc_lo, 0x7f800000, v4
	s_delay_alu instid0(VALU_DEP_2)
	v_cndmask_b32_e32 v0, 0x7c, v0, vcc_lo
; %bb.1031:
	s_or_b32 exec_lo, exec_lo, s5
	v_lshrrev_b32_e32 v4, 24, v3
	s_delay_alu instid0(VALU_DEP_1)
	v_and_or_b32 v0, 0x80, v4, v0
	global_store_b8 v[1:2], v0, off
.LBB16_1032:
	s_mov_b32 s5, 0
.LBB16_1033:
	s_delay_alu instid0(SALU_CYCLE_1)
	s_and_not1_b32 vcc_lo, exec_lo, s5
	s_mov_b32 s8, 0
	s_cbranch_vccnz .LBB16_1041
; %bb.1034:
	v_cmp_lt_i16_e32 vcc_lo, 14, v5
	s_mov_b32 s5, -1
	s_cbranch_vccz .LBB16_1038
; %bb.1035:
	v_cmp_eq_u16_e32 vcc_lo, 15, v5
	s_mov_b32 s2, -1
	s_cbranch_vccz .LBB16_1037
; %bb.1036:
	v_bfe_u32 v0, v3, 16, 1
	v_cmp_o_f32_e32 vcc_lo, v3, v3
	s_mov_b32 s2, 0
	s_delay_alu instid0(VALU_DEP_2) | instskip(NEXT) | instid1(VALU_DEP_1)
	v_add3_u32 v0, v3, v0, 0x7fff
	v_lshrrev_b32_e32 v0, 16, v0
	s_delay_alu instid0(VALU_DEP_1)
	v_cndmask_b32_e32 v0, 0x7fc0, v0, vcc_lo
	global_store_b16 v[1:2], v0, off
.LBB16_1037:
	s_mov_b32 s5, 0
.LBB16_1038:
	s_delay_alu instid0(SALU_CYCLE_1)
	s_and_b32 vcc_lo, exec_lo, s5
	s_cbranch_vccz .LBB16_1041
; %bb.1039:
	v_cmp_ne_u16_e32 vcc_lo, 11, v5
	s_and_not1_b32 s2, s2, exec_lo
	s_mov_b32 s8, -1
	s_and_b32 s5, vcc_lo, exec_lo
	s_delay_alu instid0(SALU_CYCLE_1)
	s_or_b32 s2, s2, s5
	s_branch .LBB16_1041
.LBB16_1040:
	s_mov_b32 s8, 0
.LBB16_1041:
	s_and_b32 s7, s4, exec_lo
	s_and_not1_b32 s4, s39, exec_lo
	s_and_b32 s2, s2, exec_lo
	s_and_b32 s12, s8, exec_lo
	s_or_b32 s39, s4, s2
.LBB16_1042:
	s_or_b32 exec_lo, exec_lo, s6
	s_and_saveexec_b32 s2, s39
	s_cbranch_execnz .LBB16_1156
; %bb.1043:
	s_or_b32 exec_lo, exec_lo, s2
	s_and_saveexec_b32 s2, s12
	s_delay_alu instid0(SALU_CYCLE_1)
	s_xor_b32 s2, exec_lo, s2
	s_cbranch_execz .LBB16_1045
.LBB16_1044:
	s_waitcnt vmcnt(0)
	v_cmp_neq_f32_e32 vcc_lo, 0, v3
	v_cndmask_b32_e64 v0, 0, 1, vcc_lo
	global_store_b8 v[1:2], v0, off
.LBB16_1045:
	s_or_b32 exec_lo, exec_lo, s2
	s_and_saveexec_b32 s2, s7
	s_delay_alu instid0(SALU_CYCLE_1)
	s_xor_b32 s2, exec_lo, s2
	s_cbranch_execz .LBB16_1083
; %bb.1046:
	v_cmp_gt_i16_e32 vcc_lo, 5, v5
	s_mov_b32 s4, -1
	s_cbranch_vccnz .LBB16_1067
; %bb.1047:
	v_cmp_gt_i16_e32 vcc_lo, 8, v5
	s_cbranch_vccnz .LBB16_1057
; %bb.1048:
	v_cmp_gt_i16_e32 vcc_lo, 9, v5
	s_cbranch_vccnz .LBB16_1054
; %bb.1049:
	v_cmp_lt_i16_e32 vcc_lo, 9, v5
	s_cbranch_vccz .LBB16_1051
; %bb.1050:
	s_waitcnt vmcnt(0)
	v_cvt_f64_f32_e32 v[6:7], v3
	v_mov_b32_e32 v8, 0
	s_mov_b32 s4, 0
	s_delay_alu instid0(VALU_DEP_1)
	v_mov_b32_e32 v9, v8
	global_store_b128 v[1:2], v[6:9], off
.LBB16_1051:
	s_and_not1_b32 vcc_lo, exec_lo, s4
	s_cbranch_vccnz .LBB16_1053
; %bb.1052:
	v_mov_b32_e32 v4, 0
	s_waitcnt vmcnt(0)
	global_store_b64 v[1:2], v[3:4], off
.LBB16_1053:
	s_mov_b32 s4, 0
.LBB16_1054:
	s_delay_alu instid0(SALU_CYCLE_1)
	s_and_not1_b32 vcc_lo, exec_lo, s4
	s_cbranch_vccnz .LBB16_1056
; %bb.1055:
	s_waitcnt vmcnt(0)
	v_cvt_f16_f32_e32 v0, v3
	s_delay_alu instid0(VALU_DEP_1)
	v_and_b32_e32 v0, 0xffff, v0
	global_store_b32 v[1:2], v0, off
.LBB16_1056:
	s_mov_b32 s4, 0
.LBB16_1057:
	s_delay_alu instid0(SALU_CYCLE_1)
	s_and_not1_b32 vcc_lo, exec_lo, s4
	s_cbranch_vccnz .LBB16_1066
; %bb.1058:
	v_cmp_gt_i16_e32 vcc_lo, 6, v5
	s_mov_b32 s4, -1
	s_cbranch_vccnz .LBB16_1064
; %bb.1059:
	v_cmp_lt_i16_e32 vcc_lo, 6, v5
	s_cbranch_vccz .LBB16_1061
; %bb.1060:
	s_waitcnt vmcnt(0)
	v_cvt_f64_f32_e32 v[6:7], v3
	s_mov_b32 s4, 0
	global_store_b64 v[1:2], v[6:7], off
.LBB16_1061:
	s_and_not1_b32 vcc_lo, exec_lo, s4
	s_cbranch_vccnz .LBB16_1063
; %bb.1062:
	s_waitcnt vmcnt(0)
	global_store_b32 v[1:2], v3, off
.LBB16_1063:
	s_mov_b32 s4, 0
.LBB16_1064:
	s_delay_alu instid0(SALU_CYCLE_1)
	s_and_not1_b32 vcc_lo, exec_lo, s4
	s_cbranch_vccnz .LBB16_1066
; %bb.1065:
	s_waitcnt vmcnt(0)
	v_cvt_f16_f32_e32 v0, v3
	global_store_b16 v[1:2], v0, off
.LBB16_1066:
	s_mov_b32 s4, 0
.LBB16_1067:
	s_delay_alu instid0(SALU_CYCLE_1)
	s_and_not1_b32 vcc_lo, exec_lo, s4
	s_cbranch_vccnz .LBB16_1083
; %bb.1068:
	v_cmp_gt_i16_e32 vcc_lo, 2, v5
	s_mov_b32 s4, -1
	s_cbranch_vccnz .LBB16_1078
; %bb.1069:
	v_cmp_gt_i16_e32 vcc_lo, 3, v5
	s_cbranch_vccnz .LBB16_1075
; %bb.1070:
	v_cmp_lt_i16_e32 vcc_lo, 3, v5
	s_cbranch_vccz .LBB16_1072
; %bb.1071:
	s_waitcnt vmcnt(0)
	v_trunc_f32_e32 v0, v3
	s_mov_b32 s4, 0
	s_delay_alu instid0(VALU_DEP_1) | instskip(NEXT) | instid1(VALU_DEP_1)
	v_mul_f32_e64 v4, 0x2f800000, |v0|
	v_floor_f32_e32 v4, v4
	s_delay_alu instid0(VALU_DEP_1) | instskip(SKIP_2) | instid1(VALU_DEP_3)
	v_fma_f32 v6, 0xcf800000, v4, |v0|
	v_ashrrev_i32_e32 v0, 31, v0
	v_cvt_u32_f32_e32 v4, v4
	v_cvt_u32_f32_e32 v6, v6
	s_delay_alu instid0(VALU_DEP_2) | instskip(NEXT) | instid1(VALU_DEP_2)
	v_xor_b32_e32 v4, v4, v0
	v_xor_b32_e32 v6, v6, v0
	s_delay_alu instid0(VALU_DEP_1) | instskip(NEXT) | instid1(VALU_DEP_3)
	v_sub_co_u32 v6, vcc_lo, v6, v0
	v_sub_co_ci_u32_e32 v7, vcc_lo, v4, v0, vcc_lo
	global_store_b64 v[1:2], v[6:7], off
.LBB16_1072:
	s_and_not1_b32 vcc_lo, exec_lo, s4
	s_cbranch_vccnz .LBB16_1074
; %bb.1073:
	s_waitcnt vmcnt(0)
	v_cvt_i32_f32_e32 v0, v3
	global_store_b32 v[1:2], v0, off
.LBB16_1074:
	s_mov_b32 s4, 0
.LBB16_1075:
	s_delay_alu instid0(SALU_CYCLE_1)
	s_and_not1_b32 vcc_lo, exec_lo, s4
	s_cbranch_vccnz .LBB16_1077
; %bb.1076:
	s_waitcnt vmcnt(0)
	v_cvt_i32_f32_e32 v0, v3
	global_store_b16 v[1:2], v0, off
.LBB16_1077:
	s_mov_b32 s4, 0
.LBB16_1078:
	s_delay_alu instid0(SALU_CYCLE_1)
	s_and_not1_b32 vcc_lo, exec_lo, s4
	s_cbranch_vccnz .LBB16_1083
; %bb.1079:
	v_cmp_lt_i16_e32 vcc_lo, 0, v5
	s_mov_b32 s4, -1
	s_cbranch_vccz .LBB16_1081
; %bb.1080:
	s_waitcnt vmcnt(0)
	v_cvt_i32_f32_e32 v0, v3
	s_mov_b32 s4, 0
	global_store_b8 v[1:2], v0, off
.LBB16_1081:
	s_and_not1_b32 vcc_lo, exec_lo, s4
	s_cbranch_vccnz .LBB16_1083
; %bb.1082:
	s_waitcnt vmcnt(0)
	v_trunc_f32_e32 v0, v3
	s_delay_alu instid0(VALU_DEP_1) | instskip(NEXT) | instid1(VALU_DEP_1)
	v_mul_f32_e64 v3, 0x2f800000, |v0|
	v_floor_f32_e32 v3, v3
	s_delay_alu instid0(VALU_DEP_1) | instskip(SKIP_1) | instid1(VALU_DEP_2)
	v_fma_f32 v3, 0xcf800000, v3, |v0|
	v_ashrrev_i32_e32 v0, 31, v0
	v_cvt_u32_f32_e32 v3, v3
	s_delay_alu instid0(VALU_DEP_1) | instskip(NEXT) | instid1(VALU_DEP_1)
	v_xor_b32_e32 v3, v3, v0
	v_sub_nc_u32_e32 v0, v3, v0
	global_store_b8 v[1:2], v0, off
.LBB16_1083:
	s_or_b32 exec_lo, exec_lo, s2
	s_delay_alu instid0(SALU_CYCLE_1)
	s_and_b32 s12, s3, exec_lo
                                        ; implicit-def: $vgpr8
                                        ; implicit-def: $vgpr5
.LBB16_1084:
	s_or_saveexec_b32 s13, s33
	s_mov_b32 s4, 0
                                        ; implicit-def: $vgpr0_vgpr1
                                        ; implicit-def: $sgpr2
                                        ; implicit-def: $vgpr2
	s_xor_b32 exec_lo, exec_lo, s13
	s_cbranch_execz .LBB16_2067
; %bb.1085:
	v_cndmask_b32_e64 v0, 0, 1, s31
	s_and_not1_b32 vcc_lo, exec_lo, s31
	s_cbranch_vccnz .LBB16_1091
; %bb.1086:
	s_waitcnt vmcnt(0)
	v_mov_b32_e32 v3, 0
	v_mov_b32_e32 v7, 0
	s_cmp_lg_u32 s28, 0
	s_mov_b32 s6, 0
	s_cbranch_scc0 .LBB16_1095
; %bb.1087:
	s_min_u32 s7, s29, 15
	v_mov_b32_e32 v3, 0
	s_add_i32 s7, s7, 1
	s_cmp_eq_u32 s29, 2
	s_mov_b32 s8, 0
	s_cbranch_scc1 .LBB16_1092
; %bb.1088:
	v_mov_b32_e32 v7, 0
	v_mov_b32_e32 v3, 0
	;; [unrolled: 1-line block ×3, first 2 shown]
	s_add_u32 s2, s20, 0xc4
	s_addc_u32 s3, s21, 0
	s_and_b32 s8, s7, 28
	s_mov_b32 s9, 0
	s_mov_b64 s[4:5], s[20:21]
.LBB16_1089:                            ; =>This Inner Loop Header: Depth=1
	s_clause 0x1
	s_load_b256 s[36:43], s[4:5], 0x4
	s_load_b128 s[16:19], s[4:5], 0x24
	s_load_b256 s[44:51], s[2:3], 0x0
	s_add_u32 s4, s4, 48
	s_addc_u32 s5, s5, 0
	s_add_i32 s9, s9, 4
	s_add_u32 s2, s2, 32
	s_addc_u32 s3, s3, 0
	s_cmp_lg_u32 s8, s9
	s_waitcnt lgkmcnt(0)
	v_mul_hi_u32 v2, s37, v1
	s_delay_alu instid0(VALU_DEP_1) | instskip(NEXT) | instid1(VALU_DEP_1)
	v_add_nc_u32_e32 v2, v1, v2
	v_lshrrev_b32_e32 v2, s38, v2
	s_delay_alu instid0(VALU_DEP_1) | instskip(SKIP_1) | instid1(VALU_DEP_2)
	v_mul_hi_u32 v4, s40, v2
	v_mul_lo_u32 v9, v2, s36
	v_add_nc_u32_e32 v4, v2, v4
	s_delay_alu instid0(VALU_DEP_2) | instskip(NEXT) | instid1(VALU_DEP_2)
	v_sub_nc_u32_e32 v1, v1, v9
	v_lshrrev_b32_e32 v4, s41, v4
	s_delay_alu instid0(VALU_DEP_2) | instskip(SKIP_1) | instid1(VALU_DEP_3)
	v_mul_lo_u32 v9, v1, s44
	v_mul_lo_u32 v11, v1, s45
	v_mul_hi_u32 v6, s43, v4
	s_delay_alu instid0(VALU_DEP_1) | instskip(NEXT) | instid1(VALU_DEP_1)
	v_add_nc_u32_e32 v6, v4, v6
	v_lshrrev_b32_e32 v6, s16, v6
	s_delay_alu instid0(VALU_DEP_1) | instskip(SKIP_1) | instid1(VALU_DEP_2)
	v_mul_hi_u32 v10, s18, v6
	v_mul_lo_u32 v12, v6, s42
	v_add_nc_u32_e32 v1, v6, v10
	v_mul_lo_u32 v10, v4, s39
	s_delay_alu instid0(VALU_DEP_3) | instskip(NEXT) | instid1(VALU_DEP_3)
	v_sub_nc_u32_e32 v4, v4, v12
	v_lshrrev_b32_e32 v1, s19, v1
	s_delay_alu instid0(VALU_DEP_2) | instskip(SKIP_2) | instid1(VALU_DEP_4)
	v_mul_lo_u32 v12, v4, s48
	v_mul_lo_u32 v4, v4, s49
	v_sub_nc_u32_e32 v2, v2, v10
	v_mul_lo_u32 v13, v1, s17
	s_delay_alu instid0(VALU_DEP_2) | instskip(SKIP_1) | instid1(VALU_DEP_3)
	v_mul_lo_u32 v10, v2, s46
	v_mul_lo_u32 v2, v2, s47
	v_sub_nc_u32_e32 v6, v6, v13
	s_delay_alu instid0(VALU_DEP_3) | instskip(NEXT) | instid1(VALU_DEP_2)
	v_add3_u32 v3, v9, v3, v10
	v_mul_lo_u32 v13, v6, s50
	v_mul_lo_u32 v6, v6, s51
	v_add3_u32 v2, v11, v7, v2
	s_delay_alu instid0(VALU_DEP_3) | instskip(NEXT) | instid1(VALU_DEP_2)
	v_add3_u32 v3, v12, v3, v13
	v_add3_u32 v7, v4, v2, v6
	s_cbranch_scc1 .LBB16_1089
; %bb.1090:
	s_and_b32 s7, s7, 3
	s_delay_alu instid0(SALU_CYCLE_1)
	s_cmp_eq_u32 s7, 0
	s_cbranch_scc0 .LBB16_1093
	s_branch .LBB16_1095
.LBB16_1091:
	s_mov_b32 s6, -1
                                        ; implicit-def: $vgpr3
                                        ; implicit-def: $vgpr7
	s_branch .LBB16_1095
.LBB16_1092:
	v_mov_b32_e32 v1, v5
	v_mov_b32_e32 v7, 0
	s_and_b32 s7, s7, 3
	s_delay_alu instid0(SALU_CYCLE_1)
	s_cmp_eq_u32 s7, 0
	s_cbranch_scc1 .LBB16_1095
.LBB16_1093:
	s_lshl_b32 s2, s8, 3
	s_mul_i32 s4, s8, 12
	s_add_u32 s2, s2, s20
	s_addc_u32 s3, 0, s21
	s_add_u32 s2, s2, 0xc4
	s_addc_u32 s3, s3, 0
	;; [unrolled: 2-line block ×3, first 2 shown]
	.p2align	6
.LBB16_1094:                            ; =>This Inner Loop Header: Depth=1
	s_clause 0x1
	s_load_b64 s[8:9], s[4:5], 0x4
	s_load_b32 s14, s[4:5], 0xc
	s_load_b64 s[10:11], s[2:3], 0x0
	s_add_u32 s4, s4, 12
	s_addc_u32 s5, s5, 0
	s_add_u32 s2, s2, 8
	s_addc_u32 s3, s3, 0
	s_add_i32 s7, s7, -1
	s_delay_alu instid0(SALU_CYCLE_1) | instskip(SKIP_2) | instid1(VALU_DEP_1)
	s_cmp_lg_u32 s7, 0
	s_waitcnt lgkmcnt(0)
	v_mul_hi_u32 v2, s9, v1
	v_add_nc_u32_e32 v2, v1, v2
	s_delay_alu instid0(VALU_DEP_1) | instskip(NEXT) | instid1(VALU_DEP_1)
	v_lshrrev_b32_e32 v4, s14, v2
	v_mul_lo_u32 v2, v4, s8
	s_delay_alu instid0(VALU_DEP_1) | instskip(NEXT) | instid1(VALU_DEP_1)
	v_sub_nc_u32_e32 v1, v1, v2
	v_mad_u64_u32 v[9:10], null, v1, s10, v[3:4]
	v_mad_u64_u32 v[2:3], null, v1, s11, v[7:8]
	v_mov_b32_e32 v1, v4
	s_delay_alu instid0(VALU_DEP_3) | instskip(NEXT) | instid1(VALU_DEP_3)
	v_mov_b32_e32 v3, v9
	v_mov_b32_e32 v7, v2
	s_cbranch_scc1 .LBB16_1094
.LBB16_1095:
	s_and_not1_b32 vcc_lo, exec_lo, s6
	s_cbranch_vccnz .LBB16_1098
; %bb.1096:
	s_clause 0x1
	s_load_b128 s[4:7], s[20:21], 0x4
	s_load_b64 s[2:3], s[20:21], 0xc4
	s_cmp_lt_u32 s28, 2
	s_waitcnt lgkmcnt(0)
	v_mul_hi_u32 v1, s5, v5
	s_delay_alu instid0(VALU_DEP_1) | instskip(NEXT) | instid1(VALU_DEP_1)
	v_add_nc_u32_e32 v1, v5, v1
	v_lshrrev_b32_e32 v1, s6, v1
	s_delay_alu instid0(VALU_DEP_1) | instskip(NEXT) | instid1(VALU_DEP_1)
	v_mul_lo_u32 v2, v1, s4
	v_sub_nc_u32_e32 v2, v5, v2
	s_waitcnt vmcnt(0)
	s_delay_alu instid0(VALU_DEP_1)
	v_mul_lo_u32 v3, v2, s2
	v_mul_lo_u32 v7, v2, s3
	s_cbranch_scc1 .LBB16_1098
; %bb.1097:
	s_clause 0x1
	s_load_b128 s[4:7], s[20:21], 0x10
	s_load_b64 s[2:3], s[20:21], 0xcc
	s_waitcnt lgkmcnt(0)
	v_mul_hi_u32 v2, s5, v1
	s_delay_alu instid0(VALU_DEP_1) | instskip(NEXT) | instid1(VALU_DEP_1)
	v_add_nc_u32_e32 v2, v1, v2
	v_lshrrev_b32_e32 v2, s6, v2
	s_delay_alu instid0(VALU_DEP_1) | instskip(NEXT) | instid1(VALU_DEP_1)
	v_mul_lo_u32 v2, v2, s4
	v_sub_nc_u32_e32 v4, v1, v2
	s_delay_alu instid0(VALU_DEP_1) | instskip(SKIP_1) | instid1(VALU_DEP_2)
	v_mad_u64_u32 v[1:2], null, v4, s2, v[3:4]
	v_mad_u64_u32 v[2:3], null, v4, s3, v[7:8]
	v_mov_b32_e32 v3, v1
	s_delay_alu instid0(VALU_DEP_2)
	v_mov_b32_e32 v7, v2
.LBB16_1098:
	v_cmp_ne_u32_e32 vcc_lo, 1, v0
	v_add_nc_u32_e32 v1, 0x80, v5
	s_cbranch_vccnz .LBB16_1104
; %bb.1099:
	v_mov_b32_e32 v2, 0
	s_waitcnt vmcnt(0)
	v_mov_b32_e32 v6, 0
	s_cmp_lg_u32 s28, 0
	s_mov_b32 s6, 0
	s_cbranch_scc0 .LBB16_1108
; %bb.1100:
	s_min_u32 s7, s29, 15
	v_mov_b32_e32 v2, 0
	s_add_i32 s7, s7, 1
	s_cmp_eq_u32 s29, 2
	s_mov_b32 s8, 0
	s_cbranch_scc1 .LBB16_1105
; %bb.1101:
	v_mov_b32_e32 v6, 0
	v_mov_b32_e32 v2, 0
	;; [unrolled: 1-line block ×3, first 2 shown]
	s_add_u32 s2, s20, 0xc4
	s_addc_u32 s3, s21, 0
	s_and_b32 s8, s7, 28
	s_mov_b32 s9, 0
	s_mov_b64 s[4:5], s[20:21]
.LBB16_1102:                            ; =>This Inner Loop Header: Depth=1
	s_clause 0x1
	s_load_b256 s[36:43], s[4:5], 0x4
	s_load_b128 s[16:19], s[4:5], 0x24
	s_load_b256 s[44:51], s[2:3], 0x0
	s_add_u32 s4, s4, 48
	s_addc_u32 s5, s5, 0
	s_add_i32 s9, s9, 4
	s_add_u32 s2, s2, 32
	s_addc_u32 s3, s3, 0
	s_cmp_lg_u32 s8, s9
	s_waitcnt lgkmcnt(0)
	v_mul_hi_u32 v9, s37, v4
	s_delay_alu instid0(VALU_DEP_1) | instskip(NEXT) | instid1(VALU_DEP_1)
	v_add_nc_u32_e32 v9, v4, v9
	v_lshrrev_b32_e32 v9, s38, v9
	s_delay_alu instid0(VALU_DEP_1) | instskip(SKIP_1) | instid1(VALU_DEP_2)
	v_mul_hi_u32 v10, s40, v9
	v_mul_lo_u32 v12, v9, s36
	v_add_nc_u32_e32 v10, v9, v10
	s_delay_alu instid0(VALU_DEP_2) | instskip(NEXT) | instid1(VALU_DEP_2)
	v_sub_nc_u32_e32 v4, v4, v12
	v_lshrrev_b32_e32 v10, s41, v10
	s_delay_alu instid0(VALU_DEP_2) | instskip(SKIP_1) | instid1(VALU_DEP_3)
	v_mul_lo_u32 v12, v4, s44
	v_mul_lo_u32 v14, v4, s45
	v_mul_hi_u32 v11, s43, v10
	s_delay_alu instid0(VALU_DEP_1) | instskip(NEXT) | instid1(VALU_DEP_1)
	v_add_nc_u32_e32 v11, v10, v11
	v_lshrrev_b32_e32 v11, s16, v11
	s_delay_alu instid0(VALU_DEP_1) | instskip(SKIP_1) | instid1(VALU_DEP_2)
	v_mul_hi_u32 v13, s18, v11
	v_mul_lo_u32 v15, v11, s42
	v_add_nc_u32_e32 v4, v11, v13
	v_mul_lo_u32 v13, v10, s39
	s_delay_alu instid0(VALU_DEP_3) | instskip(NEXT) | instid1(VALU_DEP_3)
	v_sub_nc_u32_e32 v10, v10, v15
	v_lshrrev_b32_e32 v4, s19, v4
	s_delay_alu instid0(VALU_DEP_2) | instskip(SKIP_2) | instid1(VALU_DEP_4)
	v_mul_lo_u32 v15, v10, s48
	v_mul_lo_u32 v10, v10, s49
	v_sub_nc_u32_e32 v9, v9, v13
	v_mul_lo_u32 v16, v4, s17
	s_delay_alu instid0(VALU_DEP_2) | instskip(SKIP_1) | instid1(VALU_DEP_3)
	v_mul_lo_u32 v13, v9, s46
	v_mul_lo_u32 v9, v9, s47
	v_sub_nc_u32_e32 v11, v11, v16
	s_delay_alu instid0(VALU_DEP_3) | instskip(NEXT) | instid1(VALU_DEP_2)
	v_add3_u32 v2, v12, v2, v13
	v_mul_lo_u32 v16, v11, s50
	v_mul_lo_u32 v11, v11, s51
	v_add3_u32 v6, v14, v6, v9
	s_delay_alu instid0(VALU_DEP_3) | instskip(NEXT) | instid1(VALU_DEP_2)
	v_add3_u32 v2, v15, v2, v16
	v_add3_u32 v6, v10, v6, v11
	s_cbranch_scc1 .LBB16_1102
; %bb.1103:
	s_and_b32 s7, s7, 3
	s_delay_alu instid0(SALU_CYCLE_1)
	s_cmp_eq_u32 s7, 0
	s_cbranch_scc0 .LBB16_1106
	s_branch .LBB16_1108
.LBB16_1104:
	s_mov_b32 s6, -1
                                        ; implicit-def: $vgpr2
                                        ; implicit-def: $vgpr6
	s_branch .LBB16_1108
.LBB16_1105:
	v_mov_b32_e32 v4, v1
	v_mov_b32_e32 v6, 0
	s_and_b32 s7, s7, 3
	s_delay_alu instid0(SALU_CYCLE_1)
	s_cmp_eq_u32 s7, 0
	s_cbranch_scc1 .LBB16_1108
.LBB16_1106:
	s_lshl_b32 s2, s8, 3
	s_mul_i32 s4, s8, 12
	s_add_u32 s2, s2, s20
	s_addc_u32 s3, 0, s21
	s_add_u32 s2, s2, 0xc4
	s_addc_u32 s3, s3, 0
	s_add_u32 s4, s20, s4
	s_addc_u32 s5, 0, s21
	.p2align	6
.LBB16_1107:                            ; =>This Inner Loop Header: Depth=1
	s_clause 0x1
	s_load_b64 s[8:9], s[4:5], 0x4
	s_load_b32 s14, s[4:5], 0xc
	s_load_b64 s[10:11], s[2:3], 0x0
	s_add_u32 s4, s4, 12
	s_addc_u32 s5, s5, 0
	s_add_u32 s2, s2, 8
	s_addc_u32 s3, s3, 0
	s_add_i32 s7, s7, -1
	s_delay_alu instid0(SALU_CYCLE_1) | instskip(SKIP_2) | instid1(VALU_DEP_1)
	s_cmp_lg_u32 s7, 0
	s_waitcnt lgkmcnt(0)
	v_mul_hi_u32 v9, s9, v4
	v_add_nc_u32_e32 v9, v4, v9
	s_delay_alu instid0(VALU_DEP_1) | instskip(NEXT) | instid1(VALU_DEP_1)
	v_lshrrev_b32_e32 v12, s14, v9
	v_mul_lo_u32 v9, v12, s8
	s_delay_alu instid0(VALU_DEP_1) | instskip(NEXT) | instid1(VALU_DEP_1)
	v_sub_nc_u32_e32 v4, v4, v9
	v_mad_u64_u32 v[9:10], null, v4, s10, v[2:3]
	v_mad_u64_u32 v[10:11], null, v4, s11, v[6:7]
	v_mov_b32_e32 v4, v12
	s_delay_alu instid0(VALU_DEP_3) | instskip(NEXT) | instid1(VALU_DEP_3)
	v_mov_b32_e32 v2, v9
	v_mov_b32_e32 v6, v10
	s_cbranch_scc1 .LBB16_1107
.LBB16_1108:
	s_and_not1_b32 vcc_lo, exec_lo, s6
	s_cbranch_vccnz .LBB16_1111
; %bb.1109:
	s_clause 0x1
	s_load_b128 s[4:7], s[20:21], 0x4
	s_load_b64 s[2:3], s[20:21], 0xc4
	s_cmp_lt_u32 s28, 2
	s_waitcnt lgkmcnt(0)
	v_mul_hi_u32 v2, s5, v1
	s_delay_alu instid0(VALU_DEP_1) | instskip(NEXT) | instid1(VALU_DEP_1)
	v_add_nc_u32_e32 v2, v1, v2
	v_lshrrev_b32_e32 v4, s6, v2
	s_delay_alu instid0(VALU_DEP_1) | instskip(NEXT) | instid1(VALU_DEP_1)
	v_mul_lo_u32 v2, v4, s4
	v_sub_nc_u32_e32 v1, v1, v2
	s_delay_alu instid0(VALU_DEP_1)
	v_mul_lo_u32 v2, v1, s2
	s_waitcnt vmcnt(0)
	v_mul_lo_u32 v6, v1, s3
	s_cbranch_scc1 .LBB16_1111
; %bb.1110:
	s_clause 0x1
	s_load_b128 s[4:7], s[20:21], 0x10
	s_load_b64 s[2:3], s[20:21], 0xcc
	s_waitcnt lgkmcnt(0)
	v_mul_hi_u32 v1, s5, v4
	s_delay_alu instid0(VALU_DEP_1) | instskip(NEXT) | instid1(VALU_DEP_1)
	v_add_nc_u32_e32 v1, v4, v1
	v_lshrrev_b32_e32 v1, s6, v1
	s_delay_alu instid0(VALU_DEP_1) | instskip(NEXT) | instid1(VALU_DEP_1)
	v_mul_lo_u32 v1, v1, s4
	v_sub_nc_u32_e32 v4, v4, v1
	s_delay_alu instid0(VALU_DEP_1) | instskip(SKIP_1) | instid1(VALU_DEP_2)
	v_mad_u64_u32 v[9:10], null, v4, s2, v[2:3]
	v_mad_u64_u32 v[1:2], null, v4, s3, v[6:7]
	v_mov_b32_e32 v2, v9
	s_delay_alu instid0(VALU_DEP_2)
	v_mov_b32_e32 v6, v1
.LBB16_1111:
	v_cmp_ne_u32_e32 vcc_lo, 1, v0
	v_add_nc_u32_e32 v4, 0x100, v5
	s_cbranch_vccnz .LBB16_1117
; %bb.1112:
	v_mov_b32_e32 v1, 0
	v_mov_b32_e32 v5, 0
	s_cmp_lg_u32 s28, 0
	s_mov_b32 s6, 0
	s_cbranch_scc0 .LBB16_1121
; %bb.1113:
	s_min_u32 s7, s29, 15
	v_mov_b32_e32 v1, 0
	s_add_i32 s7, s7, 1
	s_cmp_eq_u32 s29, 2
	s_mov_b32 s8, 0
	s_cbranch_scc1 .LBB16_1118
; %bb.1114:
	v_mov_b32_e32 v5, 0
	v_mov_b32_e32 v1, 0
	v_mov_b32_e32 v9, v4
	s_add_u32 s2, s20, 0xc4
	s_addc_u32 s3, s21, 0
	s_and_b32 s8, s7, 28
	s_mov_b32 s9, 0
	s_mov_b64 s[4:5], s[20:21]
.LBB16_1115:                            ; =>This Inner Loop Header: Depth=1
	s_clause 0x1
	s_load_b256 s[36:43], s[4:5], 0x4
	s_load_b128 s[16:19], s[4:5], 0x24
	s_load_b256 s[44:51], s[2:3], 0x0
	s_add_u32 s4, s4, 48
	s_addc_u32 s5, s5, 0
	s_add_i32 s9, s9, 4
	s_add_u32 s2, s2, 32
	s_addc_u32 s3, s3, 0
	s_cmp_lg_u32 s8, s9
	s_waitcnt lgkmcnt(0)
	v_mul_hi_u32 v10, s37, v9
	s_delay_alu instid0(VALU_DEP_1) | instskip(NEXT) | instid1(VALU_DEP_1)
	v_add_nc_u32_e32 v10, v9, v10
	v_lshrrev_b32_e32 v10, s38, v10
	s_delay_alu instid0(VALU_DEP_1) | instskip(SKIP_1) | instid1(VALU_DEP_2)
	v_mul_hi_u32 v11, s40, v10
	v_mul_lo_u32 v13, v10, s36
	v_add_nc_u32_e32 v11, v10, v11
	s_delay_alu instid0(VALU_DEP_2) | instskip(NEXT) | instid1(VALU_DEP_2)
	v_sub_nc_u32_e32 v9, v9, v13
	v_lshrrev_b32_e32 v11, s41, v11
	s_delay_alu instid0(VALU_DEP_2) | instskip(SKIP_1) | instid1(VALU_DEP_3)
	v_mul_lo_u32 v13, v9, s44
	v_mul_lo_u32 v15, v9, s45
	v_mul_hi_u32 v12, s43, v11
	s_delay_alu instid0(VALU_DEP_1) | instskip(NEXT) | instid1(VALU_DEP_1)
	v_add_nc_u32_e32 v12, v11, v12
	v_lshrrev_b32_e32 v12, s16, v12
	s_delay_alu instid0(VALU_DEP_1) | instskip(SKIP_1) | instid1(VALU_DEP_2)
	v_mul_hi_u32 v14, s18, v12
	v_mul_lo_u32 v16, v12, s42
	v_add_nc_u32_e32 v9, v12, v14
	v_mul_lo_u32 v14, v11, s39
	s_delay_alu instid0(VALU_DEP_3) | instskip(NEXT) | instid1(VALU_DEP_3)
	v_sub_nc_u32_e32 v11, v11, v16
	v_lshrrev_b32_e32 v9, s19, v9
	s_delay_alu instid0(VALU_DEP_2) | instskip(SKIP_2) | instid1(VALU_DEP_4)
	v_mul_lo_u32 v16, v11, s48
	v_mul_lo_u32 v11, v11, s49
	v_sub_nc_u32_e32 v10, v10, v14
	v_mul_lo_u32 v17, v9, s17
	s_delay_alu instid0(VALU_DEP_2) | instskip(SKIP_1) | instid1(VALU_DEP_3)
	v_mul_lo_u32 v14, v10, s46
	v_mul_lo_u32 v10, v10, s47
	v_sub_nc_u32_e32 v12, v12, v17
	s_delay_alu instid0(VALU_DEP_3) | instskip(NEXT) | instid1(VALU_DEP_2)
	v_add3_u32 v1, v13, v1, v14
	v_mul_lo_u32 v17, v12, s50
	v_mul_lo_u32 v12, v12, s51
	v_add3_u32 v5, v15, v5, v10
	s_delay_alu instid0(VALU_DEP_3) | instskip(NEXT) | instid1(VALU_DEP_2)
	v_add3_u32 v1, v16, v1, v17
	v_add3_u32 v5, v11, v5, v12
	s_cbranch_scc1 .LBB16_1115
; %bb.1116:
	s_and_b32 s7, s7, 3
	s_delay_alu instid0(SALU_CYCLE_1)
	s_cmp_eq_u32 s7, 0
	s_cbranch_scc0 .LBB16_1119
	s_branch .LBB16_1121
.LBB16_1117:
	s_mov_b32 s6, -1
                                        ; implicit-def: $vgpr1
                                        ; implicit-def: $vgpr5
	s_branch .LBB16_1121
.LBB16_1118:
	v_mov_b32_e32 v9, v4
	v_mov_b32_e32 v5, 0
	s_and_b32 s7, s7, 3
	s_delay_alu instid0(SALU_CYCLE_1)
	s_cmp_eq_u32 s7, 0
	s_cbranch_scc1 .LBB16_1121
.LBB16_1119:
	s_lshl_b32 s2, s8, 3
	s_mul_i32 s4, s8, 12
	s_add_u32 s2, s2, s20
	s_addc_u32 s3, 0, s21
	s_add_u32 s2, s2, 0xc4
	s_addc_u32 s3, s3, 0
	;; [unrolled: 2-line block ×3, first 2 shown]
	.p2align	6
.LBB16_1120:                            ; =>This Inner Loop Header: Depth=1
	s_clause 0x1
	s_load_b64 s[8:9], s[4:5], 0x4
	s_load_b32 s14, s[4:5], 0xc
	s_load_b64 s[10:11], s[2:3], 0x0
	s_add_u32 s4, s4, 12
	s_addc_u32 s5, s5, 0
	s_add_u32 s2, s2, 8
	s_addc_u32 s3, s3, 0
	s_add_i32 s7, s7, -1
	s_delay_alu instid0(SALU_CYCLE_1) | instskip(SKIP_2) | instid1(VALU_DEP_1)
	s_cmp_lg_u32 s7, 0
	s_waitcnt lgkmcnt(0)
	v_mul_hi_u32 v10, s9, v9
	v_add_nc_u32_e32 v10, v9, v10
	s_delay_alu instid0(VALU_DEP_1) | instskip(NEXT) | instid1(VALU_DEP_1)
	v_lshrrev_b32_e32 v13, s14, v10
	v_mul_lo_u32 v10, v13, s8
	s_delay_alu instid0(VALU_DEP_1) | instskip(NEXT) | instid1(VALU_DEP_1)
	v_sub_nc_u32_e32 v9, v9, v10
	v_mad_u64_u32 v[10:11], null, v9, s10, v[1:2]
	s_waitcnt vmcnt(0)
	v_mad_u64_u32 v[11:12], null, v9, s11, v[5:6]
	v_mov_b32_e32 v9, v13
	s_delay_alu instid0(VALU_DEP_3) | instskip(NEXT) | instid1(VALU_DEP_3)
	v_mov_b32_e32 v1, v10
	v_mov_b32_e32 v5, v11
	s_cbranch_scc1 .LBB16_1120
.LBB16_1121:
	s_and_not1_b32 vcc_lo, exec_lo, s6
	s_cbranch_vccnz .LBB16_1124
; %bb.1122:
	s_clause 0x1
	s_load_b128 s[4:7], s[20:21], 0x4
	s_load_b64 s[2:3], s[20:21], 0xc4
	s_cmp_lt_u32 s28, 2
	s_waitcnt lgkmcnt(0)
	v_mul_hi_u32 v1, s5, v4
	s_delay_alu instid0(VALU_DEP_1) | instskip(NEXT) | instid1(VALU_DEP_1)
	v_add_nc_u32_e32 v1, v4, v1
	v_lshrrev_b32_e32 v9, s6, v1
	s_delay_alu instid0(VALU_DEP_1) | instskip(NEXT) | instid1(VALU_DEP_1)
	v_mul_lo_u32 v1, v9, s4
	v_sub_nc_u32_e32 v4, v4, v1
	s_delay_alu instid0(VALU_DEP_1)
	v_mul_lo_u32 v1, v4, s2
	v_mul_lo_u32 v5, v4, s3
	s_cbranch_scc1 .LBB16_1124
; %bb.1123:
	s_clause 0x1
	s_load_b128 s[4:7], s[20:21], 0x10
	s_load_b64 s[2:3], s[20:21], 0xcc
	s_waitcnt lgkmcnt(0)
	v_mul_hi_u32 v4, s5, v9
	s_delay_alu instid0(VALU_DEP_1) | instskip(NEXT) | instid1(VALU_DEP_1)
	v_add_nc_u32_e32 v4, v9, v4
	v_lshrrev_b32_e32 v4, s6, v4
	s_delay_alu instid0(VALU_DEP_1) | instskip(NEXT) | instid1(VALU_DEP_1)
	v_mul_lo_u32 v4, v4, s4
	v_sub_nc_u32_e32 v4, v9, v4
	s_delay_alu instid0(VALU_DEP_1) | instskip(SKIP_2) | instid1(VALU_DEP_2)
	v_mad_u64_u32 v[9:10], null, v4, s2, v[1:2]
	s_waitcnt vmcnt(0)
	v_mad_u64_u32 v[10:11], null, v4, s3, v[5:6]
	v_mov_b32_e32 v1, v9
	s_delay_alu instid0(VALU_DEP_2)
	v_mov_b32_e32 v5, v10
.LBB16_1124:
	v_cmp_ne_u32_e32 vcc_lo, 1, v0
	s_cbranch_vccnz .LBB16_1130
; %bb.1125:
	v_mov_b32_e32 v0, 0
	v_mov_b32_e32 v4, 0
	s_cmp_lg_u32 s28, 0
	s_mov_b32 s6, 0
	s_cbranch_scc0 .LBB16_1134
; %bb.1126:
	s_min_u32 s7, s29, 15
	v_mov_b32_e32 v0, 0
	s_add_i32 s7, s7, 1
	s_cmp_eq_u32 s29, 2
	s_mov_b32 s8, 0
	s_cbranch_scc1 .LBB16_1131
; %bb.1127:
	v_dual_mov_b32 v4, 0 :: v_dual_mov_b32 v9, v8
	v_mov_b32_e32 v0, 0
	s_add_u32 s2, s20, 0xc4
	s_addc_u32 s3, s21, 0
	s_and_b32 s8, s7, 28
	s_mov_b32 s9, 0
	s_mov_b64 s[4:5], s[20:21]
.LBB16_1128:                            ; =>This Inner Loop Header: Depth=1
	s_clause 0x1
	s_load_b256 s[36:43], s[4:5], 0x4
	s_load_b128 s[16:19], s[4:5], 0x24
	s_load_b256 s[44:51], s[2:3], 0x0
	s_add_u32 s4, s4, 48
	s_addc_u32 s5, s5, 0
	s_add_i32 s9, s9, 4
	s_add_u32 s2, s2, 32
	s_addc_u32 s3, s3, 0
	s_cmp_lg_u32 s8, s9
	s_waitcnt lgkmcnt(0)
	v_mul_hi_u32 v10, s37, v9
	s_delay_alu instid0(VALU_DEP_1) | instskip(NEXT) | instid1(VALU_DEP_1)
	v_add_nc_u32_e32 v10, v9, v10
	v_lshrrev_b32_e32 v10, s38, v10
	s_delay_alu instid0(VALU_DEP_1) | instskip(SKIP_1) | instid1(VALU_DEP_2)
	v_mul_hi_u32 v11, s40, v10
	v_mul_lo_u32 v13, v10, s36
	v_add_nc_u32_e32 v11, v10, v11
	s_delay_alu instid0(VALU_DEP_2) | instskip(NEXT) | instid1(VALU_DEP_2)
	v_sub_nc_u32_e32 v9, v9, v13
	v_lshrrev_b32_e32 v11, s41, v11
	s_delay_alu instid0(VALU_DEP_2) | instskip(SKIP_1) | instid1(VALU_DEP_3)
	v_mul_lo_u32 v13, v9, s44
	v_mul_lo_u32 v15, v9, s45
	v_mul_hi_u32 v12, s43, v11
	s_delay_alu instid0(VALU_DEP_1) | instskip(NEXT) | instid1(VALU_DEP_1)
	v_add_nc_u32_e32 v12, v11, v12
	v_lshrrev_b32_e32 v12, s16, v12
	s_delay_alu instid0(VALU_DEP_1) | instskip(SKIP_1) | instid1(VALU_DEP_2)
	v_mul_hi_u32 v14, s18, v12
	v_mul_lo_u32 v16, v12, s42
	v_add_nc_u32_e32 v9, v12, v14
	v_mul_lo_u32 v14, v11, s39
	s_delay_alu instid0(VALU_DEP_3) | instskip(NEXT) | instid1(VALU_DEP_3)
	v_sub_nc_u32_e32 v11, v11, v16
	v_lshrrev_b32_e32 v9, s19, v9
	s_delay_alu instid0(VALU_DEP_2) | instskip(SKIP_2) | instid1(VALU_DEP_4)
	v_mul_lo_u32 v16, v11, s48
	v_mul_lo_u32 v11, v11, s49
	v_sub_nc_u32_e32 v10, v10, v14
	v_mul_lo_u32 v17, v9, s17
	s_delay_alu instid0(VALU_DEP_2) | instskip(SKIP_1) | instid1(VALU_DEP_3)
	v_mul_lo_u32 v14, v10, s46
	v_mul_lo_u32 v10, v10, s47
	v_sub_nc_u32_e32 v12, v12, v17
	s_delay_alu instid0(VALU_DEP_3) | instskip(NEXT) | instid1(VALU_DEP_2)
	v_add3_u32 v0, v13, v0, v14
	v_mul_lo_u32 v17, v12, s50
	v_mul_lo_u32 v12, v12, s51
	v_add3_u32 v4, v15, v4, v10
	s_delay_alu instid0(VALU_DEP_3) | instskip(NEXT) | instid1(VALU_DEP_2)
	v_add3_u32 v0, v16, v0, v17
	v_add3_u32 v4, v11, v4, v12
	s_cbranch_scc1 .LBB16_1128
; %bb.1129:
	s_and_b32 s7, s7, 3
	s_delay_alu instid0(SALU_CYCLE_1)
	s_cmp_eq_u32 s7, 0
	s_cbranch_scc0 .LBB16_1132
	s_branch .LBB16_1134
.LBB16_1130:
	s_mov_b32 s6, -1
                                        ; implicit-def: $vgpr0
                                        ; implicit-def: $vgpr4
	s_branch .LBB16_1134
.LBB16_1131:
	v_dual_mov_b32 v9, v8 :: v_dual_mov_b32 v4, 0
	s_and_b32 s7, s7, 3
	s_delay_alu instid0(SALU_CYCLE_1)
	s_cmp_eq_u32 s7, 0
	s_cbranch_scc1 .LBB16_1134
.LBB16_1132:
	s_lshl_b32 s2, s8, 3
	s_mul_i32 s4, s8, 12
	s_add_u32 s2, s2, s20
	s_addc_u32 s3, 0, s21
	s_add_u32 s2, s2, 0xc4
	s_addc_u32 s3, s3, 0
	;; [unrolled: 2-line block ×3, first 2 shown]
	.p2align	6
.LBB16_1133:                            ; =>This Inner Loop Header: Depth=1
	s_clause 0x1
	s_load_b64 s[8:9], s[4:5], 0x4
	s_load_b32 s14, s[4:5], 0xc
	s_load_b64 s[10:11], s[2:3], 0x0
	s_add_u32 s4, s4, 12
	s_addc_u32 s5, s5, 0
	s_add_u32 s2, s2, 8
	s_addc_u32 s3, s3, 0
	s_add_i32 s7, s7, -1
	s_delay_alu instid0(SALU_CYCLE_1) | instskip(SKIP_2) | instid1(VALU_DEP_1)
	s_cmp_lg_u32 s7, 0
	s_waitcnt lgkmcnt(0)
	v_mul_hi_u32 v10, s9, v9
	v_add_nc_u32_e32 v10, v9, v10
	s_delay_alu instid0(VALU_DEP_1) | instskip(NEXT) | instid1(VALU_DEP_1)
	v_lshrrev_b32_e32 v13, s14, v10
	v_mul_lo_u32 v10, v13, s8
	s_delay_alu instid0(VALU_DEP_1) | instskip(NEXT) | instid1(VALU_DEP_1)
	v_sub_nc_u32_e32 v9, v9, v10
	v_mad_u64_u32 v[10:11], null, v9, s10, v[0:1]
	v_mad_u64_u32 v[11:12], null, v9, s11, v[4:5]
	s_delay_alu instid0(VALU_DEP_2) | instskip(NEXT) | instid1(VALU_DEP_2)
	v_dual_mov_b32 v9, v13 :: v_dual_mov_b32 v0, v10
	v_mov_b32_e32 v4, v11
	s_cbranch_scc1 .LBB16_1133
.LBB16_1134:
	s_and_not1_b32 vcc_lo, exec_lo, s6
	s_cbranch_vccnz .LBB16_1137
; %bb.1135:
	s_clause 0x1
	s_load_b128 s[4:7], s[20:21], 0x4
	s_load_b64 s[2:3], s[20:21], 0xc4
	s_cmp_lt_u32 s28, 2
	s_waitcnt lgkmcnt(0)
	v_mul_hi_u32 v0, s5, v8
	s_delay_alu instid0(VALU_DEP_1) | instskip(NEXT) | instid1(VALU_DEP_1)
	v_add_nc_u32_e32 v0, v8, v0
	v_lshrrev_b32_e32 v9, s6, v0
	s_delay_alu instid0(VALU_DEP_1) | instskip(NEXT) | instid1(VALU_DEP_1)
	v_mul_lo_u32 v0, v9, s4
	v_sub_nc_u32_e32 v4, v8, v0
	s_delay_alu instid0(VALU_DEP_1)
	v_mul_lo_u32 v0, v4, s2
	v_mul_lo_u32 v4, v4, s3
	s_cbranch_scc1 .LBB16_1137
; %bb.1136:
	s_clause 0x1
	s_load_b128 s[4:7], s[20:21], 0x10
	s_load_b64 s[2:3], s[20:21], 0xcc
	s_waitcnt lgkmcnt(0)
	v_mul_hi_u32 v8, s5, v9
	s_delay_alu instid0(VALU_DEP_1) | instskip(NEXT) | instid1(VALU_DEP_1)
	v_add_nc_u32_e32 v8, v9, v8
	v_lshrrev_b32_e32 v8, s6, v8
	s_delay_alu instid0(VALU_DEP_1) | instskip(NEXT) | instid1(VALU_DEP_1)
	v_mul_lo_u32 v8, v8, s4
	v_sub_nc_u32_e32 v11, v9, v8
	s_delay_alu instid0(VALU_DEP_1) | instskip(SKIP_1) | instid1(VALU_DEP_2)
	v_mad_u64_u32 v[8:9], null, v11, s2, v[0:1]
	v_mad_u64_u32 v[9:10], null, v11, s3, v[4:5]
	v_mov_b32_e32 v0, v8
	s_delay_alu instid0(VALU_DEP_2)
	v_mov_b32_e32 v4, v9
.LBB16_1137:
	s_clause 0x1
	s_load_b32 s0, s[0:1], 0x170
	s_load_b256 s[4:11], s[20:21], 0x148
	s_mov_b32 s3, 0
	s_waitcnt lgkmcnt(0)
	s_lshr_b32 s0, s0, 8
	s_delay_alu instid0(SALU_CYCLE_1) | instskip(SKIP_1) | instid1(VALU_DEP_1)
	v_and_b32_e64 v9, 0xff, s0
	v_add_co_u32 v7, s0, s6, v7
	v_add_co_ci_u32_e64 v8, null, s7, 0, s0
	s_delay_alu instid0(VALU_DEP_3)
	v_cmp_gt_i16_e32 vcc_lo, 11, v9
	s_cbranch_vccnz .LBB16_1144
; %bb.1138:
	v_cmp_lt_i16_e32 vcc_lo, 25, v9
	s_mov_b32 s2, 0
	s_cbranch_vccz .LBB16_1150
; %bb.1139:
	v_cmp_lt_i16_e32 vcc_lo, 28, v9
	s_cbranch_vccz .LBB16_1152
; %bb.1140:
	v_cmp_lt_i16_e32 vcc_lo, 43, v9
	;; [unrolled: 3-line block ×3, first 2 shown]
	s_cbranch_vccz .LBB16_1158
; %bb.1142:
	v_cmp_eq_u16_e32 vcc_lo, 46, v9
	s_mov_b32 s1, 0
	s_cbranch_vccz .LBB16_1200
; %bb.1143:
	global_load_b32 v10, v[7:8], off
	s_mov_b32 s0, 0
	s_mov_b32 s3, -1
	s_waitcnt vmcnt(0)
	v_lshlrev_b32_e32 v10, 16, v10
	s_branch .LBB16_1202
.LBB16_1144:
	s_mov_b32 s1, s12
                                        ; implicit-def: $vgpr10
	s_cbranch_execz .LBB16_1265
; %bb.1145:
	v_cmp_gt_i16_e32 vcc_lo, 5, v9
	s_cbranch_vccnz .LBB16_1151
; %bb.1146:
	v_cmp_gt_i16_e32 vcc_lo, 8, v9
	s_cbranch_vccnz .LBB16_1153
	;; [unrolled: 3-line block ×3, first 2 shown]
; %bb.1148:
	v_cmp_lt_i16_e32 vcc_lo, 9, v9
	s_cbranch_vccz .LBB16_1159
; %bb.1149:
	global_load_b64 v[10:11], v[7:8], off
	s_mov_b32 s0, 0
	s_waitcnt vmcnt(0)
	v_cvt_f32_f64_e32 v10, v[10:11]
	s_branch .LBB16_1160
.LBB16_1150:
	s_mov_b32 s0, 0
                                        ; implicit-def: $vgpr10
	s_cbranch_execnz .LBB16_1230
	s_branch .LBB16_1261
.LBB16_1151:
                                        ; implicit-def: $vgpr10
	s_branch .LBB16_1177
.LBB16_1152:
	s_mov_b32 s1, -1
	s_mov_b32 s0, 0
                                        ; implicit-def: $vgpr10
	s_branch .LBB16_1211
.LBB16_1153:
                                        ; implicit-def: $vgpr10
	s_branch .LBB16_1166
.LBB16_1154:
	s_mov_b32 s0, 0
                                        ; implicit-def: $vgpr10
	s_cbranch_execnz .LBB16_1207
	s_branch .LBB16_1210
.LBB16_1155:
	s_mov_b32 s0, -1
                                        ; implicit-def: $vgpr10
	s_branch .LBB16_1163
.LBB16_1156:
	s_cbranch_execnz .LBB16_1198
; %bb.1157:
	s_or_b32 s3, s3, exec_lo
	s_and_not1_b32 s12, s12, exec_lo
	s_or_b32 exec_lo, exec_lo, s2
	s_and_saveexec_b32 s2, s12
	s_delay_alu instid0(SALU_CYCLE_1)
	s_xor_b32 s2, exec_lo, s2
	s_cbranch_execnz .LBB16_1044
	s_branch .LBB16_1045
.LBB16_1158:
	s_mov_b32 s1, -1
	s_mov_b32 s0, 0
	s_branch .LBB16_1201
.LBB16_1159:
	s_mov_b32 s0, -1
                                        ; implicit-def: $vgpr10
.LBB16_1160:
	s_delay_alu instid0(SALU_CYCLE_1)
	s_and_not1_b32 vcc_lo, exec_lo, s0
	s_cbranch_vccnz .LBB16_1162
; %bb.1161:
	global_load_b32 v10, v[7:8], off
.LBB16_1162:
	s_mov_b32 s0, 0
.LBB16_1163:
	s_delay_alu instid0(SALU_CYCLE_1)
	s_and_not1_b32 vcc_lo, exec_lo, s0
	s_cbranch_vccnz .LBB16_1165
; %bb.1164:
	global_load_b32 v10, v[7:8], off
	s_waitcnt vmcnt(0)
	v_cvt_f32_f16_e32 v10, v10
.LBB16_1165:
	s_cbranch_execnz .LBB16_1176
.LBB16_1166:
	v_cmp_gt_i16_e32 vcc_lo, 6, v9
	s_cbranch_vccnz .LBB16_1169
; %bb.1167:
	v_cmp_lt_i16_e32 vcc_lo, 6, v9
	s_cbranch_vccz .LBB16_1170
; %bb.1168:
	global_load_b64 v[10:11], v[7:8], off
	s_mov_b32 s0, 0
	s_waitcnt vmcnt(0)
	v_cvt_f32_f64_e32 v10, v[10:11]
	s_branch .LBB16_1171
.LBB16_1169:
	s_mov_b32 s0, -1
                                        ; implicit-def: $vgpr10
	s_branch .LBB16_1174
.LBB16_1170:
	s_mov_b32 s0, -1
                                        ; implicit-def: $vgpr10
.LBB16_1171:
	s_delay_alu instid0(SALU_CYCLE_1)
	s_and_not1_b32 vcc_lo, exec_lo, s0
	s_cbranch_vccnz .LBB16_1173
; %bb.1172:
	global_load_b32 v10, v[7:8], off
.LBB16_1173:
	s_mov_b32 s0, 0
.LBB16_1174:
	s_delay_alu instid0(SALU_CYCLE_1)
	s_and_not1_b32 vcc_lo, exec_lo, s0
	s_cbranch_vccnz .LBB16_1176
; %bb.1175:
	global_load_u16 v10, v[7:8], off
	s_waitcnt vmcnt(0)
	v_cvt_f32_f16_e32 v10, v10
.LBB16_1176:
	s_cbranch_execnz .LBB16_1195
.LBB16_1177:
	v_cmp_gt_i16_e32 vcc_lo, 2, v9
	s_cbranch_vccnz .LBB16_1181
; %bb.1178:
	v_cmp_gt_i16_e32 vcc_lo, 3, v9
	s_cbranch_vccnz .LBB16_1182
; %bb.1179:
	v_cmp_lt_i16_e32 vcc_lo, 3, v9
	s_cbranch_vccz .LBB16_1183
; %bb.1180:
	global_load_b64 v[10:11], v[7:8], off
	s_mov_b32 s0, 0
	s_waitcnt vmcnt(0)
	v_xor_b32_e32 v12, v10, v11
	v_cls_i32_e32 v13, v11
	s_delay_alu instid0(VALU_DEP_2) | instskip(NEXT) | instid1(VALU_DEP_2)
	v_ashrrev_i32_e32 v12, 31, v12
	v_add_nc_u32_e32 v13, -1, v13
	s_delay_alu instid0(VALU_DEP_2) | instskip(NEXT) | instid1(VALU_DEP_1)
	v_add_nc_u32_e32 v12, 32, v12
	v_min_u32_e32 v12, v13, v12
	s_delay_alu instid0(VALU_DEP_1) | instskip(NEXT) | instid1(VALU_DEP_1)
	v_lshlrev_b64 v[10:11], v12, v[10:11]
	v_min_u32_e32 v10, 1, v10
	s_delay_alu instid0(VALU_DEP_1) | instskip(SKIP_1) | instid1(VALU_DEP_2)
	v_or_b32_e32 v10, v11, v10
	v_sub_nc_u32_e32 v11, 32, v12
	v_cvt_f32_i32_e32 v10, v10
	s_delay_alu instid0(VALU_DEP_1)
	v_ldexp_f32 v10, v10, v11
	s_branch .LBB16_1184
.LBB16_1181:
                                        ; implicit-def: $vgpr10
	s_branch .LBB16_1190
.LBB16_1182:
	s_mov_b32 s0, -1
                                        ; implicit-def: $vgpr10
	s_branch .LBB16_1187
.LBB16_1183:
	s_mov_b32 s0, -1
                                        ; implicit-def: $vgpr10
.LBB16_1184:
	s_delay_alu instid0(SALU_CYCLE_1)
	s_and_not1_b32 vcc_lo, exec_lo, s0
	s_cbranch_vccnz .LBB16_1186
; %bb.1185:
	global_load_b32 v10, v[7:8], off
	s_waitcnt vmcnt(0)
	v_cvt_f32_i32_e32 v10, v10
.LBB16_1186:
	s_mov_b32 s0, 0
.LBB16_1187:
	s_delay_alu instid0(SALU_CYCLE_1)
	s_and_not1_b32 vcc_lo, exec_lo, s0
	s_cbranch_vccnz .LBB16_1189
; %bb.1188:
	global_load_i16 v10, v[7:8], off
	s_waitcnt vmcnt(0)
	v_cvt_f32_i32_e32 v10, v10
.LBB16_1189:
	s_cbranch_execnz .LBB16_1195
.LBB16_1190:
	v_cmp_lt_i16_e32 vcc_lo, 0, v9
	s_mov_b32 s0, 0
	s_cbranch_vccz .LBB16_1192
; %bb.1191:
	global_load_i8 v10, v[7:8], off
	s_waitcnt vmcnt(0)
	v_cvt_f32_i32_e32 v10, v10
	s_branch .LBB16_1193
.LBB16_1192:
	s_mov_b32 s0, -1
                                        ; implicit-def: $vgpr10
.LBB16_1193:
	s_delay_alu instid0(SALU_CYCLE_1)
	s_and_not1_b32 vcc_lo, exec_lo, s0
	s_cbranch_vccnz .LBB16_1195
; %bb.1194:
	global_load_u8 v7, v[7:8], off
	s_waitcnt vmcnt(0)
	v_cvt_f32_ubyte0_e32 v10, v7
.LBB16_1195:
	s_branch .LBB16_1266
.LBB16_1196:
	s_trap 2
	s_sendmsg_rtn_b32 s0, sendmsg(MSG_RTN_GET_DOORBELL)
	s_mov_b32 ttmp2, m0
	s_waitcnt lgkmcnt(0)
	s_and_b32 s0, s0, 0x3ff
	s_delay_alu instid0(SALU_CYCLE_1) | instskip(NEXT) | instid1(SALU_CYCLE_1)
	s_bitset1_b32 s0, 10
	s_mov_b32 m0, s0
	s_sendmsg sendmsg(MSG_INTERRUPT)
	s_mov_b32 m0, ttmp2
.LBB16_1197:                            ; =>This Inner Loop Header: Depth=1
	s_sethalt 5
	s_branch .LBB16_1197
.LBB16_1198:
	s_trap 2
	s_sendmsg_rtn_b32 s0, sendmsg(MSG_RTN_GET_DOORBELL)
	s_mov_b32 ttmp2, m0
	s_waitcnt lgkmcnt(0)
	s_and_b32 s0, s0, 0x3ff
	s_delay_alu instid0(SALU_CYCLE_1) | instskip(NEXT) | instid1(SALU_CYCLE_1)
	s_bitset1_b32 s0, 10
	s_mov_b32 m0, s0
	s_sendmsg sendmsg(MSG_INTERRUPT)
	s_mov_b32 m0, ttmp2
.LBB16_1199:                            ; =>This Inner Loop Header: Depth=1
	s_sethalt 5
	s_branch .LBB16_1199
.LBB16_1200:
	s_mov_b32 s0, -1
.LBB16_1201:
                                        ; implicit-def: $vgpr10
.LBB16_1202:
	s_and_b32 vcc_lo, exec_lo, s1
	s_cbranch_vccz .LBB16_1205
; %bb.1203:
	v_cmp_eq_u16_e32 vcc_lo, 44, v9
	s_cbranch_vccz .LBB16_1206
; %bb.1204:
	global_load_u8 v10, v[7:8], off
	s_mov_b32 s0, 0
	s_mov_b32 s3, -1
	s_waitcnt vmcnt(0)
	v_lshlrev_b32_e32 v11, 23, v10
	v_cmp_ne_u32_e32 vcc_lo, 0xff, v10
	s_delay_alu instid0(VALU_DEP_2) | instskip(SKIP_1) | instid1(VALU_DEP_2)
	v_cndmask_b32_e32 v11, 0x7f800001, v11, vcc_lo
	v_cmp_ne_u32_e32 vcc_lo, 0, v10
	v_cndmask_b32_e32 v10, 0x400000, v11, vcc_lo
.LBB16_1205:
	s_branch .LBB16_1210
.LBB16_1206:
	s_mov_b32 s0, -1
                                        ; implicit-def: $vgpr10
	s_branch .LBB16_1210
.LBB16_1207:
	v_cmp_eq_u16_e32 vcc_lo, 29, v9
	s_cbranch_vccz .LBB16_1209
; %bb.1208:
	global_load_b64 v[10:11], v[7:8], off
	s_mov_b32 s0, 0
	s_mov_b32 s3, -1
	s_mov_b32 s1, 0
	s_waitcnt vmcnt(0)
	v_clz_i32_u32_e32 v12, v11
	s_delay_alu instid0(VALU_DEP_1) | instskip(NEXT) | instid1(VALU_DEP_1)
	v_min_u32_e32 v12, 32, v12
	v_lshlrev_b64 v[10:11], v12, v[10:11]
	s_delay_alu instid0(VALU_DEP_1) | instskip(NEXT) | instid1(VALU_DEP_1)
	v_min_u32_e32 v10, 1, v10
	v_or_b32_e32 v10, v11, v10
	v_sub_nc_u32_e32 v11, 32, v12
	s_delay_alu instid0(VALU_DEP_2) | instskip(NEXT) | instid1(VALU_DEP_1)
	v_cvt_f32_u32_e32 v10, v10
	v_ldexp_f32 v10, v10, v11
	s_branch .LBB16_1211
.LBB16_1209:
	s_mov_b32 s0, -1
                                        ; implicit-def: $vgpr10
.LBB16_1210:
	s_mov_b32 s1, 0
.LBB16_1211:
	s_delay_alu instid0(SALU_CYCLE_1)
	s_and_b32 vcc_lo, exec_lo, s1
	s_cbranch_vccz .LBB16_1229
; %bb.1212:
	v_cmp_gt_i16_e32 vcc_lo, 27, v9
	s_cbranch_vccnz .LBB16_1215
; %bb.1213:
	v_cmp_lt_i16_e32 vcc_lo, 27, v9
	s_cbranch_vccz .LBB16_1216
; %bb.1214:
	global_load_b32 v10, v[7:8], off
	s_mov_b32 s1, 0
	s_waitcnt vmcnt(0)
	v_cvt_f32_u32_e32 v10, v10
	s_branch .LBB16_1217
.LBB16_1215:
	s_mov_b32 s1, -1
                                        ; implicit-def: $vgpr10
	s_branch .LBB16_1220
.LBB16_1216:
	s_mov_b32 s1, -1
                                        ; implicit-def: $vgpr10
.LBB16_1217:
	s_delay_alu instid0(SALU_CYCLE_1)
	s_and_not1_b32 vcc_lo, exec_lo, s1
	s_cbranch_vccnz .LBB16_1219
; %bb.1218:
	global_load_u16 v10, v[7:8], off
	s_waitcnt vmcnt(0)
	v_cvt_f32_u32_e32 v10, v10
.LBB16_1219:
	s_mov_b32 s1, 0
.LBB16_1220:
	s_delay_alu instid0(SALU_CYCLE_1)
	s_and_not1_b32 vcc_lo, exec_lo, s1
	s_cbranch_vccnz .LBB16_1228
; %bb.1221:
	global_load_u8 v11, v[7:8], off
	s_mov_b32 s1, 0
	s_mov_b32 s14, exec_lo
                                        ; implicit-def: $sgpr3
	s_waitcnt vmcnt(0)
	v_cmpx_lt_i16_e32 0x7f, v11
	s_xor_b32 s14, exec_lo, s14
	s_cbranch_execz .LBB16_1241
; %bb.1222:
	s_mov_b32 s1, -1
	s_mov_b32 s15, exec_lo
                                        ; implicit-def: $sgpr3
	v_cmpx_eq_u16_e32 0x80, v11
; %bb.1223:
	s_mov_b32 s3, 0x7f800001
	s_xor_b32 s1, exec_lo, -1
; %bb.1224:
	s_or_b32 exec_lo, exec_lo, s15
	s_delay_alu instid0(SALU_CYCLE_1)
	s_and_b32 s1, s1, exec_lo
	s_or_saveexec_b32 s14, s14
	v_mov_b32_e32 v10, s3
	s_xor_b32 exec_lo, exec_lo, s14
	s_cbranch_execnz .LBB16_1242
.LBB16_1225:
	s_or_b32 exec_lo, exec_lo, s14
	s_and_saveexec_b32 s3, s1
	s_cbranch_execz .LBB16_1227
.LBB16_1226:
	v_and_b32_e32 v10, 0xffff, v11
	s_delay_alu instid0(VALU_DEP_1) | instskip(NEXT) | instid1(VALU_DEP_1)
	v_and_b32_e32 v12, 7, v10
	v_clz_i32_u32_e32 v13, v12
	s_delay_alu instid0(VALU_DEP_1) | instskip(NEXT) | instid1(VALU_DEP_1)
	v_min_u32_e32 v13, 32, v13
	v_subrev_nc_u32_e32 v14, 28, v13
	v_sub_nc_u32_e32 v13, 29, v13
	s_delay_alu instid0(VALU_DEP_2) | instskip(SKIP_1) | instid1(VALU_DEP_2)
	v_lshlrev_b32_e32 v14, v14, v10
	v_bfe_u32 v10, v10, 3, 4
	v_and_b32_e32 v14, 7, v14
	s_delay_alu instid0(VALU_DEP_2) | instskip(SKIP_1) | instid1(VALU_DEP_1)
	v_cmp_eq_u32_e32 vcc_lo, 0, v10
	v_dual_cndmask_b32 v10, v10, v13 :: v_dual_lshlrev_b32 v11, 24, v11
	v_dual_cndmask_b32 v12, v12, v14 :: v_dual_and_b32 v11, 0x80000000, v11
	s_delay_alu instid0(VALU_DEP_2) | instskip(NEXT) | instid1(VALU_DEP_2)
	v_lshl_add_u32 v10, v10, 23, 0x3b800000
	v_lshlrev_b32_e32 v12, 20, v12
	s_delay_alu instid0(VALU_DEP_1)
	v_or3_b32 v10, v11, v10, v12
.LBB16_1227:
	s_or_b32 exec_lo, exec_lo, s3
.LBB16_1228:
	s_mov_b32 s3, -1
.LBB16_1229:
	s_branch .LBB16_1261
.LBB16_1230:
	v_cmp_lt_i16_e32 vcc_lo, 22, v9
	s_cbranch_vccz .LBB16_1240
; %bb.1231:
	v_cmp_gt_i16_e32 vcc_lo, 24, v9
	s_cbranch_vccnz .LBB16_1243
; %bb.1232:
	v_cmp_lt_i16_e32 vcc_lo, 24, v9
	s_cbranch_vccz .LBB16_1244
; %bb.1233:
	global_load_u8 v11, v[7:8], off
	s_mov_b32 s1, 0
	s_mov_b32 s3, exec_lo
                                        ; implicit-def: $sgpr2
	s_waitcnt vmcnt(0)
	v_cmpx_lt_i16_e32 0x7f, v11
	s_xor_b32 s3, exec_lo, s3
	s_cbranch_execz .LBB16_1255
; %bb.1234:
	s_mov_b32 s1, -1
	s_mov_b32 s14, exec_lo
                                        ; implicit-def: $sgpr2
	v_cmpx_eq_u16_e32 0x80, v11
; %bb.1235:
	s_mov_b32 s2, 0x7f800001
	s_xor_b32 s1, exec_lo, -1
; %bb.1236:
	s_or_b32 exec_lo, exec_lo, s14
	s_delay_alu instid0(SALU_CYCLE_1)
	s_and_b32 s1, s1, exec_lo
	s_or_saveexec_b32 s3, s3
	v_mov_b32_e32 v10, s2
	s_xor_b32 exec_lo, exec_lo, s3
	s_cbranch_execnz .LBB16_1256
.LBB16_1237:
	s_or_b32 exec_lo, exec_lo, s3
	s_and_saveexec_b32 s2, s1
	s_cbranch_execz .LBB16_1239
.LBB16_1238:
	v_and_b32_e32 v10, 0xffff, v11
	s_delay_alu instid0(VALU_DEP_1) | instskip(NEXT) | instid1(VALU_DEP_1)
	v_and_b32_e32 v12, 3, v10
	v_clz_i32_u32_e32 v13, v12
	s_delay_alu instid0(VALU_DEP_1) | instskip(NEXT) | instid1(VALU_DEP_1)
	v_min_u32_e32 v13, 32, v13
	v_subrev_nc_u32_e32 v14, 29, v13
	v_sub_nc_u32_e32 v13, 30, v13
	s_delay_alu instid0(VALU_DEP_2) | instskip(SKIP_1) | instid1(VALU_DEP_2)
	v_lshlrev_b32_e32 v14, v14, v10
	v_bfe_u32 v10, v10, 2, 5
	v_and_b32_e32 v14, 3, v14
	s_delay_alu instid0(VALU_DEP_2) | instskip(SKIP_1) | instid1(VALU_DEP_1)
	v_cmp_eq_u32_e32 vcc_lo, 0, v10
	v_dual_cndmask_b32 v10, v10, v13 :: v_dual_lshlrev_b32 v11, 24, v11
	v_dual_cndmask_b32 v12, v12, v14 :: v_dual_and_b32 v11, 0x80000000, v11
	s_delay_alu instid0(VALU_DEP_2) | instskip(NEXT) | instid1(VALU_DEP_2)
	v_lshl_add_u32 v10, v10, 23, 0x37800000
	v_lshlrev_b32_e32 v12, 21, v12
	s_delay_alu instid0(VALU_DEP_1)
	v_or3_b32 v10, v11, v10, v12
.LBB16_1239:
	s_or_b32 exec_lo, exec_lo, s2
	s_mov_b32 s1, 0
	s_branch .LBB16_1245
.LBB16_1240:
                                        ; implicit-def: $vgpr10
	s_mov_b32 s2, 0
	s_branch .LBB16_1251
.LBB16_1241:
	s_or_saveexec_b32 s14, s14
	v_mov_b32_e32 v10, s3
	s_xor_b32 exec_lo, exec_lo, s14
	s_cbranch_execz .LBB16_1225
.LBB16_1242:
	v_cmp_ne_u16_e32 vcc_lo, 0, v11
	v_mov_b32_e32 v10, 0
	s_and_not1_b32 s1, s1, exec_lo
	s_and_b32 s3, vcc_lo, exec_lo
	s_delay_alu instid0(SALU_CYCLE_1)
	s_or_b32 s1, s1, s3
	s_or_b32 exec_lo, exec_lo, s14
	s_and_saveexec_b32 s3, s1
	s_cbranch_execnz .LBB16_1226
	s_branch .LBB16_1227
.LBB16_1243:
	s_mov_b32 s1, -1
                                        ; implicit-def: $vgpr10
	s_branch .LBB16_1248
.LBB16_1244:
	s_mov_b32 s1, -1
                                        ; implicit-def: $vgpr10
.LBB16_1245:
	s_delay_alu instid0(SALU_CYCLE_1)
	s_and_b32 vcc_lo, exec_lo, s1
	s_cbranch_vccz .LBB16_1247
; %bb.1246:
	global_load_u8 v10, v[7:8], off
	s_waitcnt vmcnt(0)
	v_lshlrev_b32_e32 v10, 24, v10
	s_delay_alu instid0(VALU_DEP_1) | instskip(NEXT) | instid1(VALU_DEP_1)
	v_and_b32_e32 v11, 0x7f000000, v10
	v_clz_i32_u32_e32 v12, v11
	v_add_nc_u32_e32 v14, 0x1000000, v11
	v_cmp_ne_u32_e32 vcc_lo, 0, v11
	s_delay_alu instid0(VALU_DEP_3) | instskip(NEXT) | instid1(VALU_DEP_1)
	v_min_u32_e32 v12, 32, v12
	v_sub_nc_u32_e64 v12, v12, 4 clamp
	s_delay_alu instid0(VALU_DEP_1) | instskip(SKIP_1) | instid1(VALU_DEP_2)
	v_lshlrev_b32_e32 v13, v12, v11
	v_lshlrev_b32_e32 v12, 23, v12
	v_lshrrev_b32_e32 v13, 4, v13
	s_delay_alu instid0(VALU_DEP_1) | instskip(SKIP_1) | instid1(VALU_DEP_2)
	v_sub_nc_u32_e32 v12, v13, v12
	v_ashrrev_i32_e32 v13, 8, v14
	v_add_nc_u32_e32 v12, 0x3c000000, v12
	s_delay_alu instid0(VALU_DEP_1) | instskip(NEXT) | instid1(VALU_DEP_1)
	v_and_or_b32 v12, 0x7f800000, v13, v12
	v_cndmask_b32_e32 v11, 0, v12, vcc_lo
	s_delay_alu instid0(VALU_DEP_1)
	v_and_or_b32 v10, 0x80000000, v10, v11
.LBB16_1247:
	s_mov_b32 s1, 0
.LBB16_1248:
	s_delay_alu instid0(SALU_CYCLE_1)
	s_and_not1_b32 vcc_lo, exec_lo, s1
	s_cbranch_vccnz .LBB16_1250
; %bb.1249:
	global_load_u8 v10, v[7:8], off
	s_waitcnt vmcnt(0)
	v_lshlrev_b32_e32 v11, 25, v10
	v_lshlrev_b16 v10, 8, v10
	s_delay_alu instid0(VALU_DEP_2) | instskip(NEXT) | instid1(VALU_DEP_2)
	v_lshrrev_b32_e32 v12, 4, v11
	v_and_or_b32 v13, 0x7f00, v10, 0.5
	v_bfe_i32 v10, v10, 0, 16
	s_delay_alu instid0(VALU_DEP_3) | instskip(NEXT) | instid1(VALU_DEP_1)
	v_or_b32_e32 v12, 0x70000000, v12
	v_dual_add_f32 v13, -0.5, v13 :: v_dual_mul_f32 v12, 0x7800000, v12
	v_cmp_gt_u32_e32 vcc_lo, 0x8000000, v11
	s_delay_alu instid0(VALU_DEP_2) | instskip(NEXT) | instid1(VALU_DEP_1)
	v_cndmask_b32_e32 v11, v12, v13, vcc_lo
	v_and_or_b32 v10, 0x80000000, v10, v11
.LBB16_1250:
	s_mov_b32 s3, -1
	s_mov_b32 s2, 0
	s_cbranch_execnz .LBB16_1261
.LBB16_1251:
	v_cmp_lt_i16_e32 vcc_lo, 14, v9
	s_cbranch_vccz .LBB16_1254
; %bb.1252:
	v_cmp_eq_u16_e32 vcc_lo, 15, v9
	s_cbranch_vccz .LBB16_1257
; %bb.1253:
	global_load_u16 v10, v[7:8], off
	s_mov_b32 s0, 0
	s_mov_b32 s3, -1
	s_waitcnt vmcnt(0)
	v_lshlrev_b32_e32 v10, 16, v10
	s_branch .LBB16_1258
.LBB16_1254:
	s_mov_b32 s1, -1
                                        ; implicit-def: $vgpr10
	s_branch .LBB16_1259
.LBB16_1255:
	s_or_saveexec_b32 s3, s3
	v_mov_b32_e32 v10, s2
	s_xor_b32 exec_lo, exec_lo, s3
	s_cbranch_execz .LBB16_1237
.LBB16_1256:
	v_cmp_ne_u16_e32 vcc_lo, 0, v11
	v_mov_b32_e32 v10, 0
	s_and_not1_b32 s1, s1, exec_lo
	s_and_b32 s2, vcc_lo, exec_lo
	s_delay_alu instid0(SALU_CYCLE_1)
	s_or_b32 s1, s1, s2
	s_or_b32 exec_lo, exec_lo, s3
	s_and_saveexec_b32 s2, s1
	s_cbranch_execnz .LBB16_1238
	s_branch .LBB16_1239
.LBB16_1257:
	s_mov_b32 s0, -1
                                        ; implicit-def: $vgpr10
.LBB16_1258:
	s_mov_b32 s1, 0
.LBB16_1259:
	s_delay_alu instid0(SALU_CYCLE_1)
	s_and_b32 vcc_lo, exec_lo, s1
	s_cbranch_vccz .LBB16_1261
; %bb.1260:
	v_cmp_ne_u16_e64 s0, 11, v9
	s_mov_b32 s2, -1
                                        ; implicit-def: $vgpr10
.LBB16_1261:
	s_delay_alu instid0(VALU_DEP_1)
	s_and_b32 vcc_lo, exec_lo, s0
	s_mov_b32 s1, s12
	s_cbranch_vccnz .LBB16_1287
; %bb.1262:
	s_and_not1_b32 vcc_lo, exec_lo, s2
	s_cbranch_vccnz .LBB16_1264
.LBB16_1263:
	global_load_u8 v10, v[7:8], off
	s_mov_b32 s3, -1
	s_waitcnt vmcnt(0)
	v_cmp_ne_u16_e32 vcc_lo, 0, v10
	v_cndmask_b32_e64 v10, 0, 1.0, vcc_lo
.LBB16_1264:
.LBB16_1265:
	s_and_not1_b32 vcc_lo, exec_lo, s3
	s_cbranch_vccnz .LBB16_2065
.LBB16_1266:
	s_mov_b32 s0, exec_lo
	s_waitcnt vmcnt(0)
	s_delay_alu instid0(VALU_DEP_1)
	v_cmpx_nlg_f32_e64 0x7f800000, |v10|
	s_cbranch_execz .LBB16_1268
; %bb.1267:
	v_dual_mov_b32 v7, 0 :: v_dual_mov_b32 v8, 1.0
	global_store_b32 v7, v8, s[8:9]
.LBB16_1268:
	s_or_b32 exec_lo, exec_lo, s0
	v_mov_b32_e32 v7, 0
	v_cmp_gt_i16_e32 vcc_lo, 11, v9
	v_add_co_u32 v6, s0, s6, v6
	s_mov_b32 s3, 0
	global_load_b32 v13, v7, s[10:11]
	v_add_co_ci_u32_e64 v7, null, s7, 0, s0
	s_cbranch_vccnz .LBB16_1275
; %bb.1269:
	v_cmp_lt_i16_e32 vcc_lo, 25, v9
	s_mov_b32 s2, 0
	s_cbranch_vccz .LBB16_1281
; %bb.1270:
	v_cmp_lt_i16_e32 vcc_lo, 28, v9
	s_cbranch_vccz .LBB16_1283
; %bb.1271:
	v_cmp_lt_i16_e32 vcc_lo, 43, v9
	;; [unrolled: 3-line block ×3, first 2 shown]
	s_cbranch_vccz .LBB16_1291
; %bb.1273:
	v_cmp_eq_u16_e32 vcc_lo, 46, v9
	s_mov_b32 s14, 0
	s_cbranch_vccz .LBB16_1335
; %bb.1274:
	global_load_b32 v8, v[6:7], off
	s_mov_b32 s0, 0
	s_mov_b32 s3, -1
	s_waitcnt vmcnt(0)
	v_lshlrev_b32_e32 v8, 16, v8
	s_branch .LBB16_1337
.LBB16_1275:
                                        ; implicit-def: $vgpr8
	s_cbranch_execz .LBB16_1402
; %bb.1276:
	v_cmp_gt_i16_e32 vcc_lo, 5, v9
	s_cbranch_vccnz .LBB16_1282
; %bb.1277:
	v_cmp_gt_i16_e32 vcc_lo, 8, v9
	s_cbranch_vccnz .LBB16_1284
	;; [unrolled: 3-line block ×3, first 2 shown]
; %bb.1279:
	v_cmp_lt_i16_e32 vcc_lo, 9, v9
	s_cbranch_vccz .LBB16_1292
; %bb.1280:
	global_load_b64 v[11:12], v[6:7], off
	s_mov_b32 s0, 0
	s_waitcnt vmcnt(0)
	v_cvt_f32_f64_e32 v8, v[11:12]
	s_branch .LBB16_1293
.LBB16_1281:
	s_mov_b32 s0, 0
                                        ; implicit-def: $vgpr8
	s_cbranch_execnz .LBB16_1366
	s_branch .LBB16_1398
.LBB16_1282:
                                        ; implicit-def: $vgpr8
	s_branch .LBB16_1311
.LBB16_1283:
	s_mov_b32 s14, -1
	s_mov_b32 s0, 0
                                        ; implicit-def: $vgpr8
	s_branch .LBB16_1347
.LBB16_1284:
	s_mov_b32 s0, -1
                                        ; implicit-def: $vgpr8
	s_branch .LBB16_1299
.LBB16_1285:
	s_mov_b32 s14, -1
	s_mov_b32 s0, 0
                                        ; implicit-def: $vgpr8
	s_branch .LBB16_1342
.LBB16_1286:
	s_mov_b32 s0, -1
                                        ; implicit-def: $vgpr8
	s_branch .LBB16_1296
.LBB16_1287:
	s_cbranch_execnz .LBB16_1331
; %bb.1288:
	s_or_b32 s1, s12, exec_lo
                                        ; implicit-def: $vgpr10
	s_cbranch_execz .LBB16_1263
	s_branch .LBB16_1264
.LBB16_1289:
	s_or_saveexec_b32 s7, s7
                                        ; implicit-def: $sgpr8
	s_delay_alu instid0(SALU_CYCLE_1)
	s_xor_b32 exec_lo, exec_lo, s7
	s_cbranch_execz .LBB16_995
.LBB16_1290:
	v_add_f32_e64 v0, 0x46000000, |v3|
	s_and_not1_b32 s5, s5, exec_lo
	s_mov_b32 s8, 0
	s_delay_alu instid0(VALU_DEP_1) | instskip(NEXT) | instid1(VALU_DEP_1)
	v_and_b32_e32 v0, 0xff, v0
	v_cmp_ne_u32_e32 vcc_lo, 0, v0
	s_and_b32 s9, vcc_lo, exec_lo
	s_delay_alu instid0(SALU_CYCLE_1)
	s_or_b32 s5, s5, s9
	s_or_b32 exec_lo, exec_lo, s7
	v_mov_b32_e32 v4, s8
	s_and_saveexec_b32 s7, s5
	s_cbranch_execnz .LBB16_996
	s_branch .LBB16_997
.LBB16_1291:
	s_mov_b32 s14, -1
	s_mov_b32 s0, 0
	s_branch .LBB16_1336
.LBB16_1292:
	s_mov_b32 s0, -1
                                        ; implicit-def: $vgpr8
.LBB16_1293:
	s_delay_alu instid0(SALU_CYCLE_1)
	s_and_not1_b32 vcc_lo, exec_lo, s0
	s_cbranch_vccnz .LBB16_1295
; %bb.1294:
	global_load_b32 v8, v[6:7], off
.LBB16_1295:
	s_mov_b32 s0, 0
.LBB16_1296:
	s_delay_alu instid0(SALU_CYCLE_1)
	s_and_not1_b32 vcc_lo, exec_lo, s0
	s_cbranch_vccnz .LBB16_1298
; %bb.1297:
	global_load_b32 v8, v[6:7], off
	s_waitcnt vmcnt(0)
	v_cvt_f32_f16_e32 v8, v8
.LBB16_1298:
	s_mov_b32 s0, 0
.LBB16_1299:
	s_delay_alu instid0(SALU_CYCLE_1)
	s_and_not1_b32 vcc_lo, exec_lo, s0
	s_cbranch_vccnz .LBB16_1310
; %bb.1300:
	v_cmp_gt_i16_e32 vcc_lo, 6, v9
	s_cbranch_vccnz .LBB16_1303
; %bb.1301:
	v_cmp_lt_i16_e32 vcc_lo, 6, v9
	s_cbranch_vccz .LBB16_1304
; %bb.1302:
	global_load_b64 v[11:12], v[6:7], off
	s_mov_b32 s0, 0
	s_waitcnt vmcnt(0)
	v_cvt_f32_f64_e32 v8, v[11:12]
	s_branch .LBB16_1305
.LBB16_1303:
	s_mov_b32 s0, -1
                                        ; implicit-def: $vgpr8
	s_branch .LBB16_1308
.LBB16_1304:
	s_mov_b32 s0, -1
                                        ; implicit-def: $vgpr8
.LBB16_1305:
	s_delay_alu instid0(SALU_CYCLE_1)
	s_and_not1_b32 vcc_lo, exec_lo, s0
	s_cbranch_vccnz .LBB16_1307
; %bb.1306:
	global_load_b32 v8, v[6:7], off
.LBB16_1307:
	s_mov_b32 s0, 0
.LBB16_1308:
	s_delay_alu instid0(SALU_CYCLE_1)
	s_and_not1_b32 vcc_lo, exec_lo, s0
	s_cbranch_vccnz .LBB16_1310
; %bb.1309:
	global_load_u16 v8, v[6:7], off
	s_waitcnt vmcnt(0)
	v_cvt_f32_f16_e32 v8, v8
.LBB16_1310:
	s_cbranch_execnz .LBB16_1330
.LBB16_1311:
	v_cmp_gt_i16_e32 vcc_lo, 2, v9
	s_cbranch_vccnz .LBB16_1315
; %bb.1312:
	v_cmp_gt_i16_e32 vcc_lo, 3, v9
	s_cbranch_vccnz .LBB16_1316
; %bb.1313:
	v_cmp_lt_i16_e32 vcc_lo, 3, v9
	s_cbranch_vccz .LBB16_1317
; %bb.1314:
	global_load_b64 v[11:12], v[6:7], off
	s_mov_b32 s0, 0
	s_waitcnt vmcnt(0)
	v_xor_b32_e32 v8, v11, v12
	v_cls_i32_e32 v14, v12
	s_delay_alu instid0(VALU_DEP_2) | instskip(NEXT) | instid1(VALU_DEP_2)
	v_ashrrev_i32_e32 v8, 31, v8
	v_add_nc_u32_e32 v14, -1, v14
	s_delay_alu instid0(VALU_DEP_2) | instskip(NEXT) | instid1(VALU_DEP_1)
	v_add_nc_u32_e32 v8, 32, v8
	v_min_u32_e32 v8, v14, v8
	s_delay_alu instid0(VALU_DEP_1) | instskip(SKIP_1) | instid1(VALU_DEP_2)
	v_lshlrev_b64 v[11:12], v8, v[11:12]
	v_sub_nc_u32_e32 v8, 32, v8
	v_min_u32_e32 v11, 1, v11
	s_delay_alu instid0(VALU_DEP_1) | instskip(NEXT) | instid1(VALU_DEP_1)
	v_or_b32_e32 v11, v12, v11
	v_cvt_f32_i32_e32 v11, v11
	s_delay_alu instid0(VALU_DEP_1)
	v_ldexp_f32 v8, v11, v8
	s_branch .LBB16_1318
.LBB16_1315:
	s_mov_b32 s0, -1
                                        ; implicit-def: $vgpr8
	s_branch .LBB16_1324
.LBB16_1316:
	s_mov_b32 s0, -1
                                        ; implicit-def: $vgpr8
	s_branch .LBB16_1321
.LBB16_1317:
	s_mov_b32 s0, -1
                                        ; implicit-def: $vgpr8
.LBB16_1318:
	s_delay_alu instid0(SALU_CYCLE_1)
	s_and_not1_b32 vcc_lo, exec_lo, s0
	s_cbranch_vccnz .LBB16_1320
; %bb.1319:
	global_load_b32 v8, v[6:7], off
	s_waitcnt vmcnt(0)
	v_cvt_f32_i32_e32 v8, v8
.LBB16_1320:
	s_mov_b32 s0, 0
.LBB16_1321:
	s_delay_alu instid0(SALU_CYCLE_1)
	s_and_not1_b32 vcc_lo, exec_lo, s0
	s_cbranch_vccnz .LBB16_1323
; %bb.1322:
	global_load_i16 v8, v[6:7], off
	s_waitcnt vmcnt(0)
	v_cvt_f32_i32_e32 v8, v8
.LBB16_1323:
	s_mov_b32 s0, 0
.LBB16_1324:
	s_delay_alu instid0(SALU_CYCLE_1)
	s_and_not1_b32 vcc_lo, exec_lo, s0
	s_cbranch_vccnz .LBB16_1330
; %bb.1325:
	v_cmp_lt_i16_e32 vcc_lo, 0, v9
	s_mov_b32 s0, 0
	s_cbranch_vccz .LBB16_1327
; %bb.1326:
	global_load_i8 v8, v[6:7], off
	s_waitcnt vmcnt(0)
	v_cvt_f32_i32_e32 v8, v8
	s_branch .LBB16_1328
.LBB16_1327:
	s_mov_b32 s0, -1
                                        ; implicit-def: $vgpr8
.LBB16_1328:
	s_delay_alu instid0(SALU_CYCLE_1)
	s_and_not1_b32 vcc_lo, exec_lo, s0
	s_cbranch_vccnz .LBB16_1330
; %bb.1329:
	global_load_u8 v6, v[6:7], off
	s_waitcnt vmcnt(0)
	v_cvt_f32_ubyte0_e32 v8, v6
.LBB16_1330:
	s_branch .LBB16_1403
.LBB16_1331:
	s_trap 2
	s_sendmsg_rtn_b32 s0, sendmsg(MSG_RTN_GET_DOORBELL)
	s_mov_b32 ttmp2, m0
	s_waitcnt lgkmcnt(0)
	s_and_b32 s0, s0, 0x3ff
	s_delay_alu instid0(SALU_CYCLE_1) | instskip(NEXT) | instid1(SALU_CYCLE_1)
	s_bitset1_b32 s0, 10
	s_mov_b32 m0, s0
	s_sendmsg sendmsg(MSG_INTERRUPT)
	s_mov_b32 m0, ttmp2
.LBB16_1332:                            ; =>This Inner Loop Header: Depth=1
	s_sethalt 5
	s_branch .LBB16_1332
.LBB16_1333:
	s_or_saveexec_b32 s8, s8
                                        ; implicit-def: $sgpr9
	s_delay_alu instid0(SALU_CYCLE_1)
	s_xor_b32 exec_lo, exec_lo, s8
	s_cbranch_execz .LBB16_1007
.LBB16_1334:
	v_add_f32_e64 v0, 0x42800000, |v3|
	s_and_not1_b32 s7, s7, exec_lo
	s_mov_b32 s9, 0
	s_delay_alu instid0(VALU_DEP_1) | instskip(NEXT) | instid1(VALU_DEP_1)
	v_and_b32_e32 v0, 0xff, v0
	v_cmp_ne_u32_e32 vcc_lo, 0, v0
	s_and_b32 s10, vcc_lo, exec_lo
	s_delay_alu instid0(SALU_CYCLE_1)
	s_or_b32 s7, s7, s10
	s_or_b32 exec_lo, exec_lo, s8
	v_mov_b32_e32 v4, s9
	s_and_saveexec_b32 s8, s7
	s_cbranch_execnz .LBB16_1008
	s_branch .LBB16_1009
.LBB16_1335:
	s_mov_b32 s0, -1
.LBB16_1336:
                                        ; implicit-def: $vgpr8
.LBB16_1337:
	s_and_b32 vcc_lo, exec_lo, s14
	s_cbranch_vccz .LBB16_1341
; %bb.1338:
	v_cmp_eq_u16_e32 vcc_lo, 44, v9
	s_cbranch_vccz .LBB16_1340
; %bb.1339:
	global_load_u8 v8, v[6:7], off
	s_mov_b32 s0, 0
	s_mov_b32 s3, -1
	s_waitcnt vmcnt(0)
	v_lshlrev_b32_e32 v11, 23, v8
	v_cmp_ne_u32_e32 vcc_lo, 0xff, v8
	s_delay_alu instid0(VALU_DEP_2) | instskip(SKIP_1) | instid1(VALU_DEP_2)
	v_cndmask_b32_e32 v11, 0x7f800001, v11, vcc_lo
	v_cmp_ne_u32_e32 vcc_lo, 0, v8
	v_cndmask_b32_e32 v8, 0x400000, v11, vcc_lo
	s_branch .LBB16_1341
.LBB16_1340:
	s_mov_b32 s0, -1
                                        ; implicit-def: $vgpr8
.LBB16_1341:
	s_mov_b32 s14, 0
.LBB16_1342:
	s_delay_alu instid0(SALU_CYCLE_1)
	s_and_b32 vcc_lo, exec_lo, s14
	s_cbranch_vccz .LBB16_1346
; %bb.1343:
	v_cmp_eq_u16_e32 vcc_lo, 29, v9
	s_cbranch_vccz .LBB16_1345
; %bb.1344:
	global_load_b64 v[11:12], v[6:7], off
	s_mov_b32 s0, 0
	s_mov_b32 s3, -1
	s_mov_b32 s14, 0
	s_waitcnt vmcnt(0)
	v_clz_i32_u32_e32 v8, v12
	s_delay_alu instid0(VALU_DEP_1) | instskip(NEXT) | instid1(VALU_DEP_1)
	v_min_u32_e32 v8, 32, v8
	v_lshlrev_b64 v[11:12], v8, v[11:12]
	v_sub_nc_u32_e32 v8, 32, v8
	s_delay_alu instid0(VALU_DEP_2) | instskip(NEXT) | instid1(VALU_DEP_1)
	v_min_u32_e32 v11, 1, v11
	v_or_b32_e32 v11, v12, v11
	s_delay_alu instid0(VALU_DEP_1) | instskip(NEXT) | instid1(VALU_DEP_1)
	v_cvt_f32_u32_e32 v11, v11
	v_ldexp_f32 v8, v11, v8
	s_branch .LBB16_1347
.LBB16_1345:
	s_mov_b32 s0, -1
                                        ; implicit-def: $vgpr8
.LBB16_1346:
	s_mov_b32 s14, 0
.LBB16_1347:
	s_delay_alu instid0(SALU_CYCLE_1)
	s_and_b32 vcc_lo, exec_lo, s14
	s_cbranch_vccz .LBB16_1365
; %bb.1348:
	v_cmp_gt_i16_e32 vcc_lo, 27, v9
	s_cbranch_vccnz .LBB16_1351
; %bb.1349:
	v_cmp_lt_i16_e32 vcc_lo, 27, v9
	s_cbranch_vccz .LBB16_1352
; %bb.1350:
	global_load_b32 v8, v[6:7], off
	s_mov_b32 s3, 0
	s_waitcnt vmcnt(0)
	v_cvt_f32_u32_e32 v8, v8
	s_branch .LBB16_1353
.LBB16_1351:
	s_mov_b32 s3, -1
                                        ; implicit-def: $vgpr8
	s_branch .LBB16_1356
.LBB16_1352:
	s_mov_b32 s3, -1
                                        ; implicit-def: $vgpr8
.LBB16_1353:
	s_delay_alu instid0(SALU_CYCLE_1)
	s_and_not1_b32 vcc_lo, exec_lo, s3
	s_cbranch_vccnz .LBB16_1355
; %bb.1354:
	global_load_u16 v8, v[6:7], off
	s_waitcnt vmcnt(0)
	v_cvt_f32_u32_e32 v8, v8
.LBB16_1355:
	s_mov_b32 s3, 0
.LBB16_1356:
	s_delay_alu instid0(SALU_CYCLE_1)
	s_and_not1_b32 vcc_lo, exec_lo, s3
	s_cbranch_vccnz .LBB16_1364
; %bb.1357:
	global_load_u8 v11, v[6:7], off
	s_mov_b32 s3, 0
	s_mov_b32 s15, exec_lo
                                        ; implicit-def: $sgpr14
	s_waitcnt vmcnt(0)
	v_cmpx_lt_i16_e32 0x7f, v11
	s_xor_b32 s15, exec_lo, s15
	s_cbranch_execz .LBB16_1377
; %bb.1358:
	s_mov_b32 s3, -1
	s_mov_b32 s16, exec_lo
                                        ; implicit-def: $sgpr14
	v_cmpx_eq_u16_e32 0x80, v11
; %bb.1359:
	s_mov_b32 s14, 0x7f800001
	s_xor_b32 s3, exec_lo, -1
; %bb.1360:
	s_or_b32 exec_lo, exec_lo, s16
	s_delay_alu instid0(SALU_CYCLE_1)
	s_and_b32 s3, s3, exec_lo
	s_or_saveexec_b32 s15, s15
	v_mov_b32_e32 v8, s14
	s_xor_b32 exec_lo, exec_lo, s15
	s_cbranch_execnz .LBB16_1378
.LBB16_1361:
	s_or_b32 exec_lo, exec_lo, s15
	s_and_saveexec_b32 s14, s3
	s_cbranch_execz .LBB16_1363
.LBB16_1362:
	v_and_b32_e32 v8, 0xffff, v11
	v_lshlrev_b32_e32 v11, 24, v11
	s_delay_alu instid0(VALU_DEP_2) | instskip(NEXT) | instid1(VALU_DEP_2)
	v_and_b32_e32 v12, 7, v8
	v_and_b32_e32 v11, 0x80000000, v11
	s_delay_alu instid0(VALU_DEP_2) | instskip(NEXT) | instid1(VALU_DEP_1)
	v_clz_i32_u32_e32 v14, v12
	v_min_u32_e32 v14, 32, v14
	s_delay_alu instid0(VALU_DEP_1) | instskip(SKIP_1) | instid1(VALU_DEP_2)
	v_subrev_nc_u32_e32 v15, 28, v14
	v_sub_nc_u32_e32 v14, 29, v14
	v_lshlrev_b32_e32 v15, v15, v8
	v_bfe_u32 v8, v8, 3, 4
	s_delay_alu instid0(VALU_DEP_1) | instskip(NEXT) | instid1(VALU_DEP_3)
	v_cmp_eq_u32_e32 vcc_lo, 0, v8
	v_dual_cndmask_b32 v8, v8, v14 :: v_dual_and_b32 v15, 7, v15
	s_delay_alu instid0(VALU_DEP_1) | instskip(NEXT) | instid1(VALU_DEP_2)
	v_lshl_add_u32 v8, v8, 23, 0x3b800000
	v_cndmask_b32_e32 v12, v12, v15, vcc_lo
	s_delay_alu instid0(VALU_DEP_1) | instskip(NEXT) | instid1(VALU_DEP_1)
	v_lshlrev_b32_e32 v12, 20, v12
	v_or3_b32 v8, v11, v8, v12
.LBB16_1363:
	s_or_b32 exec_lo, exec_lo, s14
.LBB16_1364:
	s_mov_b32 s3, -1
.LBB16_1365:
	s_branch .LBB16_1398
.LBB16_1366:
	v_cmp_lt_i16_e32 vcc_lo, 22, v9
	s_cbranch_vccz .LBB16_1376
; %bb.1367:
	v_cmp_gt_i16_e32 vcc_lo, 24, v9
	s_cbranch_vccnz .LBB16_1379
; %bb.1368:
	v_cmp_lt_i16_e32 vcc_lo, 24, v9
	s_cbranch_vccz .LBB16_1380
; %bb.1369:
	global_load_u8 v11, v[6:7], off
	s_mov_b32 s14, exec_lo
                                        ; implicit-def: $sgpr3
	s_waitcnt vmcnt(0)
	v_cmpx_lt_i16_e32 0x7f, v11
	s_xor_b32 s14, exec_lo, s14
	s_cbranch_execz .LBB16_1392
; %bb.1370:
	s_mov_b32 s2, -1
	s_mov_b32 s15, exec_lo
                                        ; implicit-def: $sgpr3
	v_cmpx_eq_u16_e32 0x80, v11
; %bb.1371:
	s_mov_b32 s3, 0x7f800001
	s_xor_b32 s2, exec_lo, -1
; %bb.1372:
	s_or_b32 exec_lo, exec_lo, s15
	s_delay_alu instid0(SALU_CYCLE_1)
	s_and_b32 s2, s2, exec_lo
	s_or_saveexec_b32 s14, s14
	v_mov_b32_e32 v8, s3
	s_xor_b32 exec_lo, exec_lo, s14
	s_cbranch_execnz .LBB16_1393
.LBB16_1373:
	s_or_b32 exec_lo, exec_lo, s14
	s_and_saveexec_b32 s3, s2
	s_cbranch_execz .LBB16_1375
.LBB16_1374:
	v_and_b32_e32 v8, 0xffff, v11
	v_lshlrev_b32_e32 v11, 24, v11
	s_delay_alu instid0(VALU_DEP_2) | instskip(NEXT) | instid1(VALU_DEP_2)
	v_and_b32_e32 v12, 3, v8
	v_and_b32_e32 v11, 0x80000000, v11
	s_delay_alu instid0(VALU_DEP_2) | instskip(NEXT) | instid1(VALU_DEP_1)
	v_clz_i32_u32_e32 v14, v12
	v_min_u32_e32 v14, 32, v14
	s_delay_alu instid0(VALU_DEP_1) | instskip(SKIP_1) | instid1(VALU_DEP_2)
	v_subrev_nc_u32_e32 v15, 29, v14
	v_sub_nc_u32_e32 v14, 30, v14
	v_lshlrev_b32_e32 v15, v15, v8
	v_bfe_u32 v8, v8, 2, 5
	s_delay_alu instid0(VALU_DEP_1) | instskip(NEXT) | instid1(VALU_DEP_3)
	v_cmp_eq_u32_e32 vcc_lo, 0, v8
	v_dual_cndmask_b32 v8, v8, v14 :: v_dual_and_b32 v15, 3, v15
	s_delay_alu instid0(VALU_DEP_1) | instskip(NEXT) | instid1(VALU_DEP_2)
	v_lshl_add_u32 v8, v8, 23, 0x37800000
	v_cndmask_b32_e32 v12, v12, v15, vcc_lo
	s_delay_alu instid0(VALU_DEP_1) | instskip(NEXT) | instid1(VALU_DEP_1)
	v_lshlrev_b32_e32 v12, 21, v12
	v_or3_b32 v8, v11, v8, v12
.LBB16_1375:
	s_or_b32 exec_lo, exec_lo, s3
	s_mov_b32 s2, 0
	s_branch .LBB16_1381
.LBB16_1376:
	s_mov_b32 s2, -1
                                        ; implicit-def: $vgpr8
	s_branch .LBB16_1387
.LBB16_1377:
	s_or_saveexec_b32 s15, s15
	v_mov_b32_e32 v8, s14
	s_xor_b32 exec_lo, exec_lo, s15
	s_cbranch_execz .LBB16_1361
.LBB16_1378:
	v_cmp_ne_u16_e32 vcc_lo, 0, v11
	v_mov_b32_e32 v8, 0
	s_and_not1_b32 s3, s3, exec_lo
	s_and_b32 s14, vcc_lo, exec_lo
	s_delay_alu instid0(SALU_CYCLE_1)
	s_or_b32 s3, s3, s14
	s_or_b32 exec_lo, exec_lo, s15
	s_and_saveexec_b32 s14, s3
	s_cbranch_execnz .LBB16_1362
	s_branch .LBB16_1363
.LBB16_1379:
	s_mov_b32 s2, -1
                                        ; implicit-def: $vgpr8
	s_branch .LBB16_1384
.LBB16_1380:
	s_mov_b32 s2, -1
                                        ; implicit-def: $vgpr8
.LBB16_1381:
	s_delay_alu instid0(SALU_CYCLE_1)
	s_and_b32 vcc_lo, exec_lo, s2
	s_cbranch_vccz .LBB16_1383
; %bb.1382:
	global_load_u8 v8, v[6:7], off
	s_waitcnt vmcnt(0)
	v_lshlrev_b32_e32 v8, 24, v8
	s_delay_alu instid0(VALU_DEP_1) | instskip(NEXT) | instid1(VALU_DEP_1)
	v_and_b32_e32 v11, 0x7f000000, v8
	v_clz_i32_u32_e32 v12, v11
	v_cmp_ne_u32_e32 vcc_lo, 0, v11
	v_add_nc_u32_e32 v15, 0x1000000, v11
	s_delay_alu instid0(VALU_DEP_3) | instskip(NEXT) | instid1(VALU_DEP_1)
	v_min_u32_e32 v12, 32, v12
	v_sub_nc_u32_e64 v12, v12, 4 clamp
	s_delay_alu instid0(VALU_DEP_1) | instskip(SKIP_1) | instid1(VALU_DEP_2)
	v_lshlrev_b32_e32 v14, v12, v11
	v_lshlrev_b32_e32 v12, 23, v12
	v_lshrrev_b32_e32 v14, 4, v14
	s_delay_alu instid0(VALU_DEP_1) | instskip(SKIP_1) | instid1(VALU_DEP_2)
	v_sub_nc_u32_e32 v12, v14, v12
	v_ashrrev_i32_e32 v14, 8, v15
	v_add_nc_u32_e32 v12, 0x3c000000, v12
	s_delay_alu instid0(VALU_DEP_1) | instskip(NEXT) | instid1(VALU_DEP_1)
	v_and_or_b32 v12, 0x7f800000, v14, v12
	v_cndmask_b32_e32 v11, 0, v12, vcc_lo
	s_delay_alu instid0(VALU_DEP_1)
	v_and_or_b32 v8, 0x80000000, v8, v11
.LBB16_1383:
	s_mov_b32 s2, 0
.LBB16_1384:
	s_delay_alu instid0(SALU_CYCLE_1)
	s_and_not1_b32 vcc_lo, exec_lo, s2
	s_cbranch_vccnz .LBB16_1386
; %bb.1385:
	global_load_u8 v8, v[6:7], off
	s_waitcnt vmcnt(0)
	v_lshlrev_b32_e32 v11, 25, v8
	v_lshlrev_b16 v8, 8, v8
	s_delay_alu instid0(VALU_DEP_1) | instskip(SKIP_1) | instid1(VALU_DEP_2)
	v_and_or_b32 v14, 0x7f00, v8, 0.5
	v_bfe_i32 v8, v8, 0, 16
	v_add_f32_e32 v14, -0.5, v14
	v_lshrrev_b32_e32 v12, 4, v11
	v_cmp_gt_u32_e32 vcc_lo, 0x8000000, v11
	s_delay_alu instid0(VALU_DEP_2) | instskip(NEXT) | instid1(VALU_DEP_1)
	v_or_b32_e32 v12, 0x70000000, v12
	v_mul_f32_e32 v12, 0x7800000, v12
	s_delay_alu instid0(VALU_DEP_1) | instskip(NEXT) | instid1(VALU_DEP_1)
	v_cndmask_b32_e32 v11, v12, v14, vcc_lo
	v_and_or_b32 v8, 0x80000000, v8, v11
.LBB16_1386:
	s_mov_b32 s2, 0
	s_mov_b32 s3, -1
.LBB16_1387:
	s_and_not1_b32 vcc_lo, exec_lo, s2
	s_mov_b32 s2, 0
	s_cbranch_vccnz .LBB16_1398
; %bb.1388:
	v_cmp_lt_i16_e32 vcc_lo, 14, v9
	s_cbranch_vccz .LBB16_1391
; %bb.1389:
	v_cmp_eq_u16_e32 vcc_lo, 15, v9
	s_cbranch_vccz .LBB16_1394
; %bb.1390:
	global_load_u16 v8, v[6:7], off
	s_mov_b32 s0, 0
	s_mov_b32 s3, -1
	s_waitcnt vmcnt(0)
	v_lshlrev_b32_e32 v8, 16, v8
	s_branch .LBB16_1396
.LBB16_1391:
	s_mov_b32 s2, -1
	s_branch .LBB16_1395
.LBB16_1392:
	s_or_saveexec_b32 s14, s14
	v_mov_b32_e32 v8, s3
	s_xor_b32 exec_lo, exec_lo, s14
	s_cbranch_execz .LBB16_1373
.LBB16_1393:
	v_cmp_ne_u16_e32 vcc_lo, 0, v11
	v_mov_b32_e32 v8, 0
	s_and_not1_b32 s2, s2, exec_lo
	s_and_b32 s3, vcc_lo, exec_lo
	s_delay_alu instid0(SALU_CYCLE_1)
	s_or_b32 s2, s2, s3
	s_or_b32 exec_lo, exec_lo, s14
	s_and_saveexec_b32 s3, s2
	s_cbranch_execnz .LBB16_1374
	s_branch .LBB16_1375
.LBB16_1394:
	s_mov_b32 s0, -1
.LBB16_1395:
                                        ; implicit-def: $vgpr8
.LBB16_1396:
	s_and_b32 vcc_lo, exec_lo, s2
	s_mov_b32 s2, 0
	s_cbranch_vccz .LBB16_1398
; %bb.1397:
	v_cmp_ne_u16_e64 s0, 11, v9
	s_mov_b32 s2, -1
                                        ; implicit-def: $vgpr8
.LBB16_1398:
	s_delay_alu instid0(VALU_DEP_1)
	s_and_b32 vcc_lo, exec_lo, s0
	s_cbranch_vccnz .LBB16_1424
; %bb.1399:
	s_and_not1_b32 vcc_lo, exec_lo, s2
	s_cbranch_vccnz .LBB16_1401
.LBB16_1400:
	global_load_u8 v8, v[6:7], off
	s_mov_b32 s3, -1
	s_waitcnt vmcnt(0)
	v_cmp_ne_u16_e32 vcc_lo, 0, v8
	v_cndmask_b32_e64 v8, 0, 1.0, vcc_lo
.LBB16_1401:
.LBB16_1402:
	s_and_not1_b32 vcc_lo, exec_lo, s3
	s_cbranch_vccnz .LBB16_2065
.LBB16_1403:
	s_waitcnt vmcnt(0)
	v_mov_b32_e32 v14, v13
	s_mov_b32 s0, exec_lo
	s_delay_alu instid0(VALU_DEP_2)
	v_cmpx_nlg_f32_e64 0x7f800000, |v8|
	s_cbranch_execz .LBB16_1405
; %bb.1404:
	v_dual_mov_b32 v6, 0 :: v_dual_mov_b32 v7, 1.0
	global_store_b32 v6, v7, s[8:9]
	global_load_b32 v14, v6, s[10:11]
.LBB16_1405:
	s_or_b32 exec_lo, exec_lo, s0
	v_cmp_gt_i16_e32 vcc_lo, 11, v9
	v_add_co_u32 v5, s0, s6, v5
	s_delay_alu instid0(VALU_DEP_1)
	v_add_co_ci_u32_e64 v6, null, s7, 0, s0
	s_mov_b32 s3, 0
	s_cbranch_vccnz .LBB16_1412
; %bb.1406:
	v_cmp_lt_i16_e32 vcc_lo, 25, v9
	s_mov_b32 s2, 0
	s_cbranch_vccz .LBB16_1418
; %bb.1407:
	v_cmp_lt_i16_e32 vcc_lo, 28, v9
	s_cbranch_vccz .LBB16_1420
; %bb.1408:
	v_cmp_lt_i16_e32 vcc_lo, 43, v9
	s_cbranch_vccz .LBB16_1422
; %bb.1409:
	v_cmp_lt_i16_e32 vcc_lo, 45, v9
	s_cbranch_vccz .LBB16_1426
; %bb.1410:
	v_cmp_eq_u16_e32 vcc_lo, 46, v9
	s_mov_b32 s14, 0
	s_cbranch_vccz .LBB16_1469
; %bb.1411:
	global_load_b32 v7, v[5:6], off
	s_mov_b32 s0, 0
	s_mov_b32 s3, -1
	s_waitcnt vmcnt(0)
	v_lshlrev_b32_e32 v11, 16, v7
	s_branch .LBB16_1471
.LBB16_1412:
                                        ; implicit-def: $vgpr11
	s_cbranch_execz .LBB16_1537
; %bb.1413:
	v_cmp_gt_i16_e32 vcc_lo, 5, v9
	s_cbranch_vccnz .LBB16_1419
; %bb.1414:
	v_cmp_gt_i16_e32 vcc_lo, 8, v9
	s_cbranch_vccnz .LBB16_1421
	;; [unrolled: 3-line block ×3, first 2 shown]
; %bb.1416:
	v_cmp_lt_i16_e32 vcc_lo, 9, v9
	s_cbranch_vccz .LBB16_1427
; %bb.1417:
	global_load_b64 v[11:12], v[5:6], off
	s_mov_b32 s0, 0
	s_waitcnt vmcnt(0)
	v_cvt_f32_f64_e32 v11, v[11:12]
	s_branch .LBB16_1428
.LBB16_1418:
	s_mov_b32 s14, -1
	s_mov_b32 s0, 0
                                        ; implicit-def: $vgpr11
	s_branch .LBB16_1500
.LBB16_1419:
	s_mov_b32 s0, -1
                                        ; implicit-def: $vgpr11
	s_branch .LBB16_1446
.LBB16_1420:
	s_mov_b32 s14, -1
	s_mov_b32 s0, 0
                                        ; implicit-def: $vgpr11
	s_branch .LBB16_1481
.LBB16_1421:
	s_mov_b32 s0, -1
                                        ; implicit-def: $vgpr11
	s_branch .LBB16_1434
.LBB16_1422:
	s_mov_b32 s14, -1
	s_mov_b32 s0, 0
                                        ; implicit-def: $vgpr11
	s_branch .LBB16_1476
.LBB16_1423:
	s_mov_b32 s0, -1
                                        ; implicit-def: $vgpr11
	s_branch .LBB16_1431
.LBB16_1424:
	s_cbranch_execnz .LBB16_1467
; %bb.1425:
	s_or_b32 s1, s1, exec_lo
                                        ; implicit-def: $vgpr8
	s_cbranch_execz .LBB16_1400
	s_branch .LBB16_1401
.LBB16_1426:
	s_mov_b32 s14, -1
	s_mov_b32 s0, 0
	s_branch .LBB16_1470
.LBB16_1427:
	s_mov_b32 s0, -1
                                        ; implicit-def: $vgpr11
.LBB16_1428:
	s_delay_alu instid0(SALU_CYCLE_1)
	s_and_not1_b32 vcc_lo, exec_lo, s0
	s_cbranch_vccnz .LBB16_1430
; %bb.1429:
	global_load_b32 v11, v[5:6], off
.LBB16_1430:
	s_mov_b32 s0, 0
.LBB16_1431:
	s_delay_alu instid0(SALU_CYCLE_1)
	s_and_not1_b32 vcc_lo, exec_lo, s0
	s_cbranch_vccnz .LBB16_1433
; %bb.1432:
	global_load_b32 v7, v[5:6], off
	s_waitcnt vmcnt(0)
	v_cvt_f32_f16_e32 v11, v7
.LBB16_1433:
	s_mov_b32 s0, 0
.LBB16_1434:
	s_delay_alu instid0(SALU_CYCLE_1)
	s_and_not1_b32 vcc_lo, exec_lo, s0
	s_cbranch_vccnz .LBB16_1445
; %bb.1435:
	v_cmp_gt_i16_e32 vcc_lo, 6, v9
	s_cbranch_vccnz .LBB16_1438
; %bb.1436:
	v_cmp_lt_i16_e32 vcc_lo, 6, v9
	s_cbranch_vccz .LBB16_1439
; %bb.1437:
	global_load_b64 v[11:12], v[5:6], off
	s_mov_b32 s0, 0
	s_waitcnt vmcnt(0)
	v_cvt_f32_f64_e32 v11, v[11:12]
	s_branch .LBB16_1440
.LBB16_1438:
	s_mov_b32 s0, -1
                                        ; implicit-def: $vgpr11
	s_branch .LBB16_1443
.LBB16_1439:
	s_mov_b32 s0, -1
                                        ; implicit-def: $vgpr11
.LBB16_1440:
	s_delay_alu instid0(SALU_CYCLE_1)
	s_and_not1_b32 vcc_lo, exec_lo, s0
	s_cbranch_vccnz .LBB16_1442
; %bb.1441:
	global_load_b32 v11, v[5:6], off
.LBB16_1442:
	s_mov_b32 s0, 0
.LBB16_1443:
	s_delay_alu instid0(SALU_CYCLE_1)
	s_and_not1_b32 vcc_lo, exec_lo, s0
	s_cbranch_vccnz .LBB16_1445
; %bb.1444:
	global_load_u16 v7, v[5:6], off
	s_waitcnt vmcnt(0)
	v_cvt_f32_f16_e32 v11, v7
.LBB16_1445:
	s_mov_b32 s0, 0
.LBB16_1446:
	s_delay_alu instid0(SALU_CYCLE_1)
	s_and_not1_b32 vcc_lo, exec_lo, s0
	s_cbranch_vccnz .LBB16_1466
; %bb.1447:
	v_cmp_gt_i16_e32 vcc_lo, 2, v9
	s_cbranch_vccnz .LBB16_1451
; %bb.1448:
	v_cmp_gt_i16_e32 vcc_lo, 3, v9
	s_cbranch_vccnz .LBB16_1452
; %bb.1449:
	v_cmp_lt_i16_e32 vcc_lo, 3, v9
	s_cbranch_vccz .LBB16_1453
; %bb.1450:
	global_load_b64 v[11:12], v[5:6], off
	s_mov_b32 s0, 0
	s_waitcnt vmcnt(0)
	v_xor_b32_e32 v7, v11, v12
	v_cls_i32_e32 v15, v12
	s_delay_alu instid0(VALU_DEP_2) | instskip(NEXT) | instid1(VALU_DEP_2)
	v_ashrrev_i32_e32 v7, 31, v7
	v_add_nc_u32_e32 v15, -1, v15
	s_delay_alu instid0(VALU_DEP_2) | instskip(NEXT) | instid1(VALU_DEP_1)
	v_add_nc_u32_e32 v7, 32, v7
	v_min_u32_e32 v7, v15, v7
	s_delay_alu instid0(VALU_DEP_1) | instskip(SKIP_1) | instid1(VALU_DEP_2)
	v_lshlrev_b64 v[11:12], v7, v[11:12]
	v_sub_nc_u32_e32 v7, 32, v7
	v_min_u32_e32 v11, 1, v11
	s_delay_alu instid0(VALU_DEP_1) | instskip(NEXT) | instid1(VALU_DEP_1)
	v_or_b32_e32 v11, v12, v11
	v_cvt_f32_i32_e32 v11, v11
	s_delay_alu instid0(VALU_DEP_1)
	v_ldexp_f32 v11, v11, v7
	s_branch .LBB16_1454
.LBB16_1451:
	s_mov_b32 s0, -1
                                        ; implicit-def: $vgpr11
	s_branch .LBB16_1460
.LBB16_1452:
	s_mov_b32 s0, -1
                                        ; implicit-def: $vgpr11
	s_branch .LBB16_1457
.LBB16_1453:
	s_mov_b32 s0, -1
                                        ; implicit-def: $vgpr11
.LBB16_1454:
	s_delay_alu instid0(SALU_CYCLE_1)
	s_and_not1_b32 vcc_lo, exec_lo, s0
	s_cbranch_vccnz .LBB16_1456
; %bb.1455:
	global_load_b32 v7, v[5:6], off
	s_waitcnt vmcnt(0)
	v_cvt_f32_i32_e32 v11, v7
.LBB16_1456:
	s_mov_b32 s0, 0
.LBB16_1457:
	s_delay_alu instid0(SALU_CYCLE_1)
	s_and_not1_b32 vcc_lo, exec_lo, s0
	s_cbranch_vccnz .LBB16_1459
; %bb.1458:
	global_load_i16 v7, v[5:6], off
	s_waitcnt vmcnt(0)
	v_cvt_f32_i32_e32 v11, v7
.LBB16_1459:
	s_mov_b32 s0, 0
.LBB16_1460:
	s_delay_alu instid0(SALU_CYCLE_1)
	s_and_not1_b32 vcc_lo, exec_lo, s0
	s_cbranch_vccnz .LBB16_1466
; %bb.1461:
	v_cmp_lt_i16_e32 vcc_lo, 0, v9
	s_mov_b32 s0, 0
	s_cbranch_vccz .LBB16_1463
; %bb.1462:
	global_load_i8 v7, v[5:6], off
	s_waitcnt vmcnt(0)
	v_cvt_f32_i32_e32 v11, v7
	s_branch .LBB16_1464
.LBB16_1463:
	s_mov_b32 s0, -1
                                        ; implicit-def: $vgpr11
.LBB16_1464:
	s_delay_alu instid0(SALU_CYCLE_1)
	s_and_not1_b32 vcc_lo, exec_lo, s0
	s_cbranch_vccnz .LBB16_1466
; %bb.1465:
	global_load_u8 v5, v[5:6], off
	s_waitcnt vmcnt(0)
	v_cvt_f32_ubyte0_e32 v11, v5
.LBB16_1466:
	s_branch .LBB16_1538
.LBB16_1467:
	s_trap 2
	s_sendmsg_rtn_b32 s0, sendmsg(MSG_RTN_GET_DOORBELL)
	s_mov_b32 ttmp2, m0
	s_waitcnt lgkmcnt(0)
	s_and_b32 s0, s0, 0x3ff
	s_delay_alu instid0(SALU_CYCLE_1) | instskip(NEXT) | instid1(SALU_CYCLE_1)
	s_bitset1_b32 s0, 10
	s_mov_b32 m0, s0
	s_sendmsg sendmsg(MSG_INTERRUPT)
	s_mov_b32 m0, ttmp2
.LBB16_1468:                            ; =>This Inner Loop Header: Depth=1
	s_sethalt 5
	s_branch .LBB16_1468
.LBB16_1469:
	s_mov_b32 s0, -1
.LBB16_1470:
                                        ; implicit-def: $vgpr11
.LBB16_1471:
	s_and_b32 vcc_lo, exec_lo, s14
	s_cbranch_vccz .LBB16_1475
; %bb.1472:
	v_cmp_eq_u16_e32 vcc_lo, 44, v9
	s_cbranch_vccz .LBB16_1474
; %bb.1473:
	global_load_u8 v7, v[5:6], off
	s_mov_b32 s0, 0
	s_mov_b32 s3, -1
	s_waitcnt vmcnt(0)
	v_lshlrev_b32_e32 v11, 23, v7
	v_cmp_ne_u32_e32 vcc_lo, 0xff, v7
	s_delay_alu instid0(VALU_DEP_2) | instskip(SKIP_1) | instid1(VALU_DEP_2)
	v_cndmask_b32_e32 v11, 0x7f800001, v11, vcc_lo
	v_cmp_ne_u32_e32 vcc_lo, 0, v7
	v_cndmask_b32_e32 v11, 0x400000, v11, vcc_lo
	s_branch .LBB16_1475
.LBB16_1474:
	s_mov_b32 s0, -1
                                        ; implicit-def: $vgpr11
.LBB16_1475:
	s_mov_b32 s14, 0
.LBB16_1476:
	s_delay_alu instid0(SALU_CYCLE_1)
	s_and_b32 vcc_lo, exec_lo, s14
	s_cbranch_vccz .LBB16_1480
; %bb.1477:
	v_cmp_eq_u16_e32 vcc_lo, 29, v9
	s_cbranch_vccz .LBB16_1479
; %bb.1478:
	global_load_b64 v[11:12], v[5:6], off
	s_mov_b32 s0, 0
	s_mov_b32 s3, -1
	s_mov_b32 s14, 0
	s_waitcnt vmcnt(0)
	v_clz_i32_u32_e32 v7, v12
	s_delay_alu instid0(VALU_DEP_1) | instskip(NEXT) | instid1(VALU_DEP_1)
	v_min_u32_e32 v7, 32, v7
	v_lshlrev_b64 v[11:12], v7, v[11:12]
	v_sub_nc_u32_e32 v7, 32, v7
	s_delay_alu instid0(VALU_DEP_2) | instskip(NEXT) | instid1(VALU_DEP_1)
	v_min_u32_e32 v11, 1, v11
	v_or_b32_e32 v11, v12, v11
	s_delay_alu instid0(VALU_DEP_1) | instskip(NEXT) | instid1(VALU_DEP_1)
	v_cvt_f32_u32_e32 v11, v11
	v_ldexp_f32 v11, v11, v7
	s_branch .LBB16_1481
.LBB16_1479:
	s_mov_b32 s0, -1
                                        ; implicit-def: $vgpr11
.LBB16_1480:
	s_mov_b32 s14, 0
.LBB16_1481:
	s_delay_alu instid0(SALU_CYCLE_1)
	s_and_b32 vcc_lo, exec_lo, s14
	s_cbranch_vccz .LBB16_1499
; %bb.1482:
	v_cmp_gt_i16_e32 vcc_lo, 27, v9
	s_cbranch_vccnz .LBB16_1485
; %bb.1483:
	v_cmp_lt_i16_e32 vcc_lo, 27, v9
	s_cbranch_vccz .LBB16_1486
; %bb.1484:
	global_load_b32 v7, v[5:6], off
	s_mov_b32 s3, 0
	s_waitcnt vmcnt(0)
	v_cvt_f32_u32_e32 v11, v7
	s_branch .LBB16_1487
.LBB16_1485:
	s_mov_b32 s3, -1
                                        ; implicit-def: $vgpr11
	s_branch .LBB16_1490
.LBB16_1486:
	s_mov_b32 s3, -1
                                        ; implicit-def: $vgpr11
.LBB16_1487:
	s_delay_alu instid0(SALU_CYCLE_1)
	s_and_not1_b32 vcc_lo, exec_lo, s3
	s_cbranch_vccnz .LBB16_1489
; %bb.1488:
	global_load_u16 v7, v[5:6], off
	s_waitcnt vmcnt(0)
	v_cvt_f32_u32_e32 v11, v7
.LBB16_1489:
	s_mov_b32 s3, 0
.LBB16_1490:
	s_delay_alu instid0(SALU_CYCLE_1)
	s_and_not1_b32 vcc_lo, exec_lo, s3
	s_cbranch_vccnz .LBB16_1498
; %bb.1491:
	global_load_u8 v7, v[5:6], off
	s_mov_b32 s3, 0
	s_mov_b32 s15, exec_lo
                                        ; implicit-def: $sgpr14
	s_waitcnt vmcnt(0)
	v_cmpx_lt_i16_e32 0x7f, v7
	s_xor_b32 s15, exec_lo, s15
	s_cbranch_execz .LBB16_1512
; %bb.1492:
	s_mov_b32 s3, -1
	s_mov_b32 s16, exec_lo
                                        ; implicit-def: $sgpr14
	v_cmpx_eq_u16_e32 0x80, v7
; %bb.1493:
	s_mov_b32 s14, 0x7f800001
	s_xor_b32 s3, exec_lo, -1
; %bb.1494:
	s_or_b32 exec_lo, exec_lo, s16
	s_delay_alu instid0(SALU_CYCLE_1)
	s_and_b32 s3, s3, exec_lo
	s_or_saveexec_b32 s15, s15
	v_mov_b32_e32 v11, s14
	s_xor_b32 exec_lo, exec_lo, s15
	s_cbranch_execnz .LBB16_1513
.LBB16_1495:
	s_or_b32 exec_lo, exec_lo, s15
	s_and_saveexec_b32 s14, s3
	s_cbranch_execz .LBB16_1497
.LBB16_1496:
	v_and_b32_e32 v11, 0xffff, v7
	v_lshlrev_b32_e32 v7, 24, v7
	s_delay_alu instid0(VALU_DEP_2) | instskip(NEXT) | instid1(VALU_DEP_2)
	v_and_b32_e32 v12, 7, v11
	v_and_b32_e32 v7, 0x80000000, v7
	s_delay_alu instid0(VALU_DEP_2) | instskip(NEXT) | instid1(VALU_DEP_1)
	v_clz_i32_u32_e32 v15, v12
	v_min_u32_e32 v15, 32, v15
	s_delay_alu instid0(VALU_DEP_1) | instskip(SKIP_1) | instid1(VALU_DEP_2)
	v_subrev_nc_u32_e32 v16, 28, v15
	v_sub_nc_u32_e32 v15, 29, v15
	v_lshlrev_b32_e32 v16, v16, v11
	v_bfe_u32 v11, v11, 3, 4
	s_delay_alu instid0(VALU_DEP_1) | instskip(NEXT) | instid1(VALU_DEP_3)
	v_cmp_eq_u32_e32 vcc_lo, 0, v11
	v_dual_cndmask_b32 v11, v11, v15 :: v_dual_and_b32 v16, 7, v16
	s_delay_alu instid0(VALU_DEP_1) | instskip(NEXT) | instid1(VALU_DEP_2)
	v_cndmask_b32_e32 v12, v12, v16, vcc_lo
	v_lshl_add_u32 v11, v11, 23, 0x3b800000
	s_delay_alu instid0(VALU_DEP_2) | instskip(NEXT) | instid1(VALU_DEP_1)
	v_lshlrev_b32_e32 v12, 20, v12
	v_or3_b32 v11, v7, v11, v12
.LBB16_1497:
	s_or_b32 exec_lo, exec_lo, s14
.LBB16_1498:
	s_mov_b32 s3, -1
.LBB16_1499:
	s_mov_b32 s14, 0
.LBB16_1500:
	s_delay_alu instid0(SALU_CYCLE_1)
	s_and_b32 vcc_lo, exec_lo, s14
	s_cbranch_vccz .LBB16_1533
; %bb.1501:
	v_cmp_lt_i16_e32 vcc_lo, 22, v9
	s_cbranch_vccz .LBB16_1511
; %bb.1502:
	v_cmp_gt_i16_e32 vcc_lo, 24, v9
	s_cbranch_vccnz .LBB16_1514
; %bb.1503:
	v_cmp_lt_i16_e32 vcc_lo, 24, v9
	s_cbranch_vccz .LBB16_1515
; %bb.1504:
	global_load_u8 v7, v[5:6], off
	s_mov_b32 s14, exec_lo
                                        ; implicit-def: $sgpr3
	s_waitcnt vmcnt(0)
	v_cmpx_lt_i16_e32 0x7f, v7
	s_xor_b32 s14, exec_lo, s14
	s_cbranch_execz .LBB16_1527
; %bb.1505:
	s_mov_b32 s2, -1
	s_mov_b32 s15, exec_lo
                                        ; implicit-def: $sgpr3
	v_cmpx_eq_u16_e32 0x80, v7
; %bb.1506:
	s_mov_b32 s3, 0x7f800001
	s_xor_b32 s2, exec_lo, -1
; %bb.1507:
	s_or_b32 exec_lo, exec_lo, s15
	s_delay_alu instid0(SALU_CYCLE_1)
	s_and_b32 s2, s2, exec_lo
	s_or_saveexec_b32 s14, s14
	v_mov_b32_e32 v11, s3
	s_xor_b32 exec_lo, exec_lo, s14
	s_cbranch_execnz .LBB16_1528
.LBB16_1508:
	s_or_b32 exec_lo, exec_lo, s14
	s_and_saveexec_b32 s3, s2
	s_cbranch_execz .LBB16_1510
.LBB16_1509:
	v_and_b32_e32 v11, 0xffff, v7
	v_lshlrev_b32_e32 v7, 24, v7
	s_delay_alu instid0(VALU_DEP_2) | instskip(NEXT) | instid1(VALU_DEP_2)
	v_and_b32_e32 v12, 3, v11
	v_and_b32_e32 v7, 0x80000000, v7
	s_delay_alu instid0(VALU_DEP_2) | instskip(NEXT) | instid1(VALU_DEP_1)
	v_clz_i32_u32_e32 v15, v12
	v_min_u32_e32 v15, 32, v15
	s_delay_alu instid0(VALU_DEP_1) | instskip(SKIP_1) | instid1(VALU_DEP_2)
	v_subrev_nc_u32_e32 v16, 29, v15
	v_sub_nc_u32_e32 v15, 30, v15
	v_lshlrev_b32_e32 v16, v16, v11
	v_bfe_u32 v11, v11, 2, 5
	s_delay_alu instid0(VALU_DEP_1) | instskip(NEXT) | instid1(VALU_DEP_3)
	v_cmp_eq_u32_e32 vcc_lo, 0, v11
	v_dual_cndmask_b32 v11, v11, v15 :: v_dual_and_b32 v16, 3, v16
	s_delay_alu instid0(VALU_DEP_1) | instskip(NEXT) | instid1(VALU_DEP_2)
	v_cndmask_b32_e32 v12, v12, v16, vcc_lo
	v_lshl_add_u32 v11, v11, 23, 0x37800000
	s_delay_alu instid0(VALU_DEP_2) | instskip(NEXT) | instid1(VALU_DEP_1)
	v_lshlrev_b32_e32 v12, 21, v12
	v_or3_b32 v11, v7, v11, v12
.LBB16_1510:
	s_or_b32 exec_lo, exec_lo, s3
	s_mov_b32 s2, 0
	s_branch .LBB16_1516
.LBB16_1511:
	s_mov_b32 s2, -1
                                        ; implicit-def: $vgpr11
	s_branch .LBB16_1522
.LBB16_1512:
	s_or_saveexec_b32 s15, s15
	v_mov_b32_e32 v11, s14
	s_xor_b32 exec_lo, exec_lo, s15
	s_cbranch_execz .LBB16_1495
.LBB16_1513:
	v_cmp_ne_u16_e32 vcc_lo, 0, v7
	v_mov_b32_e32 v11, 0
	s_and_not1_b32 s3, s3, exec_lo
	s_and_b32 s14, vcc_lo, exec_lo
	s_delay_alu instid0(SALU_CYCLE_1)
	s_or_b32 s3, s3, s14
	s_or_b32 exec_lo, exec_lo, s15
	s_and_saveexec_b32 s14, s3
	s_cbranch_execnz .LBB16_1496
	s_branch .LBB16_1497
.LBB16_1514:
	s_mov_b32 s2, -1
                                        ; implicit-def: $vgpr11
	s_branch .LBB16_1519
.LBB16_1515:
	s_mov_b32 s2, -1
                                        ; implicit-def: $vgpr11
.LBB16_1516:
	s_delay_alu instid0(SALU_CYCLE_1)
	s_and_b32 vcc_lo, exec_lo, s2
	s_cbranch_vccz .LBB16_1518
; %bb.1517:
	global_load_u8 v7, v[5:6], off
	s_waitcnt vmcnt(0)
	v_lshlrev_b32_e32 v7, 24, v7
	s_delay_alu instid0(VALU_DEP_1) | instskip(NEXT) | instid1(VALU_DEP_1)
	v_and_b32_e32 v11, 0x7f000000, v7
	v_clz_i32_u32_e32 v12, v11
	v_cmp_ne_u32_e32 vcc_lo, 0, v11
	v_add_nc_u32_e32 v16, 0x1000000, v11
	s_delay_alu instid0(VALU_DEP_3) | instskip(NEXT) | instid1(VALU_DEP_1)
	v_min_u32_e32 v12, 32, v12
	v_sub_nc_u32_e64 v12, v12, 4 clamp
	s_delay_alu instid0(VALU_DEP_1) | instskip(SKIP_1) | instid1(VALU_DEP_2)
	v_lshlrev_b32_e32 v15, v12, v11
	v_lshlrev_b32_e32 v12, 23, v12
	v_lshrrev_b32_e32 v15, 4, v15
	s_delay_alu instid0(VALU_DEP_1) | instskip(SKIP_1) | instid1(VALU_DEP_2)
	v_sub_nc_u32_e32 v12, v15, v12
	v_ashrrev_i32_e32 v15, 8, v16
	v_add_nc_u32_e32 v12, 0x3c000000, v12
	s_delay_alu instid0(VALU_DEP_1) | instskip(NEXT) | instid1(VALU_DEP_1)
	v_and_or_b32 v12, 0x7f800000, v15, v12
	v_cndmask_b32_e32 v11, 0, v12, vcc_lo
	s_delay_alu instid0(VALU_DEP_1)
	v_and_or_b32 v11, 0x80000000, v7, v11
.LBB16_1518:
	s_mov_b32 s2, 0
.LBB16_1519:
	s_delay_alu instid0(SALU_CYCLE_1)
	s_and_not1_b32 vcc_lo, exec_lo, s2
	s_cbranch_vccnz .LBB16_1521
; %bb.1520:
	global_load_u8 v7, v[5:6], off
	s_waitcnt vmcnt(0)
	v_lshlrev_b32_e32 v11, 25, v7
	v_lshlrev_b16 v7, 8, v7
	s_delay_alu instid0(VALU_DEP_2) | instskip(NEXT) | instid1(VALU_DEP_2)
	v_lshrrev_b32_e32 v12, 4, v11
	v_and_or_b32 v15, 0x7f00, v7, 0.5
	v_bfe_i32 v7, v7, 0, 16
	s_delay_alu instid0(VALU_DEP_3) | instskip(NEXT) | instid1(VALU_DEP_1)
	v_or_b32_e32 v12, 0x70000000, v12
	v_dual_add_f32 v15, -0.5, v15 :: v_dual_mul_f32 v12, 0x7800000, v12
	v_cmp_gt_u32_e32 vcc_lo, 0x8000000, v11
	s_delay_alu instid0(VALU_DEP_2) | instskip(NEXT) | instid1(VALU_DEP_1)
	v_cndmask_b32_e32 v11, v12, v15, vcc_lo
	v_and_or_b32 v11, 0x80000000, v7, v11
.LBB16_1521:
	s_mov_b32 s2, 0
	s_mov_b32 s3, -1
.LBB16_1522:
	s_and_not1_b32 vcc_lo, exec_lo, s2
	s_mov_b32 s2, 0
	s_cbranch_vccnz .LBB16_1533
; %bb.1523:
	v_cmp_lt_i16_e32 vcc_lo, 14, v9
	s_cbranch_vccz .LBB16_1526
; %bb.1524:
	v_cmp_eq_u16_e32 vcc_lo, 15, v9
	s_cbranch_vccz .LBB16_1529
; %bb.1525:
	global_load_u16 v7, v[5:6], off
	s_mov_b32 s0, 0
	s_mov_b32 s3, -1
	s_waitcnt vmcnt(0)
	v_lshlrev_b32_e32 v11, 16, v7
	s_branch .LBB16_1531
.LBB16_1526:
	s_mov_b32 s2, -1
	s_branch .LBB16_1530
.LBB16_1527:
	s_or_saveexec_b32 s14, s14
	v_mov_b32_e32 v11, s3
	s_xor_b32 exec_lo, exec_lo, s14
	s_cbranch_execz .LBB16_1508
.LBB16_1528:
	v_cmp_ne_u16_e32 vcc_lo, 0, v7
	v_mov_b32_e32 v11, 0
	s_and_not1_b32 s2, s2, exec_lo
	s_and_b32 s3, vcc_lo, exec_lo
	s_delay_alu instid0(SALU_CYCLE_1)
	s_or_b32 s2, s2, s3
	s_or_b32 exec_lo, exec_lo, s14
	s_and_saveexec_b32 s3, s2
	s_cbranch_execnz .LBB16_1509
	s_branch .LBB16_1510
.LBB16_1529:
	s_mov_b32 s0, -1
.LBB16_1530:
                                        ; implicit-def: $vgpr11
.LBB16_1531:
	s_and_b32 vcc_lo, exec_lo, s2
	s_mov_b32 s2, 0
	s_cbranch_vccz .LBB16_1533
; %bb.1532:
	v_cmp_ne_u16_e64 s0, 11, v9
	s_mov_b32 s2, -1
                                        ; implicit-def: $vgpr11
.LBB16_1533:
	s_delay_alu instid0(VALU_DEP_1)
	s_and_b32 vcc_lo, exec_lo, s0
	s_cbranch_vccnz .LBB16_1551
; %bb.1534:
	s_and_not1_b32 vcc_lo, exec_lo, s2
	s_cbranch_vccnz .LBB16_1536
.LBB16_1535:
	global_load_u8 v7, v[5:6], off
	s_mov_b32 s3, -1
	s_waitcnt vmcnt(0)
	v_cmp_ne_u16_e32 vcc_lo, 0, v7
	v_cndmask_b32_e64 v11, 0, 1.0, vcc_lo
.LBB16_1536:
.LBB16_1537:
	s_and_not1_b32 vcc_lo, exec_lo, s3
	s_cbranch_vccnz .LBB16_2065
.LBB16_1538:
	s_waitcnt vmcnt(0)
	v_mov_b32_e32 v15, v14
	s_mov_b32 s0, exec_lo
	s_delay_alu instid0(VALU_DEP_2)
	v_cmpx_nlg_f32_e64 0x7f800000, |v11|
	s_cbranch_execz .LBB16_1540
; %bb.1539:
	v_dual_mov_b32 v5, 0 :: v_dual_mov_b32 v6, 1.0
	global_store_b32 v5, v6, s[8:9]
	global_load_b32 v15, v5, s[10:11]
.LBB16_1540:
	s_or_b32 exec_lo, exec_lo, s0
	v_cmp_gt_i16_e32 vcc_lo, 11, v9
	v_add_co_u32 v4, s0, s6, v4
	s_delay_alu instid0(VALU_DEP_1)
	v_add_co_ci_u32_e64 v5, null, s7, 0, s0
	s_mov_b32 s3, 0
	s_cbranch_vccnz .LBB16_1547
; %bb.1541:
	v_cmp_lt_i16_e32 vcc_lo, 25, v9
	s_mov_b32 s2, 0
	s_cbranch_vccz .LBB16_1548
; %bb.1542:
	v_cmp_lt_i16_e32 vcc_lo, 28, v9
	s_cbranch_vccz .LBB16_1549
; %bb.1543:
	v_cmp_lt_i16_e32 vcc_lo, 43, v9
	;; [unrolled: 3-line block ×3, first 2 shown]
	s_cbranch_vccz .LBB16_1553
; %bb.1545:
	v_cmp_eq_u16_e32 vcc_lo, 46, v9
	s_mov_b32 s6, 0
	s_cbranch_vccz .LBB16_1556
; %bb.1546:
	global_load_b32 v6, v[4:5], off
	s_mov_b32 s0, 0
	s_mov_b32 s3, -1
	s_waitcnt vmcnt(0)
	v_lshlrev_b32_e32 v12, 16, v6
	s_branch .LBB16_1558
.LBB16_1547:
	s_mov_b32 s0, -1
                                        ; implicit-def: $vgpr12
	s_branch .LBB16_1624
.LBB16_1548:
	s_mov_b32 s6, -1
	s_mov_b32 s0, 0
                                        ; implicit-def: $vgpr12
	s_branch .LBB16_1587
.LBB16_1549:
	s_mov_b32 s6, -1
	s_mov_b32 s0, 0
                                        ; implicit-def: $vgpr12
	s_branch .LBB16_1568
.LBB16_1550:
	s_mov_b32 s6, -1
	s_mov_b32 s0, 0
                                        ; implicit-def: $vgpr12
	s_branch .LBB16_1563
.LBB16_1551:
	s_cbranch_execnz .LBB16_1554
; %bb.1552:
	s_or_b32 s1, s1, exec_lo
                                        ; implicit-def: $vgpr11
	s_cbranch_execz .LBB16_1535
	s_branch .LBB16_1536
.LBB16_1553:
	s_mov_b32 s6, -1
	s_mov_b32 s0, 0
	s_branch .LBB16_1557
.LBB16_1554:
	s_trap 2
	s_sendmsg_rtn_b32 s0, sendmsg(MSG_RTN_GET_DOORBELL)
	s_mov_b32 ttmp2, m0
	s_waitcnt lgkmcnt(0)
	s_and_b32 s0, s0, 0x3ff
	s_delay_alu instid0(SALU_CYCLE_1) | instskip(NEXT) | instid1(SALU_CYCLE_1)
	s_bitset1_b32 s0, 10
	s_mov_b32 m0, s0
	s_sendmsg sendmsg(MSG_INTERRUPT)
	s_mov_b32 m0, ttmp2
.LBB16_1555:                            ; =>This Inner Loop Header: Depth=1
	s_sethalt 5
	s_branch .LBB16_1555
.LBB16_1556:
	s_mov_b32 s0, -1
.LBB16_1557:
                                        ; implicit-def: $vgpr12
.LBB16_1558:
	s_and_b32 vcc_lo, exec_lo, s6
	s_cbranch_vccz .LBB16_1562
; %bb.1559:
	v_cmp_eq_u16_e32 vcc_lo, 44, v9
	s_cbranch_vccz .LBB16_1561
; %bb.1560:
	global_load_u8 v6, v[4:5], off
	s_mov_b32 s0, 0
	s_mov_b32 s3, -1
	s_waitcnt vmcnt(0)
	v_lshlrev_b32_e32 v7, 23, v6
	v_cmp_ne_u32_e32 vcc_lo, 0xff, v6
	s_delay_alu instid0(VALU_DEP_2) | instskip(SKIP_1) | instid1(VALU_DEP_2)
	v_cndmask_b32_e32 v7, 0x7f800001, v7, vcc_lo
	v_cmp_ne_u32_e32 vcc_lo, 0, v6
	v_cndmask_b32_e32 v12, 0x400000, v7, vcc_lo
	s_branch .LBB16_1562
.LBB16_1561:
	s_mov_b32 s0, -1
                                        ; implicit-def: $vgpr12
.LBB16_1562:
	s_mov_b32 s6, 0
.LBB16_1563:
	s_delay_alu instid0(SALU_CYCLE_1)
	s_and_b32 vcc_lo, exec_lo, s6
	s_cbranch_vccz .LBB16_1567
; %bb.1564:
	v_cmp_eq_u16_e32 vcc_lo, 29, v9
	s_cbranch_vccz .LBB16_1566
; %bb.1565:
	global_load_b64 v[6:7], v[4:5], off
	s_mov_b32 s0, 0
	s_mov_b32 s3, -1
	s_mov_b32 s6, 0
	s_waitcnt vmcnt(0)
	v_clz_i32_u32_e32 v12, v7
	s_delay_alu instid0(VALU_DEP_1) | instskip(NEXT) | instid1(VALU_DEP_1)
	v_min_u32_e32 v12, 32, v12
	v_lshlrev_b64 v[6:7], v12, v[6:7]
	s_delay_alu instid0(VALU_DEP_1) | instskip(NEXT) | instid1(VALU_DEP_1)
	v_min_u32_e32 v6, 1, v6
	v_or_b32_e32 v6, v7, v6
	v_sub_nc_u32_e32 v7, 32, v12
	s_delay_alu instid0(VALU_DEP_2) | instskip(NEXT) | instid1(VALU_DEP_1)
	v_cvt_f32_u32_e32 v6, v6
	v_ldexp_f32 v12, v6, v7
	s_branch .LBB16_1568
.LBB16_1566:
	s_mov_b32 s0, -1
                                        ; implicit-def: $vgpr12
.LBB16_1567:
	s_mov_b32 s6, 0
.LBB16_1568:
	s_delay_alu instid0(SALU_CYCLE_1)
	s_and_b32 vcc_lo, exec_lo, s6
	s_cbranch_vccz .LBB16_1586
; %bb.1569:
	v_cmp_gt_i16_e32 vcc_lo, 27, v9
	s_cbranch_vccnz .LBB16_1572
; %bb.1570:
	v_cmp_lt_i16_e32 vcc_lo, 27, v9
	s_cbranch_vccz .LBB16_1573
; %bb.1571:
	global_load_b32 v6, v[4:5], off
	s_mov_b32 s3, 0
	s_waitcnt vmcnt(0)
	v_cvt_f32_u32_e32 v12, v6
	s_branch .LBB16_1574
.LBB16_1572:
	s_mov_b32 s3, -1
                                        ; implicit-def: $vgpr12
	s_branch .LBB16_1577
.LBB16_1573:
	s_mov_b32 s3, -1
                                        ; implicit-def: $vgpr12
.LBB16_1574:
	s_delay_alu instid0(SALU_CYCLE_1)
	s_and_not1_b32 vcc_lo, exec_lo, s3
	s_cbranch_vccnz .LBB16_1576
; %bb.1575:
	global_load_u16 v6, v[4:5], off
	s_waitcnt vmcnt(0)
	v_cvt_f32_u32_e32 v12, v6
.LBB16_1576:
	s_mov_b32 s3, 0
.LBB16_1577:
	s_delay_alu instid0(SALU_CYCLE_1)
	s_and_not1_b32 vcc_lo, exec_lo, s3
	s_cbranch_vccnz .LBB16_1585
; %bb.1578:
	global_load_u8 v6, v[4:5], off
	s_mov_b32 s3, 0
	s_mov_b32 s7, exec_lo
                                        ; implicit-def: $sgpr6
	s_waitcnt vmcnt(0)
	v_cmpx_lt_i16_e32 0x7f, v6
	s_xor_b32 s7, exec_lo, s7
	s_cbranch_execz .LBB16_1599
; %bb.1579:
	s_mov_b32 s3, -1
	s_mov_b32 s14, exec_lo
                                        ; implicit-def: $sgpr6
	v_cmpx_eq_u16_e32 0x80, v6
; %bb.1580:
	s_mov_b32 s6, 0x7f800001
	s_xor_b32 s3, exec_lo, -1
; %bb.1581:
	s_or_b32 exec_lo, exec_lo, s14
	s_delay_alu instid0(SALU_CYCLE_1)
	s_and_b32 s3, s3, exec_lo
	s_or_saveexec_b32 s7, s7
	v_mov_b32_e32 v12, s6
	s_xor_b32 exec_lo, exec_lo, s7
	s_cbranch_execnz .LBB16_1600
.LBB16_1582:
	s_or_b32 exec_lo, exec_lo, s7
	s_and_saveexec_b32 s6, s3
	s_cbranch_execz .LBB16_1584
.LBB16_1583:
	v_and_b32_e32 v7, 0xffff, v6
	v_lshlrev_b32_e32 v6, 24, v6
	s_delay_alu instid0(VALU_DEP_2) | instskip(NEXT) | instid1(VALU_DEP_2)
	v_and_b32_e32 v12, 7, v7
	v_and_b32_e32 v6, 0x80000000, v6
	s_delay_alu instid0(VALU_DEP_2) | instskip(NEXT) | instid1(VALU_DEP_1)
	v_clz_i32_u32_e32 v16, v12
	v_min_u32_e32 v16, 32, v16
	s_delay_alu instid0(VALU_DEP_1) | instskip(SKIP_1) | instid1(VALU_DEP_2)
	v_subrev_nc_u32_e32 v17, 28, v16
	v_sub_nc_u32_e32 v16, 29, v16
	v_lshlrev_b32_e32 v17, v17, v7
	v_bfe_u32 v7, v7, 3, 4
	s_delay_alu instid0(VALU_DEP_2) | instskip(NEXT) | instid1(VALU_DEP_2)
	v_and_b32_e32 v17, 7, v17
	v_cmp_eq_u32_e32 vcc_lo, 0, v7
	s_delay_alu instid0(VALU_DEP_2) | instskip(NEXT) | instid1(VALU_DEP_1)
	v_dual_cndmask_b32 v7, v7, v16 :: v_dual_cndmask_b32 v12, v12, v17
	v_lshl_add_u32 v7, v7, 23, 0x3b800000
	s_delay_alu instid0(VALU_DEP_2) | instskip(NEXT) | instid1(VALU_DEP_1)
	v_lshlrev_b32_e32 v12, 20, v12
	v_or3_b32 v12, v6, v7, v12
.LBB16_1584:
	s_or_b32 exec_lo, exec_lo, s6
.LBB16_1585:
	s_mov_b32 s3, -1
.LBB16_1586:
	s_mov_b32 s6, 0
.LBB16_1587:
	s_delay_alu instid0(SALU_CYCLE_1)
	s_and_b32 vcc_lo, exec_lo, s6
	s_cbranch_vccz .LBB16_1620
; %bb.1588:
	v_cmp_lt_i16_e32 vcc_lo, 22, v9
	s_cbranch_vccz .LBB16_1598
; %bb.1589:
	v_cmp_gt_i16_e32 vcc_lo, 24, v9
	s_cbranch_vccnz .LBB16_1601
; %bb.1590:
	v_cmp_lt_i16_e32 vcc_lo, 24, v9
	s_cbranch_vccz .LBB16_1602
; %bb.1591:
	global_load_u8 v6, v[4:5], off
	s_mov_b32 s6, exec_lo
                                        ; implicit-def: $sgpr3
	s_waitcnt vmcnt(0)
	v_cmpx_lt_i16_e32 0x7f, v6
	s_xor_b32 s6, exec_lo, s6
	s_cbranch_execz .LBB16_1614
; %bb.1592:
	s_mov_b32 s2, -1
	s_mov_b32 s7, exec_lo
                                        ; implicit-def: $sgpr3
	v_cmpx_eq_u16_e32 0x80, v6
; %bb.1593:
	s_mov_b32 s3, 0x7f800001
	s_xor_b32 s2, exec_lo, -1
; %bb.1594:
	s_or_b32 exec_lo, exec_lo, s7
	s_delay_alu instid0(SALU_CYCLE_1)
	s_and_b32 s2, s2, exec_lo
	s_or_saveexec_b32 s6, s6
	v_mov_b32_e32 v12, s3
	s_xor_b32 exec_lo, exec_lo, s6
	s_cbranch_execnz .LBB16_1615
.LBB16_1595:
	s_or_b32 exec_lo, exec_lo, s6
	s_and_saveexec_b32 s3, s2
	s_cbranch_execz .LBB16_1597
.LBB16_1596:
	v_and_b32_e32 v7, 0xffff, v6
	v_lshlrev_b32_e32 v6, 24, v6
	s_delay_alu instid0(VALU_DEP_2) | instskip(NEXT) | instid1(VALU_DEP_2)
	v_and_b32_e32 v12, 3, v7
	v_and_b32_e32 v6, 0x80000000, v6
	s_delay_alu instid0(VALU_DEP_2) | instskip(NEXT) | instid1(VALU_DEP_1)
	v_clz_i32_u32_e32 v16, v12
	v_min_u32_e32 v16, 32, v16
	s_delay_alu instid0(VALU_DEP_1) | instskip(SKIP_1) | instid1(VALU_DEP_2)
	v_subrev_nc_u32_e32 v17, 29, v16
	v_sub_nc_u32_e32 v16, 30, v16
	v_lshlrev_b32_e32 v17, v17, v7
	v_bfe_u32 v7, v7, 2, 5
	s_delay_alu instid0(VALU_DEP_2) | instskip(NEXT) | instid1(VALU_DEP_2)
	v_and_b32_e32 v17, 3, v17
	v_cmp_eq_u32_e32 vcc_lo, 0, v7
	s_delay_alu instid0(VALU_DEP_2) | instskip(NEXT) | instid1(VALU_DEP_1)
	v_dual_cndmask_b32 v7, v7, v16 :: v_dual_cndmask_b32 v12, v12, v17
	v_lshl_add_u32 v7, v7, 23, 0x37800000
	s_delay_alu instid0(VALU_DEP_2) | instskip(NEXT) | instid1(VALU_DEP_1)
	v_lshlrev_b32_e32 v12, 21, v12
	v_or3_b32 v12, v6, v7, v12
.LBB16_1597:
	s_or_b32 exec_lo, exec_lo, s3
	s_mov_b32 s2, 0
	s_branch .LBB16_1603
.LBB16_1598:
	s_mov_b32 s2, -1
                                        ; implicit-def: $vgpr12
	s_branch .LBB16_1609
.LBB16_1599:
	s_or_saveexec_b32 s7, s7
	v_mov_b32_e32 v12, s6
	s_xor_b32 exec_lo, exec_lo, s7
	s_cbranch_execz .LBB16_1582
.LBB16_1600:
	v_cmp_ne_u16_e32 vcc_lo, 0, v6
	v_mov_b32_e32 v12, 0
	s_and_not1_b32 s3, s3, exec_lo
	s_and_b32 s6, vcc_lo, exec_lo
	s_delay_alu instid0(SALU_CYCLE_1)
	s_or_b32 s3, s3, s6
	s_or_b32 exec_lo, exec_lo, s7
	s_and_saveexec_b32 s6, s3
	s_cbranch_execnz .LBB16_1583
	s_branch .LBB16_1584
.LBB16_1601:
	s_mov_b32 s2, -1
                                        ; implicit-def: $vgpr12
	s_branch .LBB16_1606
.LBB16_1602:
	s_mov_b32 s2, -1
                                        ; implicit-def: $vgpr12
.LBB16_1603:
	s_delay_alu instid0(SALU_CYCLE_1)
	s_and_b32 vcc_lo, exec_lo, s2
	s_cbranch_vccz .LBB16_1605
; %bb.1604:
	global_load_u8 v6, v[4:5], off
	s_waitcnt vmcnt(0)
	v_lshlrev_b32_e32 v6, 24, v6
	s_delay_alu instid0(VALU_DEP_1) | instskip(NEXT) | instid1(VALU_DEP_1)
	v_and_b32_e32 v7, 0x7f000000, v6
	v_clz_i32_u32_e32 v12, v7
	v_add_nc_u32_e32 v17, 0x1000000, v7
	v_cmp_ne_u32_e32 vcc_lo, 0, v7
	s_delay_alu instid0(VALU_DEP_3) | instskip(NEXT) | instid1(VALU_DEP_1)
	v_min_u32_e32 v12, 32, v12
	v_sub_nc_u32_e64 v12, v12, 4 clamp
	s_delay_alu instid0(VALU_DEP_1) | instskip(SKIP_1) | instid1(VALU_DEP_2)
	v_lshlrev_b32_e32 v16, v12, v7
	v_lshlrev_b32_e32 v12, 23, v12
	v_lshrrev_b32_e32 v16, 4, v16
	s_delay_alu instid0(VALU_DEP_1) | instskip(SKIP_1) | instid1(VALU_DEP_2)
	v_sub_nc_u32_e32 v12, v16, v12
	v_ashrrev_i32_e32 v16, 8, v17
	v_add_nc_u32_e32 v12, 0x3c000000, v12
	s_delay_alu instid0(VALU_DEP_1) | instskip(NEXT) | instid1(VALU_DEP_1)
	v_and_or_b32 v12, 0x7f800000, v16, v12
	v_cndmask_b32_e32 v7, 0, v12, vcc_lo
	s_delay_alu instid0(VALU_DEP_1)
	v_and_or_b32 v12, 0x80000000, v6, v7
.LBB16_1605:
	s_mov_b32 s2, 0
.LBB16_1606:
	s_delay_alu instid0(SALU_CYCLE_1)
	s_and_not1_b32 vcc_lo, exec_lo, s2
	s_cbranch_vccnz .LBB16_1608
; %bb.1607:
	global_load_u8 v6, v[4:5], off
	s_waitcnt vmcnt(0)
	v_lshlrev_b32_e32 v7, 25, v6
	v_lshlrev_b16 v6, 8, v6
	s_delay_alu instid0(VALU_DEP_1) | instskip(SKIP_1) | instid1(VALU_DEP_2)
	v_and_or_b32 v16, 0x7f00, v6, 0.5
	v_bfe_i32 v6, v6, 0, 16
	v_add_f32_e32 v16, -0.5, v16
	v_lshrrev_b32_e32 v12, 4, v7
	v_cmp_gt_u32_e32 vcc_lo, 0x8000000, v7
	s_delay_alu instid0(VALU_DEP_2) | instskip(NEXT) | instid1(VALU_DEP_1)
	v_or_b32_e32 v12, 0x70000000, v12
	v_mul_f32_e32 v12, 0x7800000, v12
	s_delay_alu instid0(VALU_DEP_1) | instskip(NEXT) | instid1(VALU_DEP_1)
	v_cndmask_b32_e32 v7, v12, v16, vcc_lo
	v_and_or_b32 v12, 0x80000000, v6, v7
.LBB16_1608:
	s_mov_b32 s2, 0
	s_mov_b32 s3, -1
.LBB16_1609:
	s_and_not1_b32 vcc_lo, exec_lo, s2
	s_mov_b32 s2, 0
	s_cbranch_vccnz .LBB16_1620
; %bb.1610:
	v_cmp_lt_i16_e32 vcc_lo, 14, v9
	s_cbranch_vccz .LBB16_1613
; %bb.1611:
	v_cmp_eq_u16_e32 vcc_lo, 15, v9
	s_cbranch_vccz .LBB16_1616
; %bb.1612:
	global_load_u16 v6, v[4:5], off
	s_mov_b32 s0, 0
	s_mov_b32 s3, -1
	s_waitcnt vmcnt(0)
	v_lshlrev_b32_e32 v12, 16, v6
	s_branch .LBB16_1618
.LBB16_1613:
	s_mov_b32 s2, -1
	s_branch .LBB16_1617
.LBB16_1614:
	s_or_saveexec_b32 s6, s6
	v_mov_b32_e32 v12, s3
	s_xor_b32 exec_lo, exec_lo, s6
	s_cbranch_execz .LBB16_1595
.LBB16_1615:
	v_cmp_ne_u16_e32 vcc_lo, 0, v6
	v_mov_b32_e32 v12, 0
	s_and_not1_b32 s2, s2, exec_lo
	s_and_b32 s3, vcc_lo, exec_lo
	s_delay_alu instid0(SALU_CYCLE_1)
	s_or_b32 s2, s2, s3
	s_or_b32 exec_lo, exec_lo, s6
	s_and_saveexec_b32 s3, s2
	s_cbranch_execnz .LBB16_1596
	s_branch .LBB16_1597
.LBB16_1616:
	s_mov_b32 s0, -1
.LBB16_1617:
                                        ; implicit-def: $vgpr12
.LBB16_1618:
	s_and_b32 vcc_lo, exec_lo, s2
	s_mov_b32 s2, 0
	s_cbranch_vccz .LBB16_1620
; %bb.1619:
	v_cmp_ne_u16_e64 s0, 11, v9
	s_mov_b32 s2, -1
                                        ; implicit-def: $vgpr12
.LBB16_1620:
	s_delay_alu instid0(VALU_DEP_1)
	s_and_b32 vcc_lo, exec_lo, s0
	s_cbranch_vccnz .LBB16_1685
; %bb.1621:
	s_and_not1_b32 vcc_lo, exec_lo, s2
	s_cbranch_vccnz .LBB16_1623
.LBB16_1622:
	global_load_u8 v6, v[4:5], off
	s_mov_b32 s3, -1
	s_waitcnt vmcnt(0)
	v_cmp_ne_u16_e32 vcc_lo, 0, v6
	v_cndmask_b32_e64 v12, 0, 1.0, vcc_lo
.LBB16_1623:
	s_mov_b32 s0, 0
.LBB16_1624:
	s_delay_alu instid0(SALU_CYCLE_1)
	s_and_b32 vcc_lo, exec_lo, s0
	s_cbranch_vccz .LBB16_1673
; %bb.1625:
	v_cmp_gt_i16_e32 vcc_lo, 5, v9
	s_cbranch_vccnz .LBB16_1630
; %bb.1626:
	v_cmp_gt_i16_e32 vcc_lo, 8, v9
	s_cbranch_vccnz .LBB16_1631
	;; [unrolled: 3-line block ×3, first 2 shown]
; %bb.1628:
	v_cmp_lt_i16_e32 vcc_lo, 9, v9
	s_cbranch_vccz .LBB16_1633
; %bb.1629:
	global_load_b64 v[6:7], v[4:5], off
	s_mov_b32 s0, 0
	s_waitcnt vmcnt(0)
	v_cvt_f32_f64_e32 v12, v[6:7]
	s_branch .LBB16_1634
.LBB16_1630:
	s_mov_b32 s0, -1
                                        ; implicit-def: $vgpr12
	s_branch .LBB16_1652
.LBB16_1631:
	s_mov_b32 s0, -1
                                        ; implicit-def: $vgpr12
	s_branch .LBB16_1640
.LBB16_1632:
	s_mov_b32 s0, -1
                                        ; implicit-def: $vgpr12
	s_branch .LBB16_1637
.LBB16_1633:
	s_mov_b32 s0, -1
                                        ; implicit-def: $vgpr12
.LBB16_1634:
	s_delay_alu instid0(SALU_CYCLE_1)
	s_and_not1_b32 vcc_lo, exec_lo, s0
	s_cbranch_vccnz .LBB16_1636
; %bb.1635:
	global_load_b32 v12, v[4:5], off
.LBB16_1636:
	s_mov_b32 s0, 0
.LBB16_1637:
	s_delay_alu instid0(SALU_CYCLE_1)
	s_and_not1_b32 vcc_lo, exec_lo, s0
	s_cbranch_vccnz .LBB16_1639
; %bb.1638:
	global_load_b32 v6, v[4:5], off
	s_waitcnt vmcnt(0)
	v_cvt_f32_f16_e32 v12, v6
.LBB16_1639:
	s_mov_b32 s0, 0
.LBB16_1640:
	s_delay_alu instid0(SALU_CYCLE_1)
	s_and_not1_b32 vcc_lo, exec_lo, s0
	s_cbranch_vccnz .LBB16_1651
; %bb.1641:
	v_cmp_gt_i16_e32 vcc_lo, 6, v9
	s_cbranch_vccnz .LBB16_1644
; %bb.1642:
	v_cmp_lt_i16_e32 vcc_lo, 6, v9
	s_cbranch_vccz .LBB16_1645
; %bb.1643:
	global_load_b64 v[6:7], v[4:5], off
	s_mov_b32 s0, 0
	s_waitcnt vmcnt(0)
	v_cvt_f32_f64_e32 v12, v[6:7]
	s_branch .LBB16_1646
.LBB16_1644:
	s_mov_b32 s0, -1
                                        ; implicit-def: $vgpr12
	s_branch .LBB16_1649
.LBB16_1645:
	s_mov_b32 s0, -1
                                        ; implicit-def: $vgpr12
.LBB16_1646:
	s_delay_alu instid0(SALU_CYCLE_1)
	s_and_not1_b32 vcc_lo, exec_lo, s0
	s_cbranch_vccnz .LBB16_1648
; %bb.1647:
	global_load_b32 v12, v[4:5], off
.LBB16_1648:
	s_mov_b32 s0, 0
.LBB16_1649:
	s_delay_alu instid0(SALU_CYCLE_1)
	s_and_not1_b32 vcc_lo, exec_lo, s0
	s_cbranch_vccnz .LBB16_1651
; %bb.1650:
	global_load_u16 v6, v[4:5], off
	s_waitcnt vmcnt(0)
	v_cvt_f32_f16_e32 v12, v6
.LBB16_1651:
	s_mov_b32 s0, 0
.LBB16_1652:
	s_delay_alu instid0(SALU_CYCLE_1)
	s_and_not1_b32 vcc_lo, exec_lo, s0
	s_cbranch_vccnz .LBB16_1672
; %bb.1653:
	v_cmp_gt_i16_e32 vcc_lo, 2, v9
	s_cbranch_vccnz .LBB16_1657
; %bb.1654:
	v_cmp_gt_i16_e32 vcc_lo, 3, v9
	s_cbranch_vccnz .LBB16_1658
; %bb.1655:
	v_cmp_lt_i16_e32 vcc_lo, 3, v9
	s_cbranch_vccz .LBB16_1659
; %bb.1656:
	global_load_b64 v[6:7], v[4:5], off
	s_mov_b32 s0, 0
	s_waitcnt vmcnt(0)
	v_xor_b32_e32 v12, v6, v7
	v_cls_i32_e32 v16, v7
	s_delay_alu instid0(VALU_DEP_2) | instskip(NEXT) | instid1(VALU_DEP_2)
	v_ashrrev_i32_e32 v12, 31, v12
	v_add_nc_u32_e32 v16, -1, v16
	s_delay_alu instid0(VALU_DEP_2) | instskip(NEXT) | instid1(VALU_DEP_1)
	v_add_nc_u32_e32 v12, 32, v12
	v_min_u32_e32 v12, v16, v12
	s_delay_alu instid0(VALU_DEP_1) | instskip(NEXT) | instid1(VALU_DEP_1)
	v_lshlrev_b64 v[6:7], v12, v[6:7]
	v_min_u32_e32 v6, 1, v6
	s_delay_alu instid0(VALU_DEP_1) | instskip(SKIP_1) | instid1(VALU_DEP_2)
	v_or_b32_e32 v6, v7, v6
	v_sub_nc_u32_e32 v7, 32, v12
	v_cvt_f32_i32_e32 v6, v6
	s_delay_alu instid0(VALU_DEP_1)
	v_ldexp_f32 v12, v6, v7
	s_branch .LBB16_1660
.LBB16_1657:
	s_mov_b32 s0, -1
                                        ; implicit-def: $vgpr12
	s_branch .LBB16_1666
.LBB16_1658:
	s_mov_b32 s0, -1
                                        ; implicit-def: $vgpr12
	s_branch .LBB16_1663
.LBB16_1659:
	s_mov_b32 s0, -1
                                        ; implicit-def: $vgpr12
.LBB16_1660:
	s_delay_alu instid0(SALU_CYCLE_1)
	s_and_not1_b32 vcc_lo, exec_lo, s0
	s_cbranch_vccnz .LBB16_1662
; %bb.1661:
	global_load_b32 v6, v[4:5], off
	s_waitcnt vmcnt(0)
	v_cvt_f32_i32_e32 v12, v6
.LBB16_1662:
	s_mov_b32 s0, 0
.LBB16_1663:
	s_delay_alu instid0(SALU_CYCLE_1)
	s_and_not1_b32 vcc_lo, exec_lo, s0
	s_cbranch_vccnz .LBB16_1665
; %bb.1664:
	global_load_i16 v6, v[4:5], off
	s_waitcnt vmcnt(0)
	v_cvt_f32_i32_e32 v12, v6
.LBB16_1665:
	s_mov_b32 s0, 0
.LBB16_1666:
	s_delay_alu instid0(SALU_CYCLE_1)
	s_and_not1_b32 vcc_lo, exec_lo, s0
	s_cbranch_vccnz .LBB16_1672
; %bb.1667:
	v_cmp_lt_i16_e32 vcc_lo, 0, v9
	s_mov_b32 s0, 0
	s_cbranch_vccz .LBB16_1669
; %bb.1668:
	global_load_i8 v6, v[4:5], off
	s_waitcnt vmcnt(0)
	v_cvt_f32_i32_e32 v12, v6
	s_branch .LBB16_1670
.LBB16_1669:
	s_mov_b32 s0, -1
                                        ; implicit-def: $vgpr12
.LBB16_1670:
	s_delay_alu instid0(SALU_CYCLE_1)
	s_and_not1_b32 vcc_lo, exec_lo, s0
	s_cbranch_vccnz .LBB16_1672
; %bb.1671:
	global_load_u8 v4, v[4:5], off
	s_waitcnt vmcnt(0)
	v_cvt_f32_ubyte0_e32 v12, v4
.LBB16_1672:
	s_mov_b32 s3, -1
.LBB16_1673:
	s_delay_alu instid0(SALU_CYCLE_1)
	s_and_not1_b32 vcc_lo, exec_lo, s3
	s_cbranch_vccnz .LBB16_2065
; %bb.1674:
	s_waitcnt vmcnt(0)
	v_mov_b32_e32 v9, v15
	s_mov_b32 s0, exec_lo
	s_delay_alu instid0(VALU_DEP_2)
	v_cmpx_nlg_f32_e64 0x7f800000, |v12|
	s_cbranch_execz .LBB16_1676
; %bb.1675:
	v_dual_mov_b32 v4, 0 :: v_dual_mov_b32 v5, 1.0
	global_store_b32 v4, v5, s[8:9]
	global_load_b32 v9, v4, s[10:11]
.LBB16_1676:
	s_or_b32 exec_lo, exec_lo, s0
	s_load_b32 s0, s[20:21], 0x168
	v_mul_f32_e32 v4, v10, v13
	v_cmp_eq_f32_e32 vcc_lo, 1.0, v13
	v_add_co_u32 v6, s3, s4, v3
	s_delay_alu instid0(VALU_DEP_1) | instskip(NEXT) | instid1(VALU_DEP_4)
	v_add_co_ci_u32_e64 v7, null, s5, 0, s3
	v_cndmask_b32_e32 v4, v4, v10, vcc_lo
	s_mov_b32 s6, 0
	s_waitcnt lgkmcnt(0)
	s_and_b32 s2, s0, 0xff
	s_delay_alu instid0(SALU_CYCLE_1) | instskip(NEXT) | instid1(VALU_DEP_1)
	v_cmp_lt_i16_e64 s0, s2, 11
	s_and_b32 vcc_lo, exec_lo, s0
	s_mov_b32 s0, -1
	s_cbranch_vccnz .LBB16_1759
; %bb.1677:
	v_cmp_gt_i16_e64 s0, s2, 25
	s_mov_b32 s7, -1
	s_mov_b32 s3, 0
	s_delay_alu instid0(VALU_DEP_1)
	s_and_b32 vcc_lo, exec_lo, s0
	s_mov_b32 s0, 0
	s_cbranch_vccz .LBB16_1715
; %bb.1678:
	v_cmp_gt_i16_e64 s0, s2, 28
	s_delay_alu instid0(VALU_DEP_1)
	s_and_b32 vcc_lo, exec_lo, s0
	s_cbranch_vccz .LBB16_1683
; %bb.1679:
	v_cmp_gt_i16_e64 s0, s2, 43
	s_delay_alu instid0(VALU_DEP_1)
	s_and_b32 vcc_lo, exec_lo, s0
	;; [unrolled: 5-line block ×3, first 2 shown]
	s_cbranch_vccz .LBB16_1687
; %bb.1681:
	v_cmp_eq_u16_e64 s6, s2, 46
	s_mov_b32 s0, -1
	s_mov_b32 s7, 0
	s_delay_alu instid0(VALU_DEP_1)
	s_and_b32 vcc_lo, exec_lo, s6
	s_mov_b32 s6, 0
	s_cbranch_vccz .LBB16_1688
; %bb.1682:
	v_bfe_u32 v3, v4, 16, 1
	v_cmp_o_f32_e32 vcc_lo, v4, v4
	s_mov_b32 s0, 0
	s_mov_b32 s6, -1
	s_delay_alu instid0(VALU_DEP_2) | instskip(NEXT) | instid1(VALU_DEP_1)
	v_add3_u32 v3, v4, v3, 0x7fff
	v_lshrrev_b32_e32 v3, 16, v3
	s_delay_alu instid0(VALU_DEP_1)
	v_cndmask_b32_e32 v3, 0x7fc0, v3, vcc_lo
	global_store_b32 v[6:7], v3, off
	s_branch .LBB16_1688
.LBB16_1683:
	s_mov_b32 s0, 0
	s_branch .LBB16_1698
.LBB16_1684:
	s_mov_b32 s0, 0
	s_branch .LBB16_1694
.LBB16_1685:
	s_cbranch_execnz .LBB16_1810
; %bb.1686:
	s_or_b32 s1, s1, exec_lo
                                        ; implicit-def: $vgpr12
	s_cbranch_execz .LBB16_1622
	s_branch .LBB16_1623
.LBB16_1687:
	s_mov_b32 s0, 0
.LBB16_1688:
	s_and_b32 vcc_lo, exec_lo, s7
	s_cbranch_vccz .LBB16_1693
; %bb.1689:
	v_cmp_eq_u16_e64 s0, s2, 44
	s_delay_alu instid0(VALU_DEP_1)
	s_and_b32 vcc_lo, exec_lo, s0
	s_mov_b32 s0, -1
	s_cbranch_vccz .LBB16_1693
; %bb.1690:
	v_bfe_u32 v5, v4, 23, 8
	v_mov_b32_e32 v3, 0xff
	s_mov_b32 s6, exec_lo
	s_delay_alu instid0(VALU_DEP_2)
	v_cmpx_ne_u32_e32 0xff, v5
; %bb.1691:
	v_and_b32_e32 v3, 0x400000, v4
	v_and_or_b32 v5, 0x3fffff, v4, v5
	s_delay_alu instid0(VALU_DEP_2) | instskip(NEXT) | instid1(VALU_DEP_2)
	v_cmp_ne_u32_e32 vcc_lo, 0, v3
	v_cmp_ne_u32_e64 s0, 0, v5
	v_lshrrev_b32_e32 v3, 23, v4
	s_delay_alu instid0(VALU_DEP_2) | instskip(NEXT) | instid1(SALU_CYCLE_1)
	s_and_b32 s0, vcc_lo, s0
	v_cndmask_b32_e64 v5, 0, 1, s0
	s_delay_alu instid0(VALU_DEP_1)
	v_add_nc_u32_e32 v3, v3, v5
; %bb.1692:
	s_or_b32 exec_lo, exec_lo, s6
	s_mov_b32 s0, 0
	s_mov_b32 s6, -1
	global_store_b8 v[6:7], v3, off
.LBB16_1693:
	s_mov_b32 s7, 0
.LBB16_1694:
	s_delay_alu instid0(SALU_CYCLE_1)
	s_and_b32 vcc_lo, exec_lo, s7
	s_cbranch_vccz .LBB16_1697
; %bb.1695:
	v_cmp_eq_u16_e64 s0, s2, 29
	s_delay_alu instid0(VALU_DEP_1)
	s_and_b32 vcc_lo, exec_lo, s0
	s_mov_b32 s0, -1
	s_cbranch_vccz .LBB16_1697
; %bb.1696:
	v_trunc_f32_e32 v3, v4
	s_mov_b32 s0, 0
	s_mov_b32 s6, -1
	s_mov_b32 s7, 0
	s_delay_alu instid0(VALU_DEP_1) | instskip(NEXT) | instid1(VALU_DEP_1)
	v_mul_f32_e32 v5, 0x2f800000, v3
	v_floor_f32_e32 v5, v5
	s_delay_alu instid0(VALU_DEP_1) | instskip(SKIP_1) | instid1(VALU_DEP_2)
	v_fmamk_f32 v3, v5, 0xcf800000, v3
	v_cvt_u32_f32_e32 v17, v5
	v_cvt_u32_f32_e32 v16, v3
	global_store_b64 v[6:7], v[16:17], off
	s_branch .LBB16_1698
.LBB16_1697:
	s_mov_b32 s7, 0
.LBB16_1698:
	s_delay_alu instid0(SALU_CYCLE_1)
	s_and_b32 vcc_lo, exec_lo, s7
	s_cbranch_vccz .LBB16_1714
; %bb.1699:
	v_cmp_lt_i16_e64 s6, s2, 27
	s_delay_alu instid0(VALU_DEP_1)
	s_and_b32 vcc_lo, exec_lo, s6
	s_mov_b32 s6, -1
	s_cbranch_vccnz .LBB16_1705
; %bb.1700:
	v_cmp_gt_i16_e64 s6, s2, 27
	v_cvt_u32_f32_e32 v3, v4
	s_delay_alu instid0(VALU_DEP_2)
	s_and_b32 vcc_lo, exec_lo, s6
	s_mov_b32 s6, -1
	s_cbranch_vccz .LBB16_1702
; %bb.1701:
	s_mov_b32 s6, 0
	global_store_b32 v[6:7], v3, off
.LBB16_1702:
	s_and_not1_b32 vcc_lo, exec_lo, s6
	s_cbranch_vccnz .LBB16_1704
; %bb.1703:
	global_store_b16 v[6:7], v3, off
.LBB16_1704:
	s_mov_b32 s6, 0
.LBB16_1705:
	s_delay_alu instid0(SALU_CYCLE_1)
	s_and_not1_b32 vcc_lo, exec_lo, s6
	s_cbranch_vccnz .LBB16_1713
; %bb.1706:
	v_and_b32_e32 v3, 0x7fffffff, v4
	v_mov_b32_e32 v5, 0x80
	s_mov_b32 s6, exec_lo
	s_delay_alu instid0(VALU_DEP_2)
	v_cmpx_gt_u32_e32 0x43800000, v3
	s_cbranch_execz .LBB16_1712
; %bb.1707:
	v_cmp_lt_u32_e32 vcc_lo, 0x3bffffff, v3
	s_mov_b32 s7, 0
                                        ; implicit-def: $vgpr3
	s_and_saveexec_b32 s8, vcc_lo
	s_delay_alu instid0(SALU_CYCLE_1)
	s_xor_b32 s8, exec_lo, s8
	s_cbranch_execz .LBB16_1807
; %bb.1708:
	v_bfe_u32 v3, v4, 20, 1
	s_mov_b32 s7, exec_lo
	s_delay_alu instid0(VALU_DEP_1) | instskip(NEXT) | instid1(VALU_DEP_1)
	v_add3_u32 v3, v4, v3, 0x487ffff
	v_lshrrev_b32_e32 v3, 20, v3
	s_or_saveexec_b32 s8, s8
                                        ; implicit-def: $sgpr9
	s_delay_alu instid0(SALU_CYCLE_1)
	s_xor_b32 exec_lo, exec_lo, s8
	s_cbranch_execnz .LBB16_1808
.LBB16_1709:
	s_or_b32 exec_lo, exec_lo, s8
	v_mov_b32_e32 v5, s9
	s_and_saveexec_b32 s8, s7
.LBB16_1710:
	v_lshrrev_b32_e32 v5, 24, v4
	s_delay_alu instid0(VALU_DEP_1)
	v_and_or_b32 v5, 0x80, v5, v3
.LBB16_1711:
	s_or_b32 exec_lo, exec_lo, s8
.LBB16_1712:
	s_delay_alu instid0(SALU_CYCLE_1)
	s_or_b32 exec_lo, exec_lo, s6
	global_store_b8 v[6:7], v5, off
.LBB16_1713:
	s_mov_b32 s6, -1
.LBB16_1714:
	s_mov_b32 s7, 0
.LBB16_1715:
	s_delay_alu instid0(SALU_CYCLE_1)
	s_and_b32 vcc_lo, exec_lo, s7
	s_cbranch_vccz .LBB16_1755
; %bb.1716:
	v_cmp_gt_i16_e64 s3, s2, 22
	s_delay_alu instid0(VALU_DEP_1)
	s_and_b32 vcc_lo, exec_lo, s3
	s_mov_b32 s3, -1
	s_cbranch_vccz .LBB16_1748
; %bb.1717:
	v_cmp_lt_i16_e64 s3, s2, 24
	s_delay_alu instid0(VALU_DEP_1)
	s_and_b32 vcc_lo, exec_lo, s3
	s_mov_b32 s3, -1
	s_cbranch_vccnz .LBB16_1737
; %bb.1718:
	v_cmp_gt_i16_e64 s3, s2, 24
	s_delay_alu instid0(VALU_DEP_1)
	s_and_b32 vcc_lo, exec_lo, s3
	s_mov_b32 s3, -1
	s_cbranch_vccz .LBB16_1726
; %bb.1719:
	v_and_b32_e32 v3, 0x7fffffff, v4
	v_mov_b32_e32 v5, 0x80
	s_mov_b32 s3, exec_lo
	s_delay_alu instid0(VALU_DEP_2)
	v_cmpx_gt_u32_e32 0x47800000, v3
	s_cbranch_execz .LBB16_1725
; %bb.1720:
	v_cmp_lt_u32_e32 vcc_lo, 0x37ffffff, v3
	s_mov_b32 s6, 0
                                        ; implicit-def: $vgpr3
	s_and_saveexec_b32 s7, vcc_lo
	s_delay_alu instid0(SALU_CYCLE_1)
	s_xor_b32 s7, exec_lo, s7
	s_cbranch_execz .LBB16_1814
; %bb.1721:
	v_bfe_u32 v3, v4, 21, 1
	s_mov_b32 s6, exec_lo
	s_delay_alu instid0(VALU_DEP_1) | instskip(NEXT) | instid1(VALU_DEP_1)
	v_add3_u32 v3, v4, v3, 0x88fffff
	v_lshrrev_b32_e32 v3, 21, v3
	s_or_saveexec_b32 s7, s7
                                        ; implicit-def: $sgpr8
	s_delay_alu instid0(SALU_CYCLE_1)
	s_xor_b32 exec_lo, exec_lo, s7
	s_cbranch_execnz .LBB16_1815
.LBB16_1722:
	s_or_b32 exec_lo, exec_lo, s7
	v_mov_b32_e32 v5, s8
	s_and_saveexec_b32 s7, s6
.LBB16_1723:
	v_lshrrev_b32_e32 v5, 24, v4
	s_delay_alu instid0(VALU_DEP_1)
	v_and_or_b32 v5, 0x80, v5, v3
.LBB16_1724:
	s_or_b32 exec_lo, exec_lo, s7
.LBB16_1725:
	s_delay_alu instid0(SALU_CYCLE_1)
	s_or_b32 exec_lo, exec_lo, s3
	s_mov_b32 s3, 0
	global_store_b8 v[6:7], v5, off
.LBB16_1726:
	s_and_b32 vcc_lo, exec_lo, s3
	s_cbranch_vccz .LBB16_1736
; %bb.1727:
	v_and_b32_e32 v5, 0x7fffffff, v4
	s_mov_b32 s3, exec_lo
                                        ; implicit-def: $vgpr3
	s_delay_alu instid0(VALU_DEP_1)
	v_cmpx_gt_u32_e32 0x43f00000, v5
	s_xor_b32 s3, exec_lo, s3
	s_cbranch_execz .LBB16_1733
; %bb.1728:
	s_mov_b32 s6, exec_lo
                                        ; implicit-def: $vgpr3
	v_cmpx_lt_u32_e32 0x3c7fffff, v5
	s_xor_b32 s6, exec_lo, s6
; %bb.1729:
	v_bfe_u32 v3, v4, 20, 1
	s_delay_alu instid0(VALU_DEP_1) | instskip(NEXT) | instid1(VALU_DEP_1)
	v_add3_u32 v3, v4, v3, 0x407ffff
	v_and_b32_e32 v5, 0xff00000, v3
	v_lshrrev_b32_e32 v3, 20, v3
	s_delay_alu instid0(VALU_DEP_2) | instskip(NEXT) | instid1(VALU_DEP_2)
	v_cmp_ne_u32_e32 vcc_lo, 0x7f00000, v5
	v_cndmask_b32_e32 v3, 0x7e, v3, vcc_lo
; %bb.1730:
	s_and_not1_saveexec_b32 s6, s6
; %bb.1731:
	v_add_f32_e64 v3, 0x46800000, |v4|
; %bb.1732:
	s_or_b32 exec_lo, exec_lo, s6
                                        ; implicit-def: $vgpr5
.LBB16_1733:
	s_and_not1_saveexec_b32 s3, s3
; %bb.1734:
	v_mov_b32_e32 v3, 0x7f
	v_cmp_lt_u32_e32 vcc_lo, 0x7f800000, v5
	s_delay_alu instid0(VALU_DEP_2)
	v_cndmask_b32_e32 v3, 0x7e, v3, vcc_lo
; %bb.1735:
	s_or_b32 exec_lo, exec_lo, s3
	v_lshrrev_b32_e32 v5, 24, v4
	s_delay_alu instid0(VALU_DEP_1)
	v_and_or_b32 v3, 0x80, v5, v3
	global_store_b8 v[6:7], v3, off
.LBB16_1736:
	s_mov_b32 s3, 0
.LBB16_1737:
	s_delay_alu instid0(SALU_CYCLE_1)
	s_and_not1_b32 vcc_lo, exec_lo, s3
	s_cbranch_vccnz .LBB16_1747
; %bb.1738:
	v_and_b32_e32 v5, 0x7fffffff, v4
	s_mov_b32 s3, exec_lo
                                        ; implicit-def: $vgpr3
	s_delay_alu instid0(VALU_DEP_1)
	v_cmpx_gt_u32_e32 0x47800000, v5
	s_xor_b32 s3, exec_lo, s3
	s_cbranch_execz .LBB16_1744
; %bb.1739:
	s_mov_b32 s6, exec_lo
                                        ; implicit-def: $vgpr3
	v_cmpx_lt_u32_e32 0x387fffff, v5
	s_xor_b32 s6, exec_lo, s6
; %bb.1740:
	v_bfe_u32 v3, v4, 21, 1
	s_delay_alu instid0(VALU_DEP_1) | instskip(NEXT) | instid1(VALU_DEP_1)
	v_add3_u32 v3, v4, v3, 0x80fffff
	v_lshrrev_b32_e32 v3, 21, v3
; %bb.1741:
	s_and_not1_saveexec_b32 s6, s6
; %bb.1742:
	v_add_f32_e64 v3, 0x43000000, |v4|
; %bb.1743:
	s_or_b32 exec_lo, exec_lo, s6
                                        ; implicit-def: $vgpr5
.LBB16_1744:
	s_and_not1_saveexec_b32 s3, s3
; %bb.1745:
	v_mov_b32_e32 v3, 0x7f
	v_cmp_lt_u32_e32 vcc_lo, 0x7f800000, v5
	s_delay_alu instid0(VALU_DEP_2)
	v_cndmask_b32_e32 v3, 0x7c, v3, vcc_lo
; %bb.1746:
	s_or_b32 exec_lo, exec_lo, s3
	v_lshrrev_b32_e32 v5, 24, v4
	s_delay_alu instid0(VALU_DEP_1)
	v_and_or_b32 v3, 0x80, v5, v3
	global_store_b8 v[6:7], v3, off
.LBB16_1747:
	s_mov_b32 s3, 0
	s_mov_b32 s6, -1
.LBB16_1748:
	s_and_not1_b32 vcc_lo, exec_lo, s3
	s_mov_b32 s3, 0
	s_cbranch_vccnz .LBB16_1755
; %bb.1749:
	v_cmp_gt_i16_e64 s3, s2, 14
	s_delay_alu instid0(VALU_DEP_1)
	s_and_b32 vcc_lo, exec_lo, s3
	s_mov_b32 s3, -1
	s_cbranch_vccz .LBB16_1753
; %bb.1750:
	v_cmp_eq_u16_e64 s0, s2, 15
	s_delay_alu instid0(VALU_DEP_1)
	s_and_b32 vcc_lo, exec_lo, s0
	s_mov_b32 s0, -1
	s_cbranch_vccz .LBB16_1752
; %bb.1751:
	v_bfe_u32 v3, v4, 16, 1
	v_cmp_o_f32_e32 vcc_lo, v4, v4
	s_mov_b32 s0, 0
	s_mov_b32 s6, -1
	s_delay_alu instid0(VALU_DEP_2) | instskip(NEXT) | instid1(VALU_DEP_1)
	v_add3_u32 v3, v4, v3, 0x7fff
	v_lshrrev_b32_e32 v3, 16, v3
	s_delay_alu instid0(VALU_DEP_1)
	v_cndmask_b32_e32 v3, 0x7fc0, v3, vcc_lo
	global_store_b16 v[6:7], v3, off
.LBB16_1752:
	s_mov_b32 s3, 0
.LBB16_1753:
	s_delay_alu instid0(SALU_CYCLE_1)
	s_and_b32 vcc_lo, exec_lo, s3
	s_mov_b32 s3, 0
	s_cbranch_vccz .LBB16_1755
; %bb.1754:
	v_cmp_ne_u16_e64 s0, s2, 11
	s_mov_b32 s3, -1
.LBB16_1755:
	s_delay_alu instid0(VALU_DEP_1)
	s_and_b32 vcc_lo, exec_lo, s0
	s_cbranch_vccnz .LBB16_1812
; %bb.1756:
	s_and_not1_b32 vcc_lo, exec_lo, s3
	s_cbranch_vccnz .LBB16_1758
.LBB16_1757:
	v_cmp_neq_f32_e32 vcc_lo, 0, v4
	s_mov_b32 s6, -1
	v_cndmask_b32_e64 v3, 0, 1, vcc_lo
	global_store_b8 v[6:7], v3, off
.LBB16_1758:
	s_mov_b32 s0, 0
.LBB16_1759:
	s_delay_alu instid0(SALU_CYCLE_1)
	s_and_b32 vcc_lo, exec_lo, s0
	s_cbranch_vccz .LBB16_1798
; %bb.1760:
	v_cmp_lt_i16_e64 s0, s2, 5
	s_delay_alu instid0(VALU_DEP_1)
	s_and_b32 vcc_lo, exec_lo, s0
	s_mov_b32 s0, -1
	s_cbranch_vccnz .LBB16_1781
; %bb.1761:
	v_cmp_lt_i16_e64 s0, s2, 8
	s_delay_alu instid0(VALU_DEP_1)
	s_and_b32 vcc_lo, exec_lo, s0
	s_mov_b32 s0, -1
	s_cbranch_vccnz .LBB16_1771
; %bb.1762:
	v_cmp_lt_i16_e64 s0, s2, 9
	s_delay_alu instid0(VALU_DEP_1)
	s_and_b32 vcc_lo, exec_lo, s0
	s_mov_b32 s0, -1
	s_cbranch_vccnz .LBB16_1768
; %bb.1763:
	v_cmp_gt_i16_e64 s0, s2, 9
	s_delay_alu instid0(VALU_DEP_1)
	s_and_b32 vcc_lo, exec_lo, s0
	s_mov_b32 s0, -1
	s_cbranch_vccz .LBB16_1765
; %bb.1764:
	v_cvt_f64_f32_e32 v[16:17], v4
	v_mov_b32_e32 v18, 0
	s_mov_b32 s0, 0
	s_delay_alu instid0(VALU_DEP_1)
	v_mov_b32_e32 v19, v18
	global_store_b128 v[6:7], v[16:19], off
.LBB16_1765:
	s_and_not1_b32 vcc_lo, exec_lo, s0
	s_cbranch_vccnz .LBB16_1767
; %bb.1766:
	v_mov_b32_e32 v5, 0
	global_store_b64 v[6:7], v[4:5], off
.LBB16_1767:
	s_mov_b32 s0, 0
.LBB16_1768:
	s_delay_alu instid0(SALU_CYCLE_1)
	s_and_not1_b32 vcc_lo, exec_lo, s0
	s_cbranch_vccnz .LBB16_1770
; %bb.1769:
	v_cvt_f16_f32_e32 v3, v4
	s_delay_alu instid0(VALU_DEP_1)
	v_and_b32_e32 v3, 0xffff, v3
	global_store_b32 v[6:7], v3, off
.LBB16_1770:
	s_mov_b32 s0, 0
.LBB16_1771:
	s_delay_alu instid0(SALU_CYCLE_1)
	s_and_not1_b32 vcc_lo, exec_lo, s0
	s_cbranch_vccnz .LBB16_1780
; %bb.1772:
	v_cmp_lt_i16_e64 s0, s2, 6
	s_delay_alu instid0(VALU_DEP_1)
	s_and_b32 vcc_lo, exec_lo, s0
	s_mov_b32 s0, -1
	s_cbranch_vccnz .LBB16_1778
; %bb.1773:
	v_cmp_gt_i16_e64 s0, s2, 6
	s_delay_alu instid0(VALU_DEP_1)
	s_and_b32 vcc_lo, exec_lo, s0
	s_mov_b32 s0, -1
	s_cbranch_vccz .LBB16_1775
; %bb.1774:
	v_cvt_f64_f32_e32 v[16:17], v4
	s_mov_b32 s0, 0
	global_store_b64 v[6:7], v[16:17], off
.LBB16_1775:
	s_and_not1_b32 vcc_lo, exec_lo, s0
	s_cbranch_vccnz .LBB16_1777
; %bb.1776:
	global_store_b32 v[6:7], v4, off
.LBB16_1777:
	s_mov_b32 s0, 0
.LBB16_1778:
	s_delay_alu instid0(SALU_CYCLE_1)
	s_and_not1_b32 vcc_lo, exec_lo, s0
	s_cbranch_vccnz .LBB16_1780
; %bb.1779:
	v_cvt_f16_f32_e32 v3, v4
	global_store_b16 v[6:7], v3, off
.LBB16_1780:
	s_mov_b32 s0, 0
.LBB16_1781:
	s_delay_alu instid0(SALU_CYCLE_1)
	s_and_not1_b32 vcc_lo, exec_lo, s0
	s_cbranch_vccnz .LBB16_1797
; %bb.1782:
	v_cmp_lt_i16_e64 s0, s2, 2
	s_delay_alu instid0(VALU_DEP_1)
	s_and_b32 vcc_lo, exec_lo, s0
	s_mov_b32 s0, -1
	s_cbranch_vccnz .LBB16_1792
; %bb.1783:
	v_cmp_lt_i16_e64 s0, s2, 3
	s_delay_alu instid0(VALU_DEP_1)
	s_and_b32 vcc_lo, exec_lo, s0
	s_mov_b32 s0, -1
	s_cbranch_vccnz .LBB16_1789
; %bb.1784:
	v_cmp_gt_i16_e64 s0, s2, 3
	s_delay_alu instid0(VALU_DEP_1)
	s_and_b32 vcc_lo, exec_lo, s0
	s_mov_b32 s0, -1
	s_cbranch_vccz .LBB16_1786
; %bb.1785:
	v_trunc_f32_e32 v3, v4
	s_mov_b32 s0, 0
	s_delay_alu instid0(VALU_DEP_1) | instskip(NEXT) | instid1(VALU_DEP_1)
	v_mul_f32_e64 v5, 0x2f800000, |v3|
	v_floor_f32_e32 v5, v5
	s_delay_alu instid0(VALU_DEP_1) | instskip(SKIP_2) | instid1(VALU_DEP_3)
	v_fma_f32 v10, 0xcf800000, v5, |v3|
	v_ashrrev_i32_e32 v3, 31, v3
	v_cvt_u32_f32_e32 v5, v5
	v_cvt_u32_f32_e32 v10, v10
	s_delay_alu instid0(VALU_DEP_2) | instskip(NEXT) | instid1(VALU_DEP_2)
	v_xor_b32_e32 v5, v5, v3
	v_xor_b32_e32 v10, v10, v3
	s_delay_alu instid0(VALU_DEP_1) | instskip(NEXT) | instid1(VALU_DEP_3)
	v_sub_co_u32 v16, vcc_lo, v10, v3
	v_sub_co_ci_u32_e32 v17, vcc_lo, v5, v3, vcc_lo
	global_store_b64 v[6:7], v[16:17], off
.LBB16_1786:
	s_and_not1_b32 vcc_lo, exec_lo, s0
	s_cbranch_vccnz .LBB16_1788
; %bb.1787:
	v_cvt_i32_f32_e32 v3, v4
	global_store_b32 v[6:7], v3, off
.LBB16_1788:
	s_mov_b32 s0, 0
.LBB16_1789:
	s_delay_alu instid0(SALU_CYCLE_1)
	s_and_not1_b32 vcc_lo, exec_lo, s0
	s_cbranch_vccnz .LBB16_1791
; %bb.1790:
	v_cvt_i32_f32_e32 v3, v4
	global_store_b16 v[6:7], v3, off
.LBB16_1791:
	s_mov_b32 s0, 0
.LBB16_1792:
	s_delay_alu instid0(SALU_CYCLE_1)
	s_and_not1_b32 vcc_lo, exec_lo, s0
	s_cbranch_vccnz .LBB16_1797
; %bb.1793:
	v_cmp_gt_i16_e64 s0, s2, 0
	s_delay_alu instid0(VALU_DEP_1)
	s_and_b32 vcc_lo, exec_lo, s0
	s_mov_b32 s0, -1
	s_cbranch_vccz .LBB16_1795
; %bb.1794:
	v_cvt_i32_f32_e32 v3, v4
	s_mov_b32 s0, 0
	global_store_b8 v[6:7], v3, off
.LBB16_1795:
	s_and_not1_b32 vcc_lo, exec_lo, s0
	s_cbranch_vccnz .LBB16_1797
; %bb.1796:
	v_trunc_f32_e32 v3, v4
	s_delay_alu instid0(VALU_DEP_1) | instskip(NEXT) | instid1(VALU_DEP_1)
	v_mul_f32_e64 v4, 0x2f800000, |v3|
	v_floor_f32_e32 v4, v4
	s_delay_alu instid0(VALU_DEP_1) | instskip(SKIP_1) | instid1(VALU_DEP_2)
	v_fma_f32 v4, 0xcf800000, v4, |v3|
	v_ashrrev_i32_e32 v3, 31, v3
	v_cvt_u32_f32_e32 v4, v4
	s_delay_alu instid0(VALU_DEP_1) | instskip(NEXT) | instid1(VALU_DEP_1)
	v_xor_b32_e32 v4, v4, v3
	v_sub_nc_u32_e32 v3, v4, v3
	global_store_b8 v[6:7], v3, off
.LBB16_1797:
	s_mov_b32 s6, -1
.LBB16_1798:
	s_delay_alu instid0(SALU_CYCLE_1)
	s_and_not1_b32 vcc_lo, exec_lo, s6
	s_cbranch_vccnz .LBB16_2065
; %bb.1799:
	v_mul_f32_e32 v3, v8, v14
	v_cmp_eq_f32_e32 vcc_lo, 1.0, v14
	v_cmp_lt_i16_e64 s0, s2, 11
	v_add_co_u32 v2, s3, s4, v2
	s_mov_b32 s6, 0
	v_cndmask_b32_e32 v4, v3, v8, vcc_lo
	v_add_co_ci_u32_e64 v3, null, s5, 0, s3
	s_and_b32 vcc_lo, exec_lo, s0
	s_mov_b32 s0, -1
	s_cbranch_vccnz .LBB16_1888
; %bb.1800:
	v_cmp_gt_i16_e64 s0, s2, 25
	s_mov_b32 s7, -1
	s_mov_b32 s3, 0
	s_delay_alu instid0(VALU_DEP_1)
	s_and_b32 vcc_lo, exec_lo, s0
	s_mov_b32 s0, 0
	s_cbranch_vccz .LBB16_1844
; %bb.1801:
	v_cmp_gt_i16_e64 s0, s2, 28
	s_delay_alu instid0(VALU_DEP_1)
	s_and_b32 vcc_lo, exec_lo, s0
	s_cbranch_vccz .LBB16_1806
; %bb.1802:
	v_cmp_gt_i16_e64 s0, s2, 43
	s_delay_alu instid0(VALU_DEP_1)
	s_and_b32 vcc_lo, exec_lo, s0
	;; [unrolled: 5-line block ×3, first 2 shown]
	s_cbranch_vccz .LBB16_1816
; %bb.1804:
	v_cmp_eq_u16_e64 s6, s2, 46
	s_mov_b32 s0, -1
	s_mov_b32 s7, 0
	s_delay_alu instid0(VALU_DEP_1)
	s_and_b32 vcc_lo, exec_lo, s6
	s_mov_b32 s6, 0
	s_cbranch_vccz .LBB16_1817
; %bb.1805:
	v_bfe_u32 v5, v4, 16, 1
	v_cmp_o_f32_e32 vcc_lo, v4, v4
	s_mov_b32 s0, 0
	s_mov_b32 s6, -1
	s_delay_alu instid0(VALU_DEP_2) | instskip(NEXT) | instid1(VALU_DEP_1)
	v_add3_u32 v5, v4, v5, 0x7fff
	v_lshrrev_b32_e32 v5, 16, v5
	s_delay_alu instid0(VALU_DEP_1)
	v_cndmask_b32_e32 v5, 0x7fc0, v5, vcc_lo
	global_store_b32 v[2:3], v5, off
	s_branch .LBB16_1817
.LBB16_1806:
	s_mov_b32 s0, 0
	s_branch .LBB16_1827
.LBB16_1807:
	s_or_saveexec_b32 s8, s8
                                        ; implicit-def: $sgpr9
	s_delay_alu instid0(SALU_CYCLE_1)
	s_xor_b32 exec_lo, exec_lo, s8
	s_cbranch_execz .LBB16_1709
.LBB16_1808:
	v_add_f32_e64 v3, 0x46000000, |v4|
	s_and_not1_b32 s7, s7, exec_lo
	s_mov_b32 s9, 0
	s_delay_alu instid0(VALU_DEP_1) | instskip(NEXT) | instid1(VALU_DEP_1)
	v_and_b32_e32 v3, 0xff, v3
	v_cmp_ne_u32_e32 vcc_lo, 0, v3
	s_and_b32 s10, vcc_lo, exec_lo
	s_delay_alu instid0(SALU_CYCLE_1)
	s_or_b32 s7, s7, s10
	s_or_b32 exec_lo, exec_lo, s8
	v_mov_b32_e32 v5, s9
	s_and_saveexec_b32 s8, s7
	s_cbranch_execnz .LBB16_1710
	s_branch .LBB16_1711
.LBB16_1809:
	s_mov_b32 s0, 0
	s_branch .LBB16_1823
.LBB16_1810:
	s_trap 2
	s_sendmsg_rtn_b32 s0, sendmsg(MSG_RTN_GET_DOORBELL)
	s_mov_b32 ttmp2, m0
	s_waitcnt lgkmcnt(0)
	s_and_b32 s0, s0, 0x3ff
	s_delay_alu instid0(SALU_CYCLE_1) | instskip(NEXT) | instid1(SALU_CYCLE_1)
	s_bitset1_b32 s0, 10
	s_mov_b32 m0, s0
	s_sendmsg sendmsg(MSG_INTERRUPT)
	s_mov_b32 m0, ttmp2
.LBB16_1811:                            ; =>This Inner Loop Header: Depth=1
	s_sethalt 5
	s_branch .LBB16_1811
.LBB16_1812:
	s_cbranch_execnz .LBB16_1939
; %bb.1813:
	s_or_b32 s1, s1, exec_lo
	s_cbranch_execz .LBB16_1757
	s_branch .LBB16_1758
.LBB16_1814:
	s_or_saveexec_b32 s7, s7
                                        ; implicit-def: $sgpr8
	s_delay_alu instid0(SALU_CYCLE_1)
	s_xor_b32 exec_lo, exec_lo, s7
	s_cbranch_execz .LBB16_1722
.LBB16_1815:
	v_add_f32_e64 v3, 0x42800000, |v4|
	s_and_not1_b32 s6, s6, exec_lo
	s_mov_b32 s8, 0
	s_delay_alu instid0(VALU_DEP_1) | instskip(NEXT) | instid1(VALU_DEP_1)
	v_and_b32_e32 v3, 0xff, v3
	v_cmp_ne_u32_e32 vcc_lo, 0, v3
	s_and_b32 s9, vcc_lo, exec_lo
	s_delay_alu instid0(SALU_CYCLE_1)
	s_or_b32 s6, s6, s9
	s_or_b32 exec_lo, exec_lo, s7
	v_mov_b32_e32 v5, s8
	s_and_saveexec_b32 s7, s6
	s_cbranch_execnz .LBB16_1723
	s_branch .LBB16_1724
.LBB16_1816:
	s_mov_b32 s0, 0
.LBB16_1817:
	s_and_b32 vcc_lo, exec_lo, s7
	s_cbranch_vccz .LBB16_1822
; %bb.1818:
	v_cmp_eq_u16_e64 s0, s2, 44
	s_delay_alu instid0(VALU_DEP_1)
	s_and_b32 vcc_lo, exec_lo, s0
	s_mov_b32 s0, -1
	s_cbranch_vccz .LBB16_1822
; %bb.1819:
	v_bfe_u32 v6, v4, 23, 8
	v_mov_b32_e32 v5, 0xff
	s_mov_b32 s6, exec_lo
	s_delay_alu instid0(VALU_DEP_2)
	v_cmpx_ne_u32_e32 0xff, v6
; %bb.1820:
	v_and_b32_e32 v5, 0x400000, v4
	v_and_or_b32 v6, 0x3fffff, v4, v6
	s_delay_alu instid0(VALU_DEP_2) | instskip(NEXT) | instid1(VALU_DEP_2)
	v_cmp_ne_u32_e32 vcc_lo, 0, v5
	v_cmp_ne_u32_e64 s0, 0, v6
	v_lshrrev_b32_e32 v5, 23, v4
	s_delay_alu instid0(VALU_DEP_2) | instskip(NEXT) | instid1(SALU_CYCLE_1)
	s_and_b32 s0, vcc_lo, s0
	v_cndmask_b32_e64 v6, 0, 1, s0
	s_delay_alu instid0(VALU_DEP_1)
	v_add_nc_u32_e32 v5, v5, v6
; %bb.1821:
	s_or_b32 exec_lo, exec_lo, s6
	s_mov_b32 s0, 0
	s_mov_b32 s6, -1
	global_store_b8 v[2:3], v5, off
.LBB16_1822:
	s_mov_b32 s7, 0
.LBB16_1823:
	s_delay_alu instid0(SALU_CYCLE_1)
	s_and_b32 vcc_lo, exec_lo, s7
	s_cbranch_vccz .LBB16_1826
; %bb.1824:
	v_cmp_eq_u16_e64 s0, s2, 29
	s_delay_alu instid0(VALU_DEP_1)
	s_and_b32 vcc_lo, exec_lo, s0
	s_mov_b32 s0, -1
	s_cbranch_vccz .LBB16_1826
; %bb.1825:
	v_trunc_f32_e32 v5, v4
	s_mov_b32 s0, 0
	s_mov_b32 s6, -1
	s_mov_b32 s7, 0
	s_delay_alu instid0(VALU_DEP_1) | instskip(NEXT) | instid1(VALU_DEP_1)
	v_mul_f32_e32 v6, 0x2f800000, v5
	v_floor_f32_e32 v6, v6
	s_delay_alu instid0(VALU_DEP_1) | instskip(SKIP_1) | instid1(VALU_DEP_2)
	v_fmamk_f32 v5, v6, 0xcf800000, v5
	v_cvt_u32_f32_e32 v6, v6
	v_cvt_u32_f32_e32 v5, v5
	global_store_b64 v[2:3], v[5:6], off
	s_branch .LBB16_1827
.LBB16_1826:
	s_mov_b32 s7, 0
.LBB16_1827:
	s_delay_alu instid0(SALU_CYCLE_1)
	s_and_b32 vcc_lo, exec_lo, s7
	s_cbranch_vccz .LBB16_1843
; %bb.1828:
	v_cmp_lt_i16_e64 s6, s2, 27
	s_delay_alu instid0(VALU_DEP_1)
	s_and_b32 vcc_lo, exec_lo, s6
	s_mov_b32 s6, -1
	s_cbranch_vccnz .LBB16_1834
; %bb.1829:
	v_cmp_gt_i16_e64 s6, s2, 27
	v_cvt_u32_f32_e32 v5, v4
	s_delay_alu instid0(VALU_DEP_2)
	s_and_b32 vcc_lo, exec_lo, s6
	s_mov_b32 s6, -1
	s_cbranch_vccz .LBB16_1831
; %bb.1830:
	s_mov_b32 s6, 0
	global_store_b32 v[2:3], v5, off
.LBB16_1831:
	s_and_not1_b32 vcc_lo, exec_lo, s6
	s_cbranch_vccnz .LBB16_1833
; %bb.1832:
	global_store_b16 v[2:3], v5, off
.LBB16_1833:
	s_mov_b32 s6, 0
.LBB16_1834:
	s_delay_alu instid0(SALU_CYCLE_1)
	s_and_not1_b32 vcc_lo, exec_lo, s6
	s_cbranch_vccnz .LBB16_1842
; %bb.1835:
	v_and_b32_e32 v5, 0x7fffffff, v4
	v_mov_b32_e32 v6, 0x80
	s_mov_b32 s6, exec_lo
	s_delay_alu instid0(VALU_DEP_2)
	v_cmpx_gt_u32_e32 0x43800000, v5
	s_cbranch_execz .LBB16_1841
; %bb.1836:
	v_cmp_lt_u32_e32 vcc_lo, 0x3bffffff, v5
	s_mov_b32 s7, 0
                                        ; implicit-def: $vgpr5
	s_and_saveexec_b32 s8, vcc_lo
	s_delay_alu instid0(SALU_CYCLE_1)
	s_xor_b32 s8, exec_lo, s8
	s_cbranch_execz .LBB16_1936
; %bb.1837:
	v_bfe_u32 v5, v4, 20, 1
	s_mov_b32 s7, exec_lo
	s_delay_alu instid0(VALU_DEP_1) | instskip(NEXT) | instid1(VALU_DEP_1)
	v_add3_u32 v5, v4, v5, 0x487ffff
	v_lshrrev_b32_e32 v5, 20, v5
	s_or_saveexec_b32 s8, s8
                                        ; implicit-def: $sgpr9
	s_delay_alu instid0(SALU_CYCLE_1)
	s_xor_b32 exec_lo, exec_lo, s8
	s_cbranch_execnz .LBB16_1937
.LBB16_1838:
	s_or_b32 exec_lo, exec_lo, s8
	v_mov_b32_e32 v6, s9
	s_and_saveexec_b32 s8, s7
.LBB16_1839:
	v_lshrrev_b32_e32 v6, 24, v4
	s_delay_alu instid0(VALU_DEP_1)
	v_and_or_b32 v6, 0x80, v6, v5
.LBB16_1840:
	s_or_b32 exec_lo, exec_lo, s8
.LBB16_1841:
	s_delay_alu instid0(SALU_CYCLE_1)
	s_or_b32 exec_lo, exec_lo, s6
	global_store_b8 v[2:3], v6, off
.LBB16_1842:
	s_mov_b32 s6, -1
.LBB16_1843:
	s_mov_b32 s7, 0
.LBB16_1844:
	s_delay_alu instid0(SALU_CYCLE_1)
	s_and_b32 vcc_lo, exec_lo, s7
	s_cbranch_vccz .LBB16_1884
; %bb.1845:
	v_cmp_gt_i16_e64 s3, s2, 22
	s_delay_alu instid0(VALU_DEP_1)
	s_and_b32 vcc_lo, exec_lo, s3
	s_mov_b32 s3, -1
	s_cbranch_vccz .LBB16_1877
; %bb.1846:
	v_cmp_lt_i16_e64 s3, s2, 24
	s_delay_alu instid0(VALU_DEP_1)
	s_and_b32 vcc_lo, exec_lo, s3
	s_mov_b32 s3, -1
	s_cbranch_vccnz .LBB16_1866
; %bb.1847:
	v_cmp_gt_i16_e64 s3, s2, 24
	s_delay_alu instid0(VALU_DEP_1)
	s_and_b32 vcc_lo, exec_lo, s3
	s_mov_b32 s3, -1
	s_cbranch_vccz .LBB16_1855
; %bb.1848:
	v_and_b32_e32 v5, 0x7fffffff, v4
	v_mov_b32_e32 v6, 0x80
	s_mov_b32 s3, exec_lo
	s_delay_alu instid0(VALU_DEP_2)
	v_cmpx_gt_u32_e32 0x47800000, v5
	s_cbranch_execz .LBB16_1854
; %bb.1849:
	v_cmp_lt_u32_e32 vcc_lo, 0x37ffffff, v5
	s_mov_b32 s6, 0
                                        ; implicit-def: $vgpr5
	s_and_saveexec_b32 s7, vcc_lo
	s_delay_alu instid0(SALU_CYCLE_1)
	s_xor_b32 s7, exec_lo, s7
	s_cbranch_execz .LBB16_1943
; %bb.1850:
	v_bfe_u32 v5, v4, 21, 1
	s_mov_b32 s6, exec_lo
	s_delay_alu instid0(VALU_DEP_1) | instskip(NEXT) | instid1(VALU_DEP_1)
	v_add3_u32 v5, v4, v5, 0x88fffff
	v_lshrrev_b32_e32 v5, 21, v5
	s_or_saveexec_b32 s7, s7
                                        ; implicit-def: $sgpr8
	s_delay_alu instid0(SALU_CYCLE_1)
	s_xor_b32 exec_lo, exec_lo, s7
	s_cbranch_execnz .LBB16_1944
.LBB16_1851:
	s_or_b32 exec_lo, exec_lo, s7
	v_mov_b32_e32 v6, s8
	s_and_saveexec_b32 s7, s6
.LBB16_1852:
	v_lshrrev_b32_e32 v6, 24, v4
	s_delay_alu instid0(VALU_DEP_1)
	v_and_or_b32 v6, 0x80, v6, v5
.LBB16_1853:
	s_or_b32 exec_lo, exec_lo, s7
.LBB16_1854:
	s_delay_alu instid0(SALU_CYCLE_1)
	s_or_b32 exec_lo, exec_lo, s3
	s_mov_b32 s3, 0
	global_store_b8 v[2:3], v6, off
.LBB16_1855:
	s_and_b32 vcc_lo, exec_lo, s3
	s_cbranch_vccz .LBB16_1865
; %bb.1856:
	v_and_b32_e32 v6, 0x7fffffff, v4
	s_mov_b32 s3, exec_lo
                                        ; implicit-def: $vgpr5
	s_delay_alu instid0(VALU_DEP_1)
	v_cmpx_gt_u32_e32 0x43f00000, v6
	s_xor_b32 s3, exec_lo, s3
	s_cbranch_execz .LBB16_1862
; %bb.1857:
	s_mov_b32 s6, exec_lo
                                        ; implicit-def: $vgpr5
	v_cmpx_lt_u32_e32 0x3c7fffff, v6
	s_xor_b32 s6, exec_lo, s6
; %bb.1858:
	v_bfe_u32 v5, v4, 20, 1
	s_delay_alu instid0(VALU_DEP_1) | instskip(NEXT) | instid1(VALU_DEP_1)
	v_add3_u32 v5, v4, v5, 0x407ffff
	v_and_b32_e32 v6, 0xff00000, v5
	v_lshrrev_b32_e32 v5, 20, v5
	s_delay_alu instid0(VALU_DEP_2) | instskip(NEXT) | instid1(VALU_DEP_2)
	v_cmp_ne_u32_e32 vcc_lo, 0x7f00000, v6
	v_cndmask_b32_e32 v5, 0x7e, v5, vcc_lo
; %bb.1859:
	s_and_not1_saveexec_b32 s6, s6
; %bb.1860:
	v_add_f32_e64 v5, 0x46800000, |v4|
; %bb.1861:
	s_or_b32 exec_lo, exec_lo, s6
                                        ; implicit-def: $vgpr6
.LBB16_1862:
	s_and_not1_saveexec_b32 s3, s3
; %bb.1863:
	v_mov_b32_e32 v5, 0x7f
	v_cmp_lt_u32_e32 vcc_lo, 0x7f800000, v6
	s_delay_alu instid0(VALU_DEP_2)
	v_cndmask_b32_e32 v5, 0x7e, v5, vcc_lo
; %bb.1864:
	s_or_b32 exec_lo, exec_lo, s3
	v_lshrrev_b32_e32 v6, 24, v4
	s_delay_alu instid0(VALU_DEP_1)
	v_and_or_b32 v5, 0x80, v6, v5
	global_store_b8 v[2:3], v5, off
.LBB16_1865:
	s_mov_b32 s3, 0
.LBB16_1866:
	s_delay_alu instid0(SALU_CYCLE_1)
	s_and_not1_b32 vcc_lo, exec_lo, s3
	s_cbranch_vccnz .LBB16_1876
; %bb.1867:
	v_and_b32_e32 v6, 0x7fffffff, v4
	s_mov_b32 s3, exec_lo
                                        ; implicit-def: $vgpr5
	s_delay_alu instid0(VALU_DEP_1)
	v_cmpx_gt_u32_e32 0x47800000, v6
	s_xor_b32 s3, exec_lo, s3
	s_cbranch_execz .LBB16_1873
; %bb.1868:
	s_mov_b32 s6, exec_lo
                                        ; implicit-def: $vgpr5
	v_cmpx_lt_u32_e32 0x387fffff, v6
	s_xor_b32 s6, exec_lo, s6
; %bb.1869:
	v_bfe_u32 v5, v4, 21, 1
	s_delay_alu instid0(VALU_DEP_1) | instskip(NEXT) | instid1(VALU_DEP_1)
	v_add3_u32 v5, v4, v5, 0x80fffff
	v_lshrrev_b32_e32 v5, 21, v5
; %bb.1870:
	s_and_not1_saveexec_b32 s6, s6
; %bb.1871:
	v_add_f32_e64 v5, 0x43000000, |v4|
; %bb.1872:
	s_or_b32 exec_lo, exec_lo, s6
                                        ; implicit-def: $vgpr6
.LBB16_1873:
	s_and_not1_saveexec_b32 s3, s3
; %bb.1874:
	v_mov_b32_e32 v5, 0x7f
	v_cmp_lt_u32_e32 vcc_lo, 0x7f800000, v6
	s_delay_alu instid0(VALU_DEP_2)
	v_cndmask_b32_e32 v5, 0x7c, v5, vcc_lo
; %bb.1875:
	s_or_b32 exec_lo, exec_lo, s3
	v_lshrrev_b32_e32 v6, 24, v4
	s_delay_alu instid0(VALU_DEP_1)
	v_and_or_b32 v5, 0x80, v6, v5
	global_store_b8 v[2:3], v5, off
.LBB16_1876:
	s_mov_b32 s3, 0
	s_mov_b32 s6, -1
.LBB16_1877:
	s_and_not1_b32 vcc_lo, exec_lo, s3
	s_mov_b32 s3, 0
	s_cbranch_vccnz .LBB16_1884
; %bb.1878:
	v_cmp_gt_i16_e64 s3, s2, 14
	s_delay_alu instid0(VALU_DEP_1)
	s_and_b32 vcc_lo, exec_lo, s3
	s_mov_b32 s3, -1
	s_cbranch_vccz .LBB16_1882
; %bb.1879:
	v_cmp_eq_u16_e64 s0, s2, 15
	s_delay_alu instid0(VALU_DEP_1)
	s_and_b32 vcc_lo, exec_lo, s0
	s_mov_b32 s0, -1
	s_cbranch_vccz .LBB16_1881
; %bb.1880:
	v_bfe_u32 v5, v4, 16, 1
	v_cmp_o_f32_e32 vcc_lo, v4, v4
	s_mov_b32 s0, 0
	s_mov_b32 s6, -1
	s_delay_alu instid0(VALU_DEP_2) | instskip(NEXT) | instid1(VALU_DEP_1)
	v_add3_u32 v5, v4, v5, 0x7fff
	v_lshrrev_b32_e32 v5, 16, v5
	s_delay_alu instid0(VALU_DEP_1)
	v_cndmask_b32_e32 v5, 0x7fc0, v5, vcc_lo
	global_store_b16 v[2:3], v5, off
.LBB16_1881:
	s_mov_b32 s3, 0
.LBB16_1882:
	s_delay_alu instid0(SALU_CYCLE_1)
	s_and_b32 vcc_lo, exec_lo, s3
	s_mov_b32 s3, 0
	s_cbranch_vccz .LBB16_1884
; %bb.1883:
	v_cmp_ne_u16_e64 s0, s2, 11
	s_mov_b32 s3, -1
.LBB16_1884:
	s_delay_alu instid0(VALU_DEP_1)
	s_and_b32 vcc_lo, exec_lo, s0
	s_cbranch_vccnz .LBB16_1941
; %bb.1885:
	s_and_not1_b32 vcc_lo, exec_lo, s3
	s_cbranch_vccnz .LBB16_1887
.LBB16_1886:
	v_cmp_neq_f32_e32 vcc_lo, 0, v4
	s_mov_b32 s6, -1
	v_cndmask_b32_e64 v5, 0, 1, vcc_lo
	global_store_b8 v[2:3], v5, off
.LBB16_1887:
	s_mov_b32 s0, 0
.LBB16_1888:
	s_delay_alu instid0(SALU_CYCLE_1)
	s_and_b32 vcc_lo, exec_lo, s0
	s_cbranch_vccz .LBB16_1927
; %bb.1889:
	v_cmp_lt_i16_e64 s0, s2, 5
	s_delay_alu instid0(VALU_DEP_1)
	s_and_b32 vcc_lo, exec_lo, s0
	s_mov_b32 s0, -1
	s_cbranch_vccnz .LBB16_1910
; %bb.1890:
	v_cmp_lt_i16_e64 s0, s2, 8
	s_delay_alu instid0(VALU_DEP_1)
	s_and_b32 vcc_lo, exec_lo, s0
	s_mov_b32 s0, -1
	s_cbranch_vccnz .LBB16_1900
; %bb.1891:
	v_cmp_lt_i16_e64 s0, s2, 9
	s_delay_alu instid0(VALU_DEP_1)
	s_and_b32 vcc_lo, exec_lo, s0
	s_mov_b32 s0, -1
	s_cbranch_vccnz .LBB16_1897
; %bb.1892:
	v_cmp_gt_i16_e64 s0, s2, 9
	s_delay_alu instid0(VALU_DEP_1)
	s_and_b32 vcc_lo, exec_lo, s0
	s_mov_b32 s0, -1
	s_cbranch_vccz .LBB16_1894
; %bb.1893:
	v_cvt_f64_f32_e32 v[5:6], v4
	v_mov_b32_e32 v7, 0
	s_mov_b32 s0, 0
	s_delay_alu instid0(VALU_DEP_1)
	v_mov_b32_e32 v8, v7
	global_store_b128 v[2:3], v[5:8], off
.LBB16_1894:
	s_and_not1_b32 vcc_lo, exec_lo, s0
	s_cbranch_vccnz .LBB16_1896
; %bb.1895:
	v_mov_b32_e32 v5, 0
	global_store_b64 v[2:3], v[4:5], off
.LBB16_1896:
	s_mov_b32 s0, 0
.LBB16_1897:
	s_delay_alu instid0(SALU_CYCLE_1)
	s_and_not1_b32 vcc_lo, exec_lo, s0
	s_cbranch_vccnz .LBB16_1899
; %bb.1898:
	v_cvt_f16_f32_e32 v5, v4
	s_delay_alu instid0(VALU_DEP_1)
	v_and_b32_e32 v5, 0xffff, v5
	global_store_b32 v[2:3], v5, off
.LBB16_1899:
	s_mov_b32 s0, 0
.LBB16_1900:
	s_delay_alu instid0(SALU_CYCLE_1)
	s_and_not1_b32 vcc_lo, exec_lo, s0
	s_cbranch_vccnz .LBB16_1909
; %bb.1901:
	v_cmp_lt_i16_e64 s0, s2, 6
	s_delay_alu instid0(VALU_DEP_1)
	s_and_b32 vcc_lo, exec_lo, s0
	s_mov_b32 s0, -1
	s_cbranch_vccnz .LBB16_1907
; %bb.1902:
	v_cmp_gt_i16_e64 s0, s2, 6
	s_delay_alu instid0(VALU_DEP_1)
	s_and_b32 vcc_lo, exec_lo, s0
	s_mov_b32 s0, -1
	s_cbranch_vccz .LBB16_1904
; %bb.1903:
	v_cvt_f64_f32_e32 v[5:6], v4
	s_mov_b32 s0, 0
	global_store_b64 v[2:3], v[5:6], off
.LBB16_1904:
	s_and_not1_b32 vcc_lo, exec_lo, s0
	s_cbranch_vccnz .LBB16_1906
; %bb.1905:
	global_store_b32 v[2:3], v4, off
.LBB16_1906:
	s_mov_b32 s0, 0
.LBB16_1907:
	s_delay_alu instid0(SALU_CYCLE_1)
	s_and_not1_b32 vcc_lo, exec_lo, s0
	s_cbranch_vccnz .LBB16_1909
; %bb.1908:
	v_cvt_f16_f32_e32 v5, v4
	global_store_b16 v[2:3], v5, off
.LBB16_1909:
	s_mov_b32 s0, 0
.LBB16_1910:
	s_delay_alu instid0(SALU_CYCLE_1)
	s_and_not1_b32 vcc_lo, exec_lo, s0
	s_cbranch_vccnz .LBB16_1926
; %bb.1911:
	v_cmp_lt_i16_e64 s0, s2, 2
	s_delay_alu instid0(VALU_DEP_1)
	s_and_b32 vcc_lo, exec_lo, s0
	s_mov_b32 s0, -1
	s_cbranch_vccnz .LBB16_1921
; %bb.1912:
	v_cmp_lt_i16_e64 s0, s2, 3
	s_delay_alu instid0(VALU_DEP_1)
	s_and_b32 vcc_lo, exec_lo, s0
	s_mov_b32 s0, -1
	s_cbranch_vccnz .LBB16_1918
; %bb.1913:
	v_cmp_gt_i16_e64 s0, s2, 3
	s_delay_alu instid0(VALU_DEP_1)
	s_and_b32 vcc_lo, exec_lo, s0
	s_mov_b32 s0, -1
	s_cbranch_vccz .LBB16_1915
; %bb.1914:
	v_trunc_f32_e32 v5, v4
	s_mov_b32 s0, 0
	s_delay_alu instid0(VALU_DEP_1) | instskip(SKIP_1) | instid1(VALU_DEP_2)
	v_mul_f32_e64 v6, 0x2f800000, |v5|
	v_ashrrev_i32_e32 v8, 31, v5
	v_floor_f32_e32 v6, v6
	s_delay_alu instid0(VALU_DEP_1) | instskip(SKIP_1) | instid1(VALU_DEP_2)
	v_fma_f32 v7, 0xcf800000, v6, |v5|
	v_cvt_u32_f32_e32 v6, v6
	v_cvt_u32_f32_e32 v5, v7
	s_delay_alu instid0(VALU_DEP_2) | instskip(NEXT) | instid1(VALU_DEP_2)
	v_xor_b32_e32 v6, v6, v8
	v_xor_b32_e32 v5, v5, v8
	s_delay_alu instid0(VALU_DEP_1) | instskip(NEXT) | instid1(VALU_DEP_3)
	v_sub_co_u32 v5, vcc_lo, v5, v8
	v_sub_co_ci_u32_e32 v6, vcc_lo, v6, v8, vcc_lo
	global_store_b64 v[2:3], v[5:6], off
.LBB16_1915:
	s_and_not1_b32 vcc_lo, exec_lo, s0
	s_cbranch_vccnz .LBB16_1917
; %bb.1916:
	v_cvt_i32_f32_e32 v5, v4
	global_store_b32 v[2:3], v5, off
.LBB16_1917:
	s_mov_b32 s0, 0
.LBB16_1918:
	s_delay_alu instid0(SALU_CYCLE_1)
	s_and_not1_b32 vcc_lo, exec_lo, s0
	s_cbranch_vccnz .LBB16_1920
; %bb.1919:
	v_cvt_i32_f32_e32 v5, v4
	global_store_b16 v[2:3], v5, off
.LBB16_1920:
	s_mov_b32 s0, 0
.LBB16_1921:
	s_delay_alu instid0(SALU_CYCLE_1)
	s_and_not1_b32 vcc_lo, exec_lo, s0
	s_cbranch_vccnz .LBB16_1926
; %bb.1922:
	v_cmp_gt_i16_e64 s0, s2, 0
	s_delay_alu instid0(VALU_DEP_1)
	s_and_b32 vcc_lo, exec_lo, s0
	s_mov_b32 s0, -1
	s_cbranch_vccz .LBB16_1924
; %bb.1923:
	v_cvt_i32_f32_e32 v5, v4
	s_mov_b32 s0, 0
	global_store_b8 v[2:3], v5, off
.LBB16_1924:
	s_and_not1_b32 vcc_lo, exec_lo, s0
	s_cbranch_vccnz .LBB16_1926
; %bb.1925:
	v_trunc_f32_e32 v4, v4
	s_delay_alu instid0(VALU_DEP_1) | instskip(NEXT) | instid1(VALU_DEP_1)
	v_mul_f32_e64 v5, 0x2f800000, |v4|
	v_floor_f32_e32 v5, v5
	s_delay_alu instid0(VALU_DEP_1) | instskip(SKIP_1) | instid1(VALU_DEP_2)
	v_fma_f32 v5, 0xcf800000, v5, |v4|
	v_ashrrev_i32_e32 v4, 31, v4
	v_cvt_u32_f32_e32 v5, v5
	s_delay_alu instid0(VALU_DEP_1) | instskip(NEXT) | instid1(VALU_DEP_1)
	v_xor_b32_e32 v5, v5, v4
	v_sub_nc_u32_e32 v4, v5, v4
	global_store_b8 v[2:3], v4, off
.LBB16_1926:
	s_mov_b32 s6, -1
.LBB16_1927:
	s_delay_alu instid0(SALU_CYCLE_1)
	s_and_not1_b32 vcc_lo, exec_lo, s6
	s_cbranch_vccnz .LBB16_2065
; %bb.1928:
	v_mul_f32_e32 v2, v11, v15
	v_cmp_eq_f32_e32 vcc_lo, 1.0, v15
	v_cmp_lt_i16_e64 s0, s2, 11
	v_add_co_u32 v1, s3, s4, v1
	s_mov_b32 s6, 0
	v_cndmask_b32_e32 v3, v2, v11, vcc_lo
	v_add_co_ci_u32_e64 v2, null, s5, 0, s3
	s_and_b32 vcc_lo, exec_lo, s0
	s_mov_b32 s0, -1
	s_cbranch_vccnz .LBB16_2017
; %bb.1929:
	v_cmp_gt_i16_e64 s0, s2, 25
	s_mov_b32 s7, -1
	s_mov_b32 s3, 0
	s_delay_alu instid0(VALU_DEP_1)
	s_and_b32 vcc_lo, exec_lo, s0
	s_mov_b32 s0, 0
	s_cbranch_vccz .LBB16_1973
; %bb.1930:
	v_cmp_gt_i16_e64 s0, s2, 28
	s_delay_alu instid0(VALU_DEP_1)
	s_and_b32 vcc_lo, exec_lo, s0
	s_cbranch_vccz .LBB16_1935
; %bb.1931:
	v_cmp_gt_i16_e64 s0, s2, 43
	s_delay_alu instid0(VALU_DEP_1)
	s_and_b32 vcc_lo, exec_lo, s0
	;; [unrolled: 5-line block ×3, first 2 shown]
	s_cbranch_vccz .LBB16_1945
; %bb.1933:
	v_cmp_eq_u16_e64 s6, s2, 46
	s_mov_b32 s0, -1
	s_mov_b32 s7, 0
	s_delay_alu instid0(VALU_DEP_1)
	s_and_b32 vcc_lo, exec_lo, s6
	s_mov_b32 s6, 0
	s_cbranch_vccz .LBB16_1946
; %bb.1934:
	v_bfe_u32 v4, v3, 16, 1
	v_cmp_o_f32_e32 vcc_lo, v3, v3
	s_mov_b32 s0, 0
	s_mov_b32 s6, -1
	s_delay_alu instid0(VALU_DEP_2) | instskip(NEXT) | instid1(VALU_DEP_1)
	v_add3_u32 v4, v3, v4, 0x7fff
	v_lshrrev_b32_e32 v4, 16, v4
	s_delay_alu instid0(VALU_DEP_1)
	v_cndmask_b32_e32 v4, 0x7fc0, v4, vcc_lo
	global_store_b32 v[1:2], v4, off
	s_branch .LBB16_1946
.LBB16_1935:
	s_mov_b32 s0, 0
	s_branch .LBB16_1956
.LBB16_1936:
	s_or_saveexec_b32 s8, s8
                                        ; implicit-def: $sgpr9
	s_delay_alu instid0(SALU_CYCLE_1)
	s_xor_b32 exec_lo, exec_lo, s8
	s_cbranch_execz .LBB16_1838
.LBB16_1937:
	v_add_f32_e64 v5, 0x46000000, |v4|
	s_and_not1_b32 s7, s7, exec_lo
	s_mov_b32 s9, 0
	s_delay_alu instid0(VALU_DEP_1) | instskip(NEXT) | instid1(VALU_DEP_1)
	v_and_b32_e32 v5, 0xff, v5
	v_cmp_ne_u32_e32 vcc_lo, 0, v5
	s_and_b32 s10, vcc_lo, exec_lo
	s_delay_alu instid0(SALU_CYCLE_1)
	s_or_b32 s7, s7, s10
	s_or_b32 exec_lo, exec_lo, s8
	v_mov_b32_e32 v6, s9
	s_and_saveexec_b32 s8, s7
	s_cbranch_execnz .LBB16_1839
	s_branch .LBB16_1840
.LBB16_1938:
	s_mov_b32 s0, 0
	s_branch .LBB16_1952
.LBB16_1939:
	s_trap 2
	s_sendmsg_rtn_b32 s0, sendmsg(MSG_RTN_GET_DOORBELL)
	s_mov_b32 ttmp2, m0
	s_waitcnt lgkmcnt(0)
	s_and_b32 s0, s0, 0x3ff
	s_delay_alu instid0(SALU_CYCLE_1) | instskip(NEXT) | instid1(SALU_CYCLE_1)
	s_bitset1_b32 s0, 10
	s_mov_b32 m0, s0
	s_sendmsg sendmsg(MSG_INTERRUPT)
	s_mov_b32 m0, ttmp2
.LBB16_1940:                            ; =>This Inner Loop Header: Depth=1
	s_sethalt 5
	s_branch .LBB16_1940
.LBB16_1941:
	s_cbranch_execnz .LBB16_2114
; %bb.1942:
	s_or_b32 s1, s1, exec_lo
	s_cbranch_execz .LBB16_1886
	s_branch .LBB16_1887
.LBB16_1943:
	s_or_saveexec_b32 s7, s7
                                        ; implicit-def: $sgpr8
	s_delay_alu instid0(SALU_CYCLE_1)
	s_xor_b32 exec_lo, exec_lo, s7
	s_cbranch_execz .LBB16_1851
.LBB16_1944:
	v_add_f32_e64 v5, 0x42800000, |v4|
	s_and_not1_b32 s6, s6, exec_lo
	s_mov_b32 s8, 0
	s_delay_alu instid0(VALU_DEP_1) | instskip(NEXT) | instid1(VALU_DEP_1)
	v_and_b32_e32 v5, 0xff, v5
	v_cmp_ne_u32_e32 vcc_lo, 0, v5
	s_and_b32 s9, vcc_lo, exec_lo
	s_delay_alu instid0(SALU_CYCLE_1)
	s_or_b32 s6, s6, s9
	s_or_b32 exec_lo, exec_lo, s7
	v_mov_b32_e32 v6, s8
	s_and_saveexec_b32 s7, s6
	s_cbranch_execnz .LBB16_1852
	s_branch .LBB16_1853
.LBB16_1945:
	s_mov_b32 s0, 0
.LBB16_1946:
	s_and_b32 vcc_lo, exec_lo, s7
	s_cbranch_vccz .LBB16_1951
; %bb.1947:
	v_cmp_eq_u16_e64 s0, s2, 44
	s_delay_alu instid0(VALU_DEP_1)
	s_and_b32 vcc_lo, exec_lo, s0
	s_mov_b32 s0, -1
	s_cbranch_vccz .LBB16_1951
; %bb.1948:
	v_bfe_u32 v5, v3, 23, 8
	v_mov_b32_e32 v4, 0xff
	s_mov_b32 s6, exec_lo
	s_delay_alu instid0(VALU_DEP_2)
	v_cmpx_ne_u32_e32 0xff, v5
; %bb.1949:
	v_and_b32_e32 v4, 0x400000, v3
	v_and_or_b32 v5, 0x3fffff, v3, v5
	s_delay_alu instid0(VALU_DEP_2) | instskip(NEXT) | instid1(VALU_DEP_2)
	v_cmp_ne_u32_e32 vcc_lo, 0, v4
	v_cmp_ne_u32_e64 s0, 0, v5
	v_lshrrev_b32_e32 v4, 23, v3
	s_delay_alu instid0(VALU_DEP_2) | instskip(NEXT) | instid1(SALU_CYCLE_1)
	s_and_b32 s0, vcc_lo, s0
	v_cndmask_b32_e64 v5, 0, 1, s0
	s_delay_alu instid0(VALU_DEP_1)
	v_add_nc_u32_e32 v4, v4, v5
; %bb.1950:
	s_or_b32 exec_lo, exec_lo, s6
	s_mov_b32 s0, 0
	s_mov_b32 s6, -1
	global_store_b8 v[1:2], v4, off
.LBB16_1951:
	s_mov_b32 s7, 0
.LBB16_1952:
	s_delay_alu instid0(SALU_CYCLE_1)
	s_and_b32 vcc_lo, exec_lo, s7
	s_cbranch_vccz .LBB16_1955
; %bb.1953:
	v_cmp_eq_u16_e64 s0, s2, 29
	s_delay_alu instid0(VALU_DEP_1)
	s_and_b32 vcc_lo, exec_lo, s0
	s_mov_b32 s0, -1
	s_cbranch_vccz .LBB16_1955
; %bb.1954:
	v_trunc_f32_e32 v4, v3
	s_mov_b32 s0, 0
	s_mov_b32 s6, -1
	s_mov_b32 s7, 0
	s_delay_alu instid0(VALU_DEP_1) | instskip(NEXT) | instid1(VALU_DEP_1)
	v_mul_f32_e32 v5, 0x2f800000, v4
	v_floor_f32_e32 v5, v5
	s_delay_alu instid0(VALU_DEP_1) | instskip(SKIP_1) | instid1(VALU_DEP_2)
	v_fmamk_f32 v4, v5, 0xcf800000, v4
	v_cvt_u32_f32_e32 v5, v5
	v_cvt_u32_f32_e32 v4, v4
	global_store_b64 v[1:2], v[4:5], off
	s_branch .LBB16_1956
.LBB16_1955:
	s_mov_b32 s7, 0
.LBB16_1956:
	s_delay_alu instid0(SALU_CYCLE_1)
	s_and_b32 vcc_lo, exec_lo, s7
	s_cbranch_vccz .LBB16_1972
; %bb.1957:
	v_cmp_lt_i16_e64 s6, s2, 27
	s_delay_alu instid0(VALU_DEP_1)
	s_and_b32 vcc_lo, exec_lo, s6
	s_mov_b32 s6, -1
	s_cbranch_vccnz .LBB16_1963
; %bb.1958:
	v_cmp_gt_i16_e64 s6, s2, 27
	v_cvt_u32_f32_e32 v4, v3
	s_delay_alu instid0(VALU_DEP_2)
	s_and_b32 vcc_lo, exec_lo, s6
	s_mov_b32 s6, -1
	s_cbranch_vccz .LBB16_1960
; %bb.1959:
	s_mov_b32 s6, 0
	global_store_b32 v[1:2], v4, off
.LBB16_1960:
	s_and_not1_b32 vcc_lo, exec_lo, s6
	s_cbranch_vccnz .LBB16_1962
; %bb.1961:
	global_store_b16 v[1:2], v4, off
.LBB16_1962:
	s_mov_b32 s6, 0
.LBB16_1963:
	s_delay_alu instid0(SALU_CYCLE_1)
	s_and_not1_b32 vcc_lo, exec_lo, s6
	s_cbranch_vccnz .LBB16_1971
; %bb.1964:
	v_and_b32_e32 v4, 0x7fffffff, v3
	v_mov_b32_e32 v5, 0x80
	s_mov_b32 s6, exec_lo
	s_delay_alu instid0(VALU_DEP_2)
	v_cmpx_gt_u32_e32 0x43800000, v4
	s_cbranch_execz .LBB16_1970
; %bb.1965:
	v_cmp_lt_u32_e32 vcc_lo, 0x3bffffff, v4
	s_mov_b32 s7, 0
                                        ; implicit-def: $vgpr4
	s_and_saveexec_b32 s8, vcc_lo
	s_delay_alu instid0(SALU_CYCLE_1)
	s_xor_b32 s8, exec_lo, s8
	s_cbranch_execz .LBB16_2111
; %bb.1966:
	v_bfe_u32 v4, v3, 20, 1
	s_mov_b32 s7, exec_lo
	s_delay_alu instid0(VALU_DEP_1) | instskip(NEXT) | instid1(VALU_DEP_1)
	v_add3_u32 v4, v3, v4, 0x487ffff
	v_lshrrev_b32_e32 v4, 20, v4
	s_or_saveexec_b32 s8, s8
                                        ; implicit-def: $sgpr9
	s_delay_alu instid0(SALU_CYCLE_1)
	s_xor_b32 exec_lo, exec_lo, s8
	s_cbranch_execnz .LBB16_2112
.LBB16_1967:
	s_or_b32 exec_lo, exec_lo, s8
	v_mov_b32_e32 v5, s9
	s_and_saveexec_b32 s8, s7
.LBB16_1968:
	v_lshrrev_b32_e32 v5, 24, v3
	s_delay_alu instid0(VALU_DEP_1)
	v_and_or_b32 v5, 0x80, v5, v4
.LBB16_1969:
	s_or_b32 exec_lo, exec_lo, s8
.LBB16_1970:
	s_delay_alu instid0(SALU_CYCLE_1)
	s_or_b32 exec_lo, exec_lo, s6
	global_store_b8 v[1:2], v5, off
.LBB16_1971:
	s_mov_b32 s6, -1
.LBB16_1972:
	s_mov_b32 s7, 0
.LBB16_1973:
	s_delay_alu instid0(SALU_CYCLE_1)
	s_and_b32 vcc_lo, exec_lo, s7
	s_cbranch_vccz .LBB16_2013
; %bb.1974:
	v_cmp_gt_i16_e64 s3, s2, 22
	s_delay_alu instid0(VALU_DEP_1)
	s_and_b32 vcc_lo, exec_lo, s3
	s_mov_b32 s3, -1
	s_cbranch_vccz .LBB16_2006
; %bb.1975:
	v_cmp_lt_i16_e64 s3, s2, 24
	s_delay_alu instid0(VALU_DEP_1)
	s_and_b32 vcc_lo, exec_lo, s3
	s_mov_b32 s3, -1
	s_cbranch_vccnz .LBB16_1995
; %bb.1976:
	v_cmp_gt_i16_e64 s3, s2, 24
	s_delay_alu instid0(VALU_DEP_1)
	s_and_b32 vcc_lo, exec_lo, s3
	s_mov_b32 s3, -1
	s_cbranch_vccz .LBB16_1984
; %bb.1977:
	v_and_b32_e32 v4, 0x7fffffff, v3
	v_mov_b32_e32 v5, 0x80
	s_mov_b32 s3, exec_lo
	s_delay_alu instid0(VALU_DEP_2)
	v_cmpx_gt_u32_e32 0x47800000, v4
	s_cbranch_execz .LBB16_1983
; %bb.1978:
	v_cmp_lt_u32_e32 vcc_lo, 0x37ffffff, v4
	s_mov_b32 s6, 0
                                        ; implicit-def: $vgpr4
	s_and_saveexec_b32 s7, vcc_lo
	s_delay_alu instid0(SALU_CYCLE_1)
	s_xor_b32 s7, exec_lo, s7
	s_cbranch_execz .LBB16_2118
; %bb.1979:
	v_bfe_u32 v4, v3, 21, 1
	s_mov_b32 s6, exec_lo
	s_delay_alu instid0(VALU_DEP_1) | instskip(NEXT) | instid1(VALU_DEP_1)
	v_add3_u32 v4, v3, v4, 0x88fffff
	v_lshrrev_b32_e32 v4, 21, v4
	s_or_saveexec_b32 s7, s7
                                        ; implicit-def: $sgpr8
	s_delay_alu instid0(SALU_CYCLE_1)
	s_xor_b32 exec_lo, exec_lo, s7
	s_cbranch_execnz .LBB16_2119
.LBB16_1980:
	s_or_b32 exec_lo, exec_lo, s7
	v_mov_b32_e32 v5, s8
	s_and_saveexec_b32 s7, s6
.LBB16_1981:
	v_lshrrev_b32_e32 v5, 24, v3
	s_delay_alu instid0(VALU_DEP_1)
	v_and_or_b32 v5, 0x80, v5, v4
.LBB16_1982:
	s_or_b32 exec_lo, exec_lo, s7
.LBB16_1983:
	s_delay_alu instid0(SALU_CYCLE_1)
	s_or_b32 exec_lo, exec_lo, s3
	s_mov_b32 s3, 0
	global_store_b8 v[1:2], v5, off
.LBB16_1984:
	s_and_b32 vcc_lo, exec_lo, s3
	s_cbranch_vccz .LBB16_1994
; %bb.1985:
	v_and_b32_e32 v5, 0x7fffffff, v3
	s_mov_b32 s3, exec_lo
                                        ; implicit-def: $vgpr4
	s_delay_alu instid0(VALU_DEP_1)
	v_cmpx_gt_u32_e32 0x43f00000, v5
	s_xor_b32 s3, exec_lo, s3
	s_cbranch_execz .LBB16_1991
; %bb.1986:
	s_mov_b32 s6, exec_lo
                                        ; implicit-def: $vgpr4
	v_cmpx_lt_u32_e32 0x3c7fffff, v5
	s_xor_b32 s6, exec_lo, s6
; %bb.1987:
	v_bfe_u32 v4, v3, 20, 1
	s_delay_alu instid0(VALU_DEP_1) | instskip(NEXT) | instid1(VALU_DEP_1)
	v_add3_u32 v4, v3, v4, 0x407ffff
	v_and_b32_e32 v5, 0xff00000, v4
	v_lshrrev_b32_e32 v4, 20, v4
	s_delay_alu instid0(VALU_DEP_2) | instskip(NEXT) | instid1(VALU_DEP_2)
	v_cmp_ne_u32_e32 vcc_lo, 0x7f00000, v5
	v_cndmask_b32_e32 v4, 0x7e, v4, vcc_lo
; %bb.1988:
	s_and_not1_saveexec_b32 s6, s6
; %bb.1989:
	v_add_f32_e64 v4, 0x46800000, |v3|
; %bb.1990:
	s_or_b32 exec_lo, exec_lo, s6
                                        ; implicit-def: $vgpr5
.LBB16_1991:
	s_and_not1_saveexec_b32 s3, s3
; %bb.1992:
	v_mov_b32_e32 v4, 0x7f
	v_cmp_lt_u32_e32 vcc_lo, 0x7f800000, v5
	s_delay_alu instid0(VALU_DEP_2)
	v_cndmask_b32_e32 v4, 0x7e, v4, vcc_lo
; %bb.1993:
	s_or_b32 exec_lo, exec_lo, s3
	v_lshrrev_b32_e32 v5, 24, v3
	s_delay_alu instid0(VALU_DEP_1)
	v_and_or_b32 v4, 0x80, v5, v4
	global_store_b8 v[1:2], v4, off
.LBB16_1994:
	s_mov_b32 s3, 0
.LBB16_1995:
	s_delay_alu instid0(SALU_CYCLE_1)
	s_and_not1_b32 vcc_lo, exec_lo, s3
	s_cbranch_vccnz .LBB16_2005
; %bb.1996:
	v_and_b32_e32 v5, 0x7fffffff, v3
	s_mov_b32 s3, exec_lo
                                        ; implicit-def: $vgpr4
	s_delay_alu instid0(VALU_DEP_1)
	v_cmpx_gt_u32_e32 0x47800000, v5
	s_xor_b32 s3, exec_lo, s3
	s_cbranch_execz .LBB16_2002
; %bb.1997:
	s_mov_b32 s6, exec_lo
                                        ; implicit-def: $vgpr4
	v_cmpx_lt_u32_e32 0x387fffff, v5
	s_xor_b32 s6, exec_lo, s6
; %bb.1998:
	v_bfe_u32 v4, v3, 21, 1
	s_delay_alu instid0(VALU_DEP_1) | instskip(NEXT) | instid1(VALU_DEP_1)
	v_add3_u32 v4, v3, v4, 0x80fffff
	v_lshrrev_b32_e32 v4, 21, v4
; %bb.1999:
	s_and_not1_saveexec_b32 s6, s6
; %bb.2000:
	v_add_f32_e64 v4, 0x43000000, |v3|
; %bb.2001:
	s_or_b32 exec_lo, exec_lo, s6
                                        ; implicit-def: $vgpr5
.LBB16_2002:
	s_and_not1_saveexec_b32 s3, s3
; %bb.2003:
	v_mov_b32_e32 v4, 0x7f
	v_cmp_lt_u32_e32 vcc_lo, 0x7f800000, v5
	s_delay_alu instid0(VALU_DEP_2)
	v_cndmask_b32_e32 v4, 0x7c, v4, vcc_lo
; %bb.2004:
	s_or_b32 exec_lo, exec_lo, s3
	v_lshrrev_b32_e32 v5, 24, v3
	s_delay_alu instid0(VALU_DEP_1)
	v_and_or_b32 v4, 0x80, v5, v4
	global_store_b8 v[1:2], v4, off
.LBB16_2005:
	s_mov_b32 s3, 0
	s_mov_b32 s6, -1
.LBB16_2006:
	s_and_not1_b32 vcc_lo, exec_lo, s3
	s_mov_b32 s3, 0
	s_cbranch_vccnz .LBB16_2013
; %bb.2007:
	v_cmp_gt_i16_e64 s3, s2, 14
	s_delay_alu instid0(VALU_DEP_1)
	s_and_b32 vcc_lo, exec_lo, s3
	s_mov_b32 s3, -1
	s_cbranch_vccz .LBB16_2011
; %bb.2008:
	v_cmp_eq_u16_e64 s0, s2, 15
	s_delay_alu instid0(VALU_DEP_1)
	s_and_b32 vcc_lo, exec_lo, s0
	s_mov_b32 s0, -1
	s_cbranch_vccz .LBB16_2010
; %bb.2009:
	v_bfe_u32 v4, v3, 16, 1
	v_cmp_o_f32_e32 vcc_lo, v3, v3
	s_mov_b32 s0, 0
	s_mov_b32 s6, -1
	s_delay_alu instid0(VALU_DEP_2) | instskip(NEXT) | instid1(VALU_DEP_1)
	v_add3_u32 v4, v3, v4, 0x7fff
	v_lshrrev_b32_e32 v4, 16, v4
	s_delay_alu instid0(VALU_DEP_1)
	v_cndmask_b32_e32 v4, 0x7fc0, v4, vcc_lo
	global_store_b16 v[1:2], v4, off
.LBB16_2010:
	s_mov_b32 s3, 0
.LBB16_2011:
	s_delay_alu instid0(SALU_CYCLE_1)
	s_and_b32 vcc_lo, exec_lo, s3
	s_mov_b32 s3, 0
	s_cbranch_vccz .LBB16_2013
; %bb.2012:
	v_cmp_ne_u16_e64 s0, s2, 11
	s_mov_b32 s3, -1
.LBB16_2013:
	s_delay_alu instid0(VALU_DEP_1)
	s_and_b32 vcc_lo, exec_lo, s0
	s_cbranch_vccnz .LBB16_2116
; %bb.2014:
	s_and_not1_b32 vcc_lo, exec_lo, s3
	s_cbranch_vccnz .LBB16_2016
.LBB16_2015:
	v_cmp_neq_f32_e32 vcc_lo, 0, v3
	s_mov_b32 s6, -1
	v_cndmask_b32_e64 v4, 0, 1, vcc_lo
	global_store_b8 v[1:2], v4, off
.LBB16_2016:
	s_mov_b32 s0, 0
.LBB16_2017:
	s_delay_alu instid0(SALU_CYCLE_1)
	s_and_b32 vcc_lo, exec_lo, s0
	s_cbranch_vccz .LBB16_2056
; %bb.2018:
	v_cmp_lt_i16_e64 s0, s2, 5
	s_delay_alu instid0(VALU_DEP_1)
	s_and_b32 vcc_lo, exec_lo, s0
	s_mov_b32 s0, -1
	s_cbranch_vccnz .LBB16_2039
; %bb.2019:
	v_cmp_lt_i16_e64 s0, s2, 8
	s_delay_alu instid0(VALU_DEP_1)
	s_and_b32 vcc_lo, exec_lo, s0
	s_mov_b32 s0, -1
	s_cbranch_vccnz .LBB16_2029
	;; [unrolled: 6-line block ×3, first 2 shown]
; %bb.2021:
	v_cmp_gt_i16_e64 s0, s2, 9
	s_delay_alu instid0(VALU_DEP_1)
	s_and_b32 vcc_lo, exec_lo, s0
	s_mov_b32 s0, -1
	s_cbranch_vccz .LBB16_2023
; %bb.2022:
	v_cvt_f64_f32_e32 v[4:5], v3
	v_mov_b32_e32 v6, 0
	s_mov_b32 s0, 0
	s_delay_alu instid0(VALU_DEP_1)
	v_mov_b32_e32 v7, v6
	global_store_b128 v[1:2], v[4:7], off
.LBB16_2023:
	s_and_not1_b32 vcc_lo, exec_lo, s0
	s_cbranch_vccnz .LBB16_2025
; %bb.2024:
	v_mov_b32_e32 v4, 0
	global_store_b64 v[1:2], v[3:4], off
.LBB16_2025:
	s_mov_b32 s0, 0
.LBB16_2026:
	s_delay_alu instid0(SALU_CYCLE_1)
	s_and_not1_b32 vcc_lo, exec_lo, s0
	s_cbranch_vccnz .LBB16_2028
; %bb.2027:
	v_cvt_f16_f32_e32 v4, v3
	s_delay_alu instid0(VALU_DEP_1)
	v_and_b32_e32 v4, 0xffff, v4
	global_store_b32 v[1:2], v4, off
.LBB16_2028:
	s_mov_b32 s0, 0
.LBB16_2029:
	s_delay_alu instid0(SALU_CYCLE_1)
	s_and_not1_b32 vcc_lo, exec_lo, s0
	s_cbranch_vccnz .LBB16_2038
; %bb.2030:
	v_cmp_lt_i16_e64 s0, s2, 6
	s_delay_alu instid0(VALU_DEP_1)
	s_and_b32 vcc_lo, exec_lo, s0
	s_mov_b32 s0, -1
	s_cbranch_vccnz .LBB16_2036
; %bb.2031:
	v_cmp_gt_i16_e64 s0, s2, 6
	s_delay_alu instid0(VALU_DEP_1)
	s_and_b32 vcc_lo, exec_lo, s0
	s_mov_b32 s0, -1
	s_cbranch_vccz .LBB16_2033
; %bb.2032:
	v_cvt_f64_f32_e32 v[4:5], v3
	s_mov_b32 s0, 0
	global_store_b64 v[1:2], v[4:5], off
.LBB16_2033:
	s_and_not1_b32 vcc_lo, exec_lo, s0
	s_cbranch_vccnz .LBB16_2035
; %bb.2034:
	global_store_b32 v[1:2], v3, off
.LBB16_2035:
	s_mov_b32 s0, 0
.LBB16_2036:
	s_delay_alu instid0(SALU_CYCLE_1)
	s_and_not1_b32 vcc_lo, exec_lo, s0
	s_cbranch_vccnz .LBB16_2038
; %bb.2037:
	v_cvt_f16_f32_e32 v4, v3
	global_store_b16 v[1:2], v4, off
.LBB16_2038:
	s_mov_b32 s0, 0
.LBB16_2039:
	s_delay_alu instid0(SALU_CYCLE_1)
	s_and_not1_b32 vcc_lo, exec_lo, s0
	s_cbranch_vccnz .LBB16_2055
; %bb.2040:
	v_cmp_lt_i16_e64 s0, s2, 2
	s_delay_alu instid0(VALU_DEP_1)
	s_and_b32 vcc_lo, exec_lo, s0
	s_mov_b32 s0, -1
	s_cbranch_vccnz .LBB16_2050
; %bb.2041:
	v_cmp_lt_i16_e64 s0, s2, 3
	s_delay_alu instid0(VALU_DEP_1)
	s_and_b32 vcc_lo, exec_lo, s0
	s_mov_b32 s0, -1
	s_cbranch_vccnz .LBB16_2047
; %bb.2042:
	v_cmp_gt_i16_e64 s0, s2, 3
	s_delay_alu instid0(VALU_DEP_1)
	s_and_b32 vcc_lo, exec_lo, s0
	s_mov_b32 s0, -1
	s_cbranch_vccz .LBB16_2044
; %bb.2043:
	v_trunc_f32_e32 v4, v3
	s_mov_b32 s0, 0
	s_delay_alu instid0(VALU_DEP_1) | instskip(SKIP_1) | instid1(VALU_DEP_2)
	v_mul_f32_e64 v5, 0x2f800000, |v4|
	v_ashrrev_i32_e32 v7, 31, v4
	v_floor_f32_e32 v5, v5
	s_delay_alu instid0(VALU_DEP_1) | instskip(SKIP_1) | instid1(VALU_DEP_2)
	v_fma_f32 v6, 0xcf800000, v5, |v4|
	v_cvt_u32_f32_e32 v5, v5
	v_cvt_u32_f32_e32 v4, v6
	s_delay_alu instid0(VALU_DEP_2) | instskip(NEXT) | instid1(VALU_DEP_2)
	v_xor_b32_e32 v5, v5, v7
	v_xor_b32_e32 v4, v4, v7
	s_delay_alu instid0(VALU_DEP_1) | instskip(NEXT) | instid1(VALU_DEP_3)
	v_sub_co_u32 v4, vcc_lo, v4, v7
	v_sub_co_ci_u32_e32 v5, vcc_lo, v5, v7, vcc_lo
	global_store_b64 v[1:2], v[4:5], off
.LBB16_2044:
	s_and_not1_b32 vcc_lo, exec_lo, s0
	s_cbranch_vccnz .LBB16_2046
; %bb.2045:
	v_cvt_i32_f32_e32 v4, v3
	global_store_b32 v[1:2], v4, off
.LBB16_2046:
	s_mov_b32 s0, 0
.LBB16_2047:
	s_delay_alu instid0(SALU_CYCLE_1)
	s_and_not1_b32 vcc_lo, exec_lo, s0
	s_cbranch_vccnz .LBB16_2049
; %bb.2048:
	v_cvt_i32_f32_e32 v4, v3
	global_store_b16 v[1:2], v4, off
.LBB16_2049:
	s_mov_b32 s0, 0
.LBB16_2050:
	s_delay_alu instid0(SALU_CYCLE_1)
	s_and_not1_b32 vcc_lo, exec_lo, s0
	s_cbranch_vccnz .LBB16_2055
; %bb.2051:
	v_cmp_gt_i16_e64 s0, s2, 0
	s_delay_alu instid0(VALU_DEP_1)
	s_and_b32 vcc_lo, exec_lo, s0
	s_mov_b32 s0, -1
	s_cbranch_vccz .LBB16_2053
; %bb.2052:
	v_cvt_i32_f32_e32 v4, v3
	s_mov_b32 s0, 0
	global_store_b8 v[1:2], v4, off
.LBB16_2053:
	s_and_not1_b32 vcc_lo, exec_lo, s0
	s_cbranch_vccnz .LBB16_2055
; %bb.2054:
	v_trunc_f32_e32 v3, v3
	s_delay_alu instid0(VALU_DEP_1) | instskip(NEXT) | instid1(VALU_DEP_1)
	v_mul_f32_e64 v4, 0x2f800000, |v3|
	v_floor_f32_e32 v4, v4
	s_delay_alu instid0(VALU_DEP_1) | instskip(SKIP_1) | instid1(VALU_DEP_2)
	v_fma_f32 v4, 0xcf800000, v4, |v3|
	v_ashrrev_i32_e32 v3, 31, v3
	v_cvt_u32_f32_e32 v4, v4
	s_delay_alu instid0(VALU_DEP_1) | instskip(NEXT) | instid1(VALU_DEP_1)
	v_xor_b32_e32 v4, v4, v3
	v_sub_nc_u32_e32 v3, v4, v3
	global_store_b8 v[1:2], v3, off
.LBB16_2055:
	s_mov_b32 s6, -1
.LBB16_2056:
	s_delay_alu instid0(SALU_CYCLE_1)
	s_and_not1_b32 vcc_lo, exec_lo, s6
	s_cbranch_vccnz .LBB16_2065
; %bb.2057:
	s_waitcnt vmcnt(0)
	v_mul_f32_e32 v1, v12, v9
	v_cmp_eq_f32_e32 vcc_lo, 1.0, v9
	v_cmp_lt_i16_e64 s0, s2, 11
	v_add_co_u32 v0, s4, s4, v0
	s_mov_b32 s3, 0
	v_cndmask_b32_e32 v2, v1, v12, vcc_lo
	v_add_co_ci_u32_e64 v1, null, s5, 0, s4
	s_and_b32 vcc_lo, exec_lo, s0
	s_mov_b32 s0, -1
	s_cbranch_vccnz .LBB16_2066
; %bb.2058:
	v_cmp_gt_i16_e64 s0, s2, 25
	s_mov_b32 s4, -1
	s_delay_alu instid0(VALU_DEP_1)
	s_and_b32 vcc_lo, exec_lo, s0
	s_mov_b32 s0, 0
	s_cbranch_vccz .LBB16_2147
; %bb.2059:
	v_cmp_gt_i16_e64 s0, s2, 28
	s_delay_alu instid0(VALU_DEP_1)
	s_and_b32 vcc_lo, exec_lo, s0
	s_cbranch_vccz .LBB16_2110
; %bb.2060:
	v_cmp_gt_i16_e64 s0, s2, 43
	s_delay_alu instid0(VALU_DEP_1)
	s_and_b32 vcc_lo, exec_lo, s0
	;; [unrolled: 5-line block ×3, first 2 shown]
	s_cbranch_vccz .LBB16_2120
; %bb.2062:
	v_cmp_eq_u16_e64 s0, s2, 46
	s_delay_alu instid0(VALU_DEP_1)
	s_and_b32 vcc_lo, exec_lo, s0
	s_mov_b32 s0, -1
	s_cbranch_vccz .LBB16_2064
; %bb.2063:
	v_bfe_u32 v3, v2, 16, 1
	v_cmp_o_f32_e32 vcc_lo, v2, v2
	s_mov_b32 s0, 0
	s_delay_alu instid0(VALU_DEP_2) | instskip(NEXT) | instid1(VALU_DEP_1)
	v_add3_u32 v3, v2, v3, 0x7fff
	v_lshrrev_b32_e32 v3, 16, v3
	s_delay_alu instid0(VALU_DEP_1)
	v_cndmask_b32_e32 v3, 0x7fc0, v3, vcc_lo
	global_store_b32 v[0:1], v3, off
.LBB16_2064:
	s_mov_b32 s4, 0
	s_branch .LBB16_2121
.LBB16_2065:
	s_mov_b32 s0, 0
	s_mov_b32 s3, 0
                                        ; implicit-def: $vgpr0_vgpr1
                                        ; implicit-def: $sgpr2
                                        ; implicit-def: $vgpr2
.LBB16_2066:
	s_and_b32 s4, s0, exec_lo
	s_and_not1_b32 s0, s12, exec_lo
	s_and_b32 s1, s1, exec_lo
	s_and_b32 s30, s3, exec_lo
	s_or_b32 s12, s0, s1
.LBB16_2067:
	s_or_b32 exec_lo, exec_lo, s13
	s_and_saveexec_b32 s0, s12
	s_cbranch_execz .LBB16_2070
; %bb.2068:
	; divergent unreachable
	s_or_b32 exec_lo, exec_lo, s0
	s_and_saveexec_b32 s0, s30
	s_delay_alu instid0(SALU_CYCLE_1)
	s_xor_b32 s0, exec_lo, s0
	s_cbranch_execnz .LBB16_2071
.LBB16_2069:
	s_or_b32 exec_lo, exec_lo, s0
	s_and_saveexec_b32 s0, s4
	s_cbranch_execnz .LBB16_2072
	s_branch .LBB16_2109
.LBB16_2070:
	s_or_b32 exec_lo, exec_lo, s0
	s_and_saveexec_b32 s0, s30
	s_delay_alu instid0(SALU_CYCLE_1)
	s_xor_b32 s0, exec_lo, s0
	s_cbranch_execz .LBB16_2069
.LBB16_2071:
	v_cmp_neq_f32_e32 vcc_lo, 0, v2
	s_waitcnt vmcnt(0)
	v_cndmask_b32_e64 v3, 0, 1, vcc_lo
	global_store_b8 v[0:1], v3, off
	s_or_b32 exec_lo, exec_lo, s0
	s_and_saveexec_b32 s0, s4
	s_cbranch_execz .LBB16_2109
.LBB16_2072:
	v_cmp_lt_i16_e64 s0, s2, 5
	s_delay_alu instid0(VALU_DEP_1)
	s_and_b32 vcc_lo, exec_lo, s0
	s_mov_b32 s0, -1
	s_cbranch_vccnz .LBB16_2093
; %bb.2073:
	v_cmp_lt_i16_e64 s0, s2, 8
	s_delay_alu instid0(VALU_DEP_1)
	s_and_b32 vcc_lo, exec_lo, s0
	s_mov_b32 s0, -1
	s_cbranch_vccnz .LBB16_2083
; %bb.2074:
	;; [unrolled: 6-line block ×3, first 2 shown]
	v_cmp_gt_i16_e64 s0, s2, 9
	s_delay_alu instid0(VALU_DEP_1)
	s_and_b32 vcc_lo, exec_lo, s0
	s_mov_b32 s0, -1
	s_cbranch_vccz .LBB16_2077
; %bb.2076:
	s_waitcnt vmcnt(0)
	v_cvt_f64_f32_e32 v[3:4], v2
	v_mov_b32_e32 v5, 0
	s_mov_b32 s0, 0
	s_delay_alu instid0(VALU_DEP_1)
	v_mov_b32_e32 v6, v5
	global_store_b128 v[0:1], v[3:6], off
.LBB16_2077:
	s_and_not1_b32 vcc_lo, exec_lo, s0
	s_cbranch_vccnz .LBB16_2079
; %bb.2078:
	s_waitcnt vmcnt(0)
	v_mov_b32_e32 v3, 0
	global_store_b64 v[0:1], v[2:3], off
.LBB16_2079:
	s_mov_b32 s0, 0
.LBB16_2080:
	s_delay_alu instid0(SALU_CYCLE_1)
	s_and_not1_b32 vcc_lo, exec_lo, s0
	s_cbranch_vccnz .LBB16_2082
; %bb.2081:
	s_waitcnt vmcnt(0)
	v_cvt_f16_f32_e32 v3, v2
	s_delay_alu instid0(VALU_DEP_1)
	v_and_b32_e32 v3, 0xffff, v3
	global_store_b32 v[0:1], v3, off
.LBB16_2082:
	s_mov_b32 s0, 0
.LBB16_2083:
	s_delay_alu instid0(SALU_CYCLE_1)
	s_and_not1_b32 vcc_lo, exec_lo, s0
	s_cbranch_vccnz .LBB16_2092
; %bb.2084:
	v_cmp_lt_i16_e64 s0, s2, 6
	s_delay_alu instid0(VALU_DEP_1)
	s_and_b32 vcc_lo, exec_lo, s0
	s_mov_b32 s0, -1
	s_cbranch_vccnz .LBB16_2090
; %bb.2085:
	v_cmp_gt_i16_e64 s0, s2, 6
	s_delay_alu instid0(VALU_DEP_1)
	s_and_b32 vcc_lo, exec_lo, s0
	s_mov_b32 s0, -1
	s_cbranch_vccz .LBB16_2087
; %bb.2086:
	s_waitcnt vmcnt(0)
	v_cvt_f64_f32_e32 v[3:4], v2
	s_mov_b32 s0, 0
	global_store_b64 v[0:1], v[3:4], off
.LBB16_2087:
	s_and_not1_b32 vcc_lo, exec_lo, s0
	s_cbranch_vccnz .LBB16_2089
; %bb.2088:
	global_store_b32 v[0:1], v2, off
.LBB16_2089:
	s_mov_b32 s0, 0
.LBB16_2090:
	s_delay_alu instid0(SALU_CYCLE_1)
	s_and_not1_b32 vcc_lo, exec_lo, s0
	s_cbranch_vccnz .LBB16_2092
; %bb.2091:
	s_waitcnt vmcnt(0)
	v_cvt_f16_f32_e32 v3, v2
	global_store_b16 v[0:1], v3, off
.LBB16_2092:
	s_mov_b32 s0, 0
.LBB16_2093:
	s_delay_alu instid0(SALU_CYCLE_1)
	s_and_not1_b32 vcc_lo, exec_lo, s0
	s_cbranch_vccnz .LBB16_2109
; %bb.2094:
	v_cmp_lt_i16_e64 s0, s2, 2
	s_delay_alu instid0(VALU_DEP_1)
	s_and_b32 vcc_lo, exec_lo, s0
	s_mov_b32 s0, -1
	s_cbranch_vccnz .LBB16_2104
; %bb.2095:
	v_cmp_lt_i16_e64 s0, s2, 3
	s_delay_alu instid0(VALU_DEP_1)
	s_and_b32 vcc_lo, exec_lo, s0
	s_mov_b32 s0, -1
	s_cbranch_vccnz .LBB16_2101
; %bb.2096:
	v_cmp_gt_i16_e64 s0, s2, 3
	s_delay_alu instid0(VALU_DEP_1)
	s_and_b32 vcc_lo, exec_lo, s0
	s_mov_b32 s0, -1
	s_cbranch_vccz .LBB16_2098
; %bb.2097:
	s_waitcnt vmcnt(0)
	v_trunc_f32_e32 v3, v2
	s_mov_b32 s0, 0
	s_delay_alu instid0(VALU_DEP_1) | instskip(SKIP_1) | instid1(VALU_DEP_2)
	v_mul_f32_e64 v4, 0x2f800000, |v3|
	v_ashrrev_i32_e32 v6, 31, v3
	v_floor_f32_e32 v4, v4
	s_delay_alu instid0(VALU_DEP_1) | instskip(SKIP_1) | instid1(VALU_DEP_2)
	v_fma_f32 v5, 0xcf800000, v4, |v3|
	v_cvt_u32_f32_e32 v4, v4
	v_cvt_u32_f32_e32 v3, v5
	s_delay_alu instid0(VALU_DEP_2) | instskip(NEXT) | instid1(VALU_DEP_2)
	v_xor_b32_e32 v4, v4, v6
	v_xor_b32_e32 v3, v3, v6
	s_delay_alu instid0(VALU_DEP_1) | instskip(NEXT) | instid1(VALU_DEP_3)
	v_sub_co_u32 v3, vcc_lo, v3, v6
	v_sub_co_ci_u32_e32 v4, vcc_lo, v4, v6, vcc_lo
	global_store_b64 v[0:1], v[3:4], off
.LBB16_2098:
	s_and_not1_b32 vcc_lo, exec_lo, s0
	s_cbranch_vccnz .LBB16_2100
; %bb.2099:
	s_waitcnt vmcnt(0)
	v_cvt_i32_f32_e32 v3, v2
	global_store_b32 v[0:1], v3, off
.LBB16_2100:
	s_mov_b32 s0, 0
.LBB16_2101:
	s_delay_alu instid0(SALU_CYCLE_1)
	s_and_not1_b32 vcc_lo, exec_lo, s0
	s_cbranch_vccnz .LBB16_2103
; %bb.2102:
	s_waitcnt vmcnt(0)
	v_cvt_i32_f32_e32 v3, v2
	global_store_b16 v[0:1], v3, off
.LBB16_2103:
	s_mov_b32 s0, 0
.LBB16_2104:
	s_delay_alu instid0(SALU_CYCLE_1)
	s_and_not1_b32 vcc_lo, exec_lo, s0
	s_cbranch_vccnz .LBB16_2109
; %bb.2105:
	v_cmp_gt_i16_e64 s0, s2, 0
	s_delay_alu instid0(VALU_DEP_1)
	s_and_b32 vcc_lo, exec_lo, s0
	s_mov_b32 s0, -1
	s_cbranch_vccz .LBB16_2107
; %bb.2106:
	s_waitcnt vmcnt(0)
	v_cvt_i32_f32_e32 v3, v2
	s_mov_b32 s0, 0
	global_store_b8 v[0:1], v3, off
.LBB16_2107:
	s_and_not1_b32 vcc_lo, exec_lo, s0
	s_cbranch_vccnz .LBB16_2109
; %bb.2108:
	v_trunc_f32_e32 v2, v2
	s_waitcnt vmcnt(0)
	s_delay_alu instid0(VALU_DEP_1) | instskip(NEXT) | instid1(VALU_DEP_1)
	v_mul_f32_e64 v3, 0x2f800000, |v2|
	v_floor_f32_e32 v3, v3
	s_delay_alu instid0(VALU_DEP_1) | instskip(SKIP_1) | instid1(VALU_DEP_2)
	v_fma_f32 v3, 0xcf800000, v3, |v2|
	v_ashrrev_i32_e32 v2, 31, v2
	v_cvt_u32_f32_e32 v3, v3
	s_delay_alu instid0(VALU_DEP_1) | instskip(NEXT) | instid1(VALU_DEP_1)
	v_xor_b32_e32 v3, v3, v2
	v_sub_nc_u32_e32 v2, v3, v2
	global_store_b8 v[0:1], v2, off
	s_nop 0
	s_sendmsg sendmsg(MSG_DEALLOC_VGPRS)
	s_endpgm
.LBB16_2109:
	s_nop 0
	s_sendmsg sendmsg(MSG_DEALLOC_VGPRS)
	s_endpgm
.LBB16_2110:
	s_mov_b32 s0, 0
	s_branch .LBB16_2131
.LBB16_2111:
	s_or_saveexec_b32 s8, s8
                                        ; implicit-def: $sgpr9
	s_delay_alu instid0(SALU_CYCLE_1)
	s_xor_b32 exec_lo, exec_lo, s8
	s_cbranch_execz .LBB16_1967
.LBB16_2112:
	v_add_f32_e64 v4, 0x46000000, |v3|
	s_and_not1_b32 s7, s7, exec_lo
	s_mov_b32 s9, 0
	s_delay_alu instid0(VALU_DEP_1) | instskip(NEXT) | instid1(VALU_DEP_1)
	v_and_b32_e32 v4, 0xff, v4
	v_cmp_ne_u32_e32 vcc_lo, 0, v4
	s_and_b32 s10, vcc_lo, exec_lo
	s_delay_alu instid0(SALU_CYCLE_1)
	s_or_b32 s7, s7, s10
	s_or_b32 exec_lo, exec_lo, s8
	v_mov_b32_e32 v5, s9
	s_and_saveexec_b32 s8, s7
	s_cbranch_execnz .LBB16_1968
	s_branch .LBB16_1969
.LBB16_2113:
	s_mov_b32 s0, 0
	s_branch .LBB16_2127
.LBB16_2114:
	s_trap 2
	s_sendmsg_rtn_b32 s0, sendmsg(MSG_RTN_GET_DOORBELL)
	s_mov_b32 ttmp2, m0
	s_waitcnt lgkmcnt(0)
	s_and_b32 s0, s0, 0x3ff
	s_delay_alu instid0(SALU_CYCLE_1) | instskip(NEXT) | instid1(SALU_CYCLE_1)
	s_bitset1_b32 s0, 10
	s_mov_b32 m0, s0
	s_sendmsg sendmsg(MSG_INTERRUPT)
	s_mov_b32 m0, ttmp2
.LBB16_2115:                            ; =>This Inner Loop Header: Depth=1
	s_sethalt 5
	s_branch .LBB16_2115
.LBB16_2116:
	s_cbranch_execnz .LBB16_2191
; %bb.2117:
	s_or_b32 s1, s1, exec_lo
	s_cbranch_execz .LBB16_2015
	s_branch .LBB16_2016
.LBB16_2118:
	s_or_saveexec_b32 s7, s7
                                        ; implicit-def: $sgpr8
	s_delay_alu instid0(SALU_CYCLE_1)
	s_xor_b32 exec_lo, exec_lo, s7
	s_cbranch_execz .LBB16_1980
.LBB16_2119:
	v_add_f32_e64 v4, 0x42800000, |v3|
	s_and_not1_b32 s6, s6, exec_lo
	s_mov_b32 s8, 0
	s_delay_alu instid0(VALU_DEP_1) | instskip(NEXT) | instid1(VALU_DEP_1)
	v_and_b32_e32 v4, 0xff, v4
	v_cmp_ne_u32_e32 vcc_lo, 0, v4
	s_and_b32 s9, vcc_lo, exec_lo
	s_delay_alu instid0(SALU_CYCLE_1)
	s_or_b32 s6, s6, s9
	s_or_b32 exec_lo, exec_lo, s7
	v_mov_b32_e32 v5, s8
	s_and_saveexec_b32 s7, s6
	s_cbranch_execnz .LBB16_1981
	s_branch .LBB16_1982
.LBB16_2120:
	s_mov_b32 s0, 0
.LBB16_2121:
	s_and_b32 vcc_lo, exec_lo, s4
	s_cbranch_vccz .LBB16_2126
; %bb.2122:
	v_cmp_eq_u16_e64 s0, s2, 44
	s_delay_alu instid0(VALU_DEP_1)
	s_and_b32 vcc_lo, exec_lo, s0
	s_mov_b32 s0, -1
	s_cbranch_vccz .LBB16_2126
; %bb.2123:
	v_bfe_u32 v4, v2, 23, 8
	v_mov_b32_e32 v3, 0xff
	s_mov_b32 s4, exec_lo
	s_delay_alu instid0(VALU_DEP_2)
	v_cmpx_ne_u32_e32 0xff, v4
; %bb.2124:
	v_and_b32_e32 v3, 0x400000, v2
	v_and_or_b32 v4, 0x3fffff, v2, v4
	s_delay_alu instid0(VALU_DEP_2) | instskip(NEXT) | instid1(VALU_DEP_2)
	v_cmp_ne_u32_e32 vcc_lo, 0, v3
	v_cmp_ne_u32_e64 s0, 0, v4
	v_lshrrev_b32_e32 v3, 23, v2
	s_delay_alu instid0(VALU_DEP_2) | instskip(NEXT) | instid1(SALU_CYCLE_1)
	s_and_b32 s0, vcc_lo, s0
	v_cndmask_b32_e64 v4, 0, 1, s0
	s_delay_alu instid0(VALU_DEP_1)
	v_add_nc_u32_e32 v3, v3, v4
; %bb.2125:
	s_or_b32 exec_lo, exec_lo, s4
	s_mov_b32 s0, 0
	global_store_b8 v[0:1], v3, off
.LBB16_2126:
	s_mov_b32 s4, 0
.LBB16_2127:
	s_delay_alu instid0(SALU_CYCLE_1)
	s_and_b32 vcc_lo, exec_lo, s4
	s_cbranch_vccz .LBB16_2130
; %bb.2128:
	v_cmp_eq_u16_e64 s0, s2, 29
	s_delay_alu instid0(VALU_DEP_1)
	s_and_b32 vcc_lo, exec_lo, s0
	s_mov_b32 s0, -1
	s_cbranch_vccz .LBB16_2130
; %bb.2129:
	v_trunc_f32_e32 v3, v2
	s_mov_b32 s0, 0
	s_delay_alu instid0(VALU_DEP_1) | instskip(NEXT) | instid1(VALU_DEP_1)
	v_mul_f32_e32 v4, 0x2f800000, v3
	v_floor_f32_e32 v4, v4
	s_delay_alu instid0(VALU_DEP_1) | instskip(SKIP_1) | instid1(VALU_DEP_2)
	v_fmamk_f32 v3, v4, 0xcf800000, v3
	v_cvt_u32_f32_e32 v4, v4
	v_cvt_u32_f32_e32 v3, v3
	global_store_b64 v[0:1], v[3:4], off
.LBB16_2130:
	s_mov_b32 s4, 0
.LBB16_2131:
	s_delay_alu instid0(SALU_CYCLE_1)
	s_and_b32 vcc_lo, exec_lo, s4
	s_cbranch_vccz .LBB16_2146
; %bb.2132:
	v_cmp_lt_i16_e64 s4, s2, 27
	s_delay_alu instid0(VALU_DEP_1)
	s_and_b32 vcc_lo, exec_lo, s4
	s_mov_b32 s4, -1
	s_cbranch_vccnz .LBB16_2138
; %bb.2133:
	v_cmp_gt_i16_e64 s4, s2, 27
	v_cvt_u32_f32_e32 v3, v2
	s_delay_alu instid0(VALU_DEP_2)
	s_and_b32 vcc_lo, exec_lo, s4
	s_mov_b32 s4, -1
	s_cbranch_vccz .LBB16_2135
; %bb.2134:
	s_mov_b32 s4, 0
	global_store_b32 v[0:1], v3, off
.LBB16_2135:
	s_and_not1_b32 vcc_lo, exec_lo, s4
	s_cbranch_vccnz .LBB16_2137
; %bb.2136:
	global_store_b16 v[0:1], v3, off
.LBB16_2137:
	s_mov_b32 s4, 0
.LBB16_2138:
	s_delay_alu instid0(SALU_CYCLE_1)
	s_and_not1_b32 vcc_lo, exec_lo, s4
	s_cbranch_vccnz .LBB16_2146
; %bb.2139:
	v_and_b32_e32 v3, 0x7fffffff, v2
	v_mov_b32_e32 v4, 0x80
	s_mov_b32 s4, exec_lo
	s_delay_alu instid0(VALU_DEP_2)
	v_cmpx_gt_u32_e32 0x43800000, v3
	s_cbranch_execz .LBB16_2145
; %bb.2140:
	v_cmp_lt_u32_e32 vcc_lo, 0x3bffffff, v3
	s_mov_b32 s5, 0
                                        ; implicit-def: $vgpr3
	s_and_saveexec_b32 s6, vcc_lo
	s_delay_alu instid0(SALU_CYCLE_1)
	s_xor_b32 s6, exec_lo, s6
	s_cbranch_execz .LBB16_2189
; %bb.2141:
	v_bfe_u32 v3, v2, 20, 1
	s_mov_b32 s5, exec_lo
	s_delay_alu instid0(VALU_DEP_1) | instskip(NEXT) | instid1(VALU_DEP_1)
	v_add3_u32 v3, v2, v3, 0x487ffff
	v_lshrrev_b32_e32 v3, 20, v3
	s_or_saveexec_b32 s6, s6
                                        ; implicit-def: $sgpr7
	s_delay_alu instid0(SALU_CYCLE_1)
	s_xor_b32 exec_lo, exec_lo, s6
	s_cbranch_execnz .LBB16_2190
.LBB16_2142:
	s_or_b32 exec_lo, exec_lo, s6
	v_mov_b32_e32 v4, s7
	s_and_saveexec_b32 s6, s5
.LBB16_2143:
	v_lshrrev_b32_e32 v4, 24, v2
	s_delay_alu instid0(VALU_DEP_1)
	v_and_or_b32 v4, 0x80, v4, v3
.LBB16_2144:
	s_or_b32 exec_lo, exec_lo, s6
.LBB16_2145:
	s_delay_alu instid0(SALU_CYCLE_1)
	s_or_b32 exec_lo, exec_lo, s4
	global_store_b8 v[0:1], v4, off
.LBB16_2146:
	s_mov_b32 s4, 0
.LBB16_2147:
	s_delay_alu instid0(SALU_CYCLE_1)
	s_and_b32 vcc_lo, exec_lo, s4
	s_cbranch_vccz .LBB16_2187
; %bb.2148:
	v_cmp_gt_i16_e64 s3, s2, 22
	s_delay_alu instid0(VALU_DEP_1)
	s_and_b32 vcc_lo, exec_lo, s3
	s_mov_b32 s3, -1
	s_cbranch_vccz .LBB16_2180
; %bb.2149:
	v_cmp_lt_i16_e64 s3, s2, 24
	s_delay_alu instid0(VALU_DEP_1)
	s_and_b32 vcc_lo, exec_lo, s3
	s_mov_b32 s3, -1
	s_cbranch_vccnz .LBB16_2169
; %bb.2150:
	v_cmp_gt_i16_e64 s3, s2, 24
	s_delay_alu instid0(VALU_DEP_1)
	s_and_b32 vcc_lo, exec_lo, s3
	s_mov_b32 s3, -1
	s_cbranch_vccz .LBB16_2158
; %bb.2151:
	v_and_b32_e32 v3, 0x7fffffff, v2
	v_mov_b32_e32 v4, 0x80
	s_mov_b32 s3, exec_lo
	s_delay_alu instid0(VALU_DEP_2)
	v_cmpx_gt_u32_e32 0x47800000, v3
	s_cbranch_execz .LBB16_2157
; %bb.2152:
	v_cmp_lt_u32_e32 vcc_lo, 0x37ffffff, v3
	s_mov_b32 s4, 0
                                        ; implicit-def: $vgpr3
	s_and_saveexec_b32 s5, vcc_lo
	s_delay_alu instid0(SALU_CYCLE_1)
	s_xor_b32 s5, exec_lo, s5
	s_cbranch_execz .LBB16_2195
; %bb.2153:
	v_bfe_u32 v3, v2, 21, 1
	s_mov_b32 s4, exec_lo
	s_delay_alu instid0(VALU_DEP_1) | instskip(NEXT) | instid1(VALU_DEP_1)
	v_add3_u32 v3, v2, v3, 0x88fffff
	v_lshrrev_b32_e32 v3, 21, v3
	s_or_saveexec_b32 s5, s5
                                        ; implicit-def: $sgpr6
	s_delay_alu instid0(SALU_CYCLE_1)
	s_xor_b32 exec_lo, exec_lo, s5
	s_cbranch_execnz .LBB16_2196
.LBB16_2154:
	s_or_b32 exec_lo, exec_lo, s5
	v_mov_b32_e32 v4, s6
	s_and_saveexec_b32 s5, s4
.LBB16_2155:
	v_lshrrev_b32_e32 v4, 24, v2
	s_delay_alu instid0(VALU_DEP_1)
	v_and_or_b32 v4, 0x80, v4, v3
.LBB16_2156:
	s_or_b32 exec_lo, exec_lo, s5
.LBB16_2157:
	s_delay_alu instid0(SALU_CYCLE_1)
	s_or_b32 exec_lo, exec_lo, s3
	s_mov_b32 s3, 0
	global_store_b8 v[0:1], v4, off
.LBB16_2158:
	s_and_b32 vcc_lo, exec_lo, s3
	s_cbranch_vccz .LBB16_2168
; %bb.2159:
	v_and_b32_e32 v4, 0x7fffffff, v2
	s_mov_b32 s3, exec_lo
                                        ; implicit-def: $vgpr3
	s_delay_alu instid0(VALU_DEP_1)
	v_cmpx_gt_u32_e32 0x43f00000, v4
	s_xor_b32 s3, exec_lo, s3
	s_cbranch_execz .LBB16_2165
; %bb.2160:
	s_mov_b32 s4, exec_lo
                                        ; implicit-def: $vgpr3
	v_cmpx_lt_u32_e32 0x3c7fffff, v4
	s_xor_b32 s4, exec_lo, s4
; %bb.2161:
	v_bfe_u32 v3, v2, 20, 1
	s_delay_alu instid0(VALU_DEP_1) | instskip(NEXT) | instid1(VALU_DEP_1)
	v_add3_u32 v3, v2, v3, 0x407ffff
	v_and_b32_e32 v4, 0xff00000, v3
	v_lshrrev_b32_e32 v3, 20, v3
	s_delay_alu instid0(VALU_DEP_2) | instskip(NEXT) | instid1(VALU_DEP_2)
	v_cmp_ne_u32_e32 vcc_lo, 0x7f00000, v4
	v_cndmask_b32_e32 v3, 0x7e, v3, vcc_lo
; %bb.2162:
	s_and_not1_saveexec_b32 s4, s4
; %bb.2163:
	v_add_f32_e64 v3, 0x46800000, |v2|
; %bb.2164:
	s_or_b32 exec_lo, exec_lo, s4
                                        ; implicit-def: $vgpr4
.LBB16_2165:
	s_and_not1_saveexec_b32 s3, s3
; %bb.2166:
	v_mov_b32_e32 v3, 0x7f
	v_cmp_lt_u32_e32 vcc_lo, 0x7f800000, v4
	s_delay_alu instid0(VALU_DEP_2)
	v_cndmask_b32_e32 v3, 0x7e, v3, vcc_lo
; %bb.2167:
	s_or_b32 exec_lo, exec_lo, s3
	v_lshrrev_b32_e32 v4, 24, v2
	s_delay_alu instid0(VALU_DEP_1)
	v_and_or_b32 v3, 0x80, v4, v3
	global_store_b8 v[0:1], v3, off
.LBB16_2168:
	s_mov_b32 s3, 0
.LBB16_2169:
	s_delay_alu instid0(SALU_CYCLE_1)
	s_and_not1_b32 vcc_lo, exec_lo, s3
	s_cbranch_vccnz .LBB16_2179
; %bb.2170:
	v_and_b32_e32 v4, 0x7fffffff, v2
	s_mov_b32 s3, exec_lo
                                        ; implicit-def: $vgpr3
	s_delay_alu instid0(VALU_DEP_1)
	v_cmpx_gt_u32_e32 0x47800000, v4
	s_xor_b32 s3, exec_lo, s3
	s_cbranch_execz .LBB16_2176
; %bb.2171:
	s_mov_b32 s4, exec_lo
                                        ; implicit-def: $vgpr3
	v_cmpx_lt_u32_e32 0x387fffff, v4
	s_xor_b32 s4, exec_lo, s4
; %bb.2172:
	v_bfe_u32 v3, v2, 21, 1
	s_delay_alu instid0(VALU_DEP_1) | instskip(NEXT) | instid1(VALU_DEP_1)
	v_add3_u32 v3, v2, v3, 0x80fffff
	v_lshrrev_b32_e32 v3, 21, v3
; %bb.2173:
	s_and_not1_saveexec_b32 s4, s4
; %bb.2174:
	v_add_f32_e64 v3, 0x43000000, |v2|
; %bb.2175:
	s_or_b32 exec_lo, exec_lo, s4
                                        ; implicit-def: $vgpr4
.LBB16_2176:
	s_and_not1_saveexec_b32 s3, s3
; %bb.2177:
	v_mov_b32_e32 v3, 0x7f
	v_cmp_lt_u32_e32 vcc_lo, 0x7f800000, v4
	s_delay_alu instid0(VALU_DEP_2)
	v_cndmask_b32_e32 v3, 0x7c, v3, vcc_lo
; %bb.2178:
	s_or_b32 exec_lo, exec_lo, s3
	v_lshrrev_b32_e32 v4, 24, v2
	s_delay_alu instid0(VALU_DEP_1)
	v_and_or_b32 v3, 0x80, v4, v3
	global_store_b8 v[0:1], v3, off
.LBB16_2179:
	s_mov_b32 s3, 0
.LBB16_2180:
	s_delay_alu instid0(SALU_CYCLE_1)
	s_and_not1_b32 vcc_lo, exec_lo, s3
	s_mov_b32 s3, 0
	s_cbranch_vccnz .LBB16_2187
; %bb.2181:
	v_cmp_gt_i16_e64 s3, s2, 14
	s_delay_alu instid0(VALU_DEP_1)
	s_and_b32 vcc_lo, exec_lo, s3
	s_mov_b32 s3, -1
	s_cbranch_vccz .LBB16_2185
; %bb.2182:
	v_cmp_eq_u16_e64 s0, s2, 15
	s_delay_alu instid0(VALU_DEP_1)
	s_and_b32 vcc_lo, exec_lo, s0
	s_mov_b32 s0, -1
	s_cbranch_vccz .LBB16_2184
; %bb.2183:
	v_bfe_u32 v3, v2, 16, 1
	v_cmp_o_f32_e32 vcc_lo, v2, v2
	s_mov_b32 s0, 0
	s_delay_alu instid0(VALU_DEP_2) | instskip(NEXT) | instid1(VALU_DEP_1)
	v_add3_u32 v3, v2, v3, 0x7fff
	v_lshrrev_b32_e32 v3, 16, v3
	s_delay_alu instid0(VALU_DEP_1)
	v_cndmask_b32_e32 v3, 0x7fc0, v3, vcc_lo
	global_store_b16 v[0:1], v3, off
.LBB16_2184:
	s_mov_b32 s3, 0
.LBB16_2185:
	s_delay_alu instid0(SALU_CYCLE_1)
	s_and_b32 vcc_lo, exec_lo, s3
	s_mov_b32 s3, 0
	s_cbranch_vccz .LBB16_2187
; %bb.2186:
	v_cmp_ne_u16_e64 s0, s2, 11
	s_mov_b32 s3, -1
.LBB16_2187:
	s_delay_alu instid0(VALU_DEP_1)
	s_and_b32 vcc_lo, exec_lo, s0
	s_cbranch_vccnz .LBB16_2193
.LBB16_2188:
	s_mov_b32 s0, 0
	s_branch .LBB16_2066
.LBB16_2189:
	s_or_saveexec_b32 s6, s6
                                        ; implicit-def: $sgpr7
	s_delay_alu instid0(SALU_CYCLE_1)
	s_xor_b32 exec_lo, exec_lo, s6
	s_cbranch_execz .LBB16_2142
.LBB16_2190:
	v_add_f32_e64 v3, 0x46000000, |v2|
	s_and_not1_b32 s5, s5, exec_lo
	s_mov_b32 s7, 0
	s_delay_alu instid0(VALU_DEP_1) | instskip(NEXT) | instid1(VALU_DEP_1)
	v_and_b32_e32 v3, 0xff, v3
	v_cmp_ne_u32_e32 vcc_lo, 0, v3
	s_and_b32 s8, vcc_lo, exec_lo
	s_delay_alu instid0(SALU_CYCLE_1)
	s_or_b32 s5, s5, s8
	s_or_b32 exec_lo, exec_lo, s6
	v_mov_b32_e32 v4, s7
	s_and_saveexec_b32 s6, s5
	s_cbranch_execnz .LBB16_2143
	s_branch .LBB16_2144
.LBB16_2191:
	s_trap 2
	s_sendmsg_rtn_b32 s0, sendmsg(MSG_RTN_GET_DOORBELL)
	s_mov_b32 ttmp2, m0
	s_waitcnt lgkmcnt(0)
	s_and_b32 s0, s0, 0x3ff
	s_delay_alu instid0(SALU_CYCLE_1) | instskip(NEXT) | instid1(SALU_CYCLE_1)
	s_bitset1_b32 s0, 10
	s_mov_b32 m0, s0
	s_sendmsg sendmsg(MSG_INTERRUPT)
	s_mov_b32 m0, ttmp2
.LBB16_2192:                            ; =>This Inner Loop Header: Depth=1
	s_sethalt 5
	s_branch .LBB16_2192
.LBB16_2193:
	s_cbranch_execnz .LBB16_2197
; %bb.2194:
	s_mov_b32 s3, 0
	s_or_b32 s1, s1, exec_lo
	s_branch .LBB16_2188
.LBB16_2195:
	s_or_saveexec_b32 s5, s5
                                        ; implicit-def: $sgpr6
	s_delay_alu instid0(SALU_CYCLE_1)
	s_xor_b32 exec_lo, exec_lo, s5
	s_cbranch_execz .LBB16_2154
.LBB16_2196:
	v_add_f32_e64 v3, 0x42800000, |v2|
	s_and_not1_b32 s4, s4, exec_lo
	s_mov_b32 s6, 0
	s_delay_alu instid0(VALU_DEP_1) | instskip(NEXT) | instid1(VALU_DEP_1)
	v_and_b32_e32 v3, 0xff, v3
	v_cmp_ne_u32_e32 vcc_lo, 0, v3
	s_and_b32 s7, vcc_lo, exec_lo
	s_delay_alu instid0(SALU_CYCLE_1)
	s_or_b32 s4, s4, s7
	s_or_b32 exec_lo, exec_lo, s5
	v_mov_b32_e32 v4, s6
	s_and_saveexec_b32 s5, s4
	s_cbranch_execnz .LBB16_2155
	s_branch .LBB16_2156
.LBB16_2197:
	s_trap 2
	s_sendmsg_rtn_b32 s0, sendmsg(MSG_RTN_GET_DOORBELL)
	s_mov_b32 ttmp2, m0
	s_waitcnt lgkmcnt(0)
	s_and_b32 s0, s0, 0x3ff
	s_delay_alu instid0(SALU_CYCLE_1) | instskip(NEXT) | instid1(SALU_CYCLE_1)
	s_bitset1_b32 s0, 10
	s_mov_b32 m0, s0
	s_sendmsg sendmsg(MSG_INTERRUPT)
	s_mov_b32 m0, ttmp2
.LBB16_2198:                            ; =>This Inner Loop Header: Depth=1
	s_sethalt 5
	s_branch .LBB16_2198
	.section	.rodata,"a",@progbits
	.p2align	6, 0x0
	.amdhsa_kernel _ZN2at6native32elementwise_kernel_manual_unrollILi128ELi4EZNS0_15gpu_kernel_implIZZZNS0_12_GLOBAL__N_139_amp_non_finite_check_and_unscale_cuda_ERNS_6TensorES5_RKS4_ENKUlvE_clEvENKUlvE0_clEvEUlfE_EEvRNS_18TensorIteratorBaseERKT_EUlibE0_EEviT1_
		.amdhsa_group_segment_fixed_size 0
		.amdhsa_private_segment_fixed_size 0
		.amdhsa_kernarg_size 376
		.amdhsa_user_sgpr_count 15
		.amdhsa_user_sgpr_dispatch_ptr 0
		.amdhsa_user_sgpr_queue_ptr 0
		.amdhsa_user_sgpr_kernarg_segment_ptr 1
		.amdhsa_user_sgpr_dispatch_id 0
		.amdhsa_user_sgpr_private_segment_size 0
		.amdhsa_wavefront_size32 1
		.amdhsa_uses_dynamic_stack 0
		.amdhsa_enable_private_segment 0
		.amdhsa_system_sgpr_workgroup_id_x 1
		.amdhsa_system_sgpr_workgroup_id_y 0
		.amdhsa_system_sgpr_workgroup_id_z 0
		.amdhsa_system_sgpr_workgroup_info 0
		.amdhsa_system_vgpr_workitem_id 0
		.amdhsa_next_free_vgpr 20
		.amdhsa_next_free_sgpr 72
		.amdhsa_reserve_vcc 1
		.amdhsa_float_round_mode_32 0
		.amdhsa_float_round_mode_16_64 0
		.amdhsa_float_denorm_mode_32 3
		.amdhsa_float_denorm_mode_16_64 3
		.amdhsa_dx10_clamp 1
		.amdhsa_ieee_mode 1
		.amdhsa_fp16_overflow 0
		.amdhsa_workgroup_processor_mode 1
		.amdhsa_memory_ordered 1
		.amdhsa_forward_progress 0
		.amdhsa_shared_vgpr_count 0
		.amdhsa_exception_fp_ieee_invalid_op 0
		.amdhsa_exception_fp_denorm_src 0
		.amdhsa_exception_fp_ieee_div_zero 0
		.amdhsa_exception_fp_ieee_overflow 0
		.amdhsa_exception_fp_ieee_underflow 0
		.amdhsa_exception_fp_ieee_inexact 0
		.amdhsa_exception_int_div_zero 0
	.end_amdhsa_kernel
	.section	.text._ZN2at6native32elementwise_kernel_manual_unrollILi128ELi4EZNS0_15gpu_kernel_implIZZZNS0_12_GLOBAL__N_139_amp_non_finite_check_and_unscale_cuda_ERNS_6TensorES5_RKS4_ENKUlvE_clEvENKUlvE0_clEvEUlfE_EEvRNS_18TensorIteratorBaseERKT_EUlibE0_EEviT1_,"axG",@progbits,_ZN2at6native32elementwise_kernel_manual_unrollILi128ELi4EZNS0_15gpu_kernel_implIZZZNS0_12_GLOBAL__N_139_amp_non_finite_check_and_unscale_cuda_ERNS_6TensorES5_RKS4_ENKUlvE_clEvENKUlvE0_clEvEUlfE_EEvRNS_18TensorIteratorBaseERKT_EUlibE0_EEviT1_,comdat
.Lfunc_end16:
	.size	_ZN2at6native32elementwise_kernel_manual_unrollILi128ELi4EZNS0_15gpu_kernel_implIZZZNS0_12_GLOBAL__N_139_amp_non_finite_check_and_unscale_cuda_ERNS_6TensorES5_RKS4_ENKUlvE_clEvENKUlvE0_clEvEUlfE_EEvRNS_18TensorIteratorBaseERKT_EUlibE0_EEviT1_, .Lfunc_end16-_ZN2at6native32elementwise_kernel_manual_unrollILi128ELi4EZNS0_15gpu_kernel_implIZZZNS0_12_GLOBAL__N_139_amp_non_finite_check_and_unscale_cuda_ERNS_6TensorES5_RKS4_ENKUlvE_clEvENKUlvE0_clEvEUlfE_EEvRNS_18TensorIteratorBaseERKT_EUlibE0_EEviT1_
                                        ; -- End function
	.section	.AMDGPU.csdata,"",@progbits
; Kernel info:
; codeLenInByte = 43380
; NumSgprs: 74
; NumVgprs: 20
; ScratchSize: 0
; MemoryBound: 1
; FloatMode: 240
; IeeeMode: 1
; LDSByteSize: 0 bytes/workgroup (compile time only)
; SGPRBlocks: 9
; VGPRBlocks: 2
; NumSGPRsForWavesPerEU: 74
; NumVGPRsForWavesPerEU: 20
; Occupancy: 16
; WaveLimiterHint : 1
; COMPUTE_PGM_RSRC2:SCRATCH_EN: 0
; COMPUTE_PGM_RSRC2:USER_SGPR: 15
; COMPUTE_PGM_RSRC2:TRAP_HANDLER: 0
; COMPUTE_PGM_RSRC2:TGID_X_EN: 1
; COMPUTE_PGM_RSRC2:TGID_Y_EN: 0
; COMPUTE_PGM_RSRC2:TGID_Z_EN: 0
; COMPUTE_PGM_RSRC2:TIDIG_COMP_CNT: 0
	.section	.text._ZN2at6native29vectorized_elementwise_kernelILi16EZZZNS0_12_GLOBAL__N_139_amp_non_finite_check_and_unscale_cuda_ERNS_6TensorES4_RKS3_ENKUlvE_clEvENKUlvE1_clEvEUlN3c104HalfEE_St5arrayIPcLm2EEEEviT0_T1_,"axG",@progbits,_ZN2at6native29vectorized_elementwise_kernelILi16EZZZNS0_12_GLOBAL__N_139_amp_non_finite_check_and_unscale_cuda_ERNS_6TensorES4_RKS3_ENKUlvE_clEvENKUlvE1_clEvEUlN3c104HalfEE_St5arrayIPcLm2EEEEviT0_T1_,comdat
	.globl	_ZN2at6native29vectorized_elementwise_kernelILi16EZZZNS0_12_GLOBAL__N_139_amp_non_finite_check_and_unscale_cuda_ERNS_6TensorES4_RKS3_ENKUlvE_clEvENKUlvE1_clEvEUlN3c104HalfEE_St5arrayIPcLm2EEEEviT0_T1_ ; -- Begin function _ZN2at6native29vectorized_elementwise_kernelILi16EZZZNS0_12_GLOBAL__N_139_amp_non_finite_check_and_unscale_cuda_ERNS_6TensorES4_RKS3_ENKUlvE_clEvENKUlvE1_clEvEUlN3c104HalfEE_St5arrayIPcLm2EEEEviT0_T1_
	.p2align	8
	.type	_ZN2at6native29vectorized_elementwise_kernelILi16EZZZNS0_12_GLOBAL__N_139_amp_non_finite_check_and_unscale_cuda_ERNS_6TensorES4_RKS3_ENKUlvE_clEvENKUlvE1_clEvEUlN3c104HalfEE_St5arrayIPcLm2EEEEviT0_T1_,@function
_ZN2at6native29vectorized_elementwise_kernelILi16EZZZNS0_12_GLOBAL__N_139_amp_non_finite_check_and_unscale_cuda_ERNS_6TensorES4_RKS3_ENKUlvE_clEvENKUlvE1_clEvEUlN3c104HalfEE_St5arrayIPcLm2EEEEviT0_T1_: ; @_ZN2at6native29vectorized_elementwise_kernelILi16EZZZNS0_12_GLOBAL__N_139_amp_non_finite_check_and_unscale_cuda_ERNS_6TensorES4_RKS3_ENKUlvE_clEvENKUlvE1_clEvEUlN3c104HalfEE_St5arrayIPcLm2EEEEviT0_T1_
; %bb.0:
	s_clause 0x1
	s_load_b32 s3, s[0:1], 0x0
	s_load_b256 s[4:11], s[0:1], 0x8
	s_lshl_b32 s2, s15, 11
	s_mov_b32 s0, -1
	s_waitcnt lgkmcnt(0)
	s_sub_i32 s12, s3, s2
	s_delay_alu instid0(SALU_CYCLE_1)
	s_cmpk_gt_i32 s12, 0x7ff
	s_cbranch_scc0 .LBB17_18
; %bb.1:
	s_ashr_i32 s3, s2, 31
	v_lshlrev_b32_e32 v5, 4, v0
	s_lshl_b64 s[0:1], s[2:3], 1
	v_mov_b32_e32 v7, 0
	s_add_u32 s14, s10, s0
	s_addc_u32 s15, s11, s1
	s_mov_b32 s3, exec_lo
	global_load_b128 v[1:4], v5, s[14:15]
	s_waitcnt vmcnt(0)
	v_cvt_f32_f16_e32 v6, v1
	s_delay_alu instid0(VALU_DEP_1)
	v_cmpx_nlg_f32_e64 0x7f800000, |v6|
	s_cbranch_execz .LBB17_3
; %bb.2:
	v_mov_b32_e32 v8, 1.0
	global_store_b32 v7, v8, s[4:5]
.LBB17_3:
	s_or_b32 exec_lo, exec_lo, s3
	global_load_b32 v7, v7, s[6:7]
	v_lshrrev_b32_e32 v8, 16, v1
	s_mov_b32 s3, exec_lo
	s_delay_alu instid0(VALU_DEP_1) | instskip(SKIP_2) | instid1(VALU_DEP_2)
	v_cvt_f32_f16_e32 v9, v8
	s_waitcnt vmcnt(0)
	v_mov_b32_e32 v10, v7
	v_cmpx_nlg_f32_e64 0x7f800000, |v9|
	s_cbranch_execz .LBB17_5
; %bb.4:
	v_dual_mov_b32 v10, 0 :: v_dual_mov_b32 v11, 1.0
	global_store_b32 v10, v11, s[4:5]
	global_load_b32 v10, v10, s[6:7]
.LBB17_5:
	s_or_b32 exec_lo, exec_lo, s3
	v_cvt_f32_f16_e32 v12, v2
	s_waitcnt vmcnt(0)
	v_mov_b32_e32 v11, v10
	s_mov_b32 s3, exec_lo
	s_delay_alu instid0(VALU_DEP_2)
	v_cmpx_nlg_f32_e64 0x7f800000, |v12|
	s_cbranch_execz .LBB17_7
; %bb.6:
	v_mov_b32_e32 v11, 0
	v_mov_b32_e32 v13, 1.0
	global_store_b32 v11, v13, s[4:5]
	global_load_b32 v11, v11, s[6:7]
.LBB17_7:
	s_or_b32 exec_lo, exec_lo, s3
	v_lshrrev_b32_e32 v13, 16, v2
	s_waitcnt vmcnt(0)
	v_mov_b32_e32 v15, v11
	s_mov_b32 s3, exec_lo
	s_delay_alu instid0(VALU_DEP_2) | instskip(NEXT) | instid1(VALU_DEP_1)
	v_cvt_f32_f16_e32 v14, v13
	v_cmpx_nlg_f32_e64 0x7f800000, |v14|
	s_cbranch_execz .LBB17_9
; %bb.8:
	v_dual_mov_b32 v15, 0 :: v_dual_mov_b32 v16, 1.0
	global_store_b32 v15, v16, s[4:5]
	global_load_b32 v15, v15, s[6:7]
.LBB17_9:
	s_or_b32 exec_lo, exec_lo, s3
	v_cvt_f32_f16_e32 v17, v3
	s_waitcnt vmcnt(0)
	v_mov_b32_e32 v16, v15
	s_mov_b32 s3, exec_lo
	s_delay_alu instid0(VALU_DEP_2)
	v_cmpx_nlg_f32_e64 0x7f800000, |v17|
	s_cbranch_execz .LBB17_11
; %bb.10:
	v_mov_b32_e32 v16, 0
	v_mov_b32_e32 v18, 1.0
	global_store_b32 v16, v18, s[4:5]
	global_load_b32 v16, v16, s[6:7]
.LBB17_11:
	s_or_b32 exec_lo, exec_lo, s3
	v_lshrrev_b32_e32 v18, 16, v3
	s_waitcnt vmcnt(0)
	v_mov_b32_e32 v20, v16
	s_mov_b32 s3, exec_lo
	s_delay_alu instid0(VALU_DEP_2) | instskip(NEXT) | instid1(VALU_DEP_1)
	v_cvt_f32_f16_e32 v19, v18
	v_cmpx_nlg_f32_e64 0x7f800000, |v19|
	s_cbranch_execz .LBB17_13
; %bb.12:
	v_dual_mov_b32 v20, 0 :: v_dual_mov_b32 v21, 1.0
	global_store_b32 v20, v21, s[4:5]
	global_load_b32 v20, v20, s[6:7]
.LBB17_13:
	s_or_b32 exec_lo, exec_lo, s3
	v_cvt_f32_f16_e32 v25, v4
	s_waitcnt vmcnt(0)
	v_mov_b32_e32 v24, v20
	s_mov_b32 s3, exec_lo
	s_delay_alu instid0(VALU_DEP_2)
	v_cmpx_nlg_f32_e64 0x7f800000, |v25|
	s_cbranch_execz .LBB17_15
; %bb.14:
	v_dual_mov_b32 v21, 0 :: v_dual_mov_b32 v22, 1.0
	global_store_b32 v21, v22, s[4:5]
	global_load_b32 v24, v21, s[6:7]
.LBB17_15:
	s_or_b32 exec_lo, exec_lo, s3
	v_lshrrev_b32_e32 v21, 16, v4
	s_waitcnt vmcnt(0)
	v_mov_b32_e32 v23, v24
	s_mov_b32 s3, exec_lo
	s_delay_alu instid0(VALU_DEP_2) | instskip(NEXT) | instid1(VALU_DEP_1)
	v_cvt_f32_f16_e32 v22, v21
	v_cmpx_nlg_f32_e64 0x7f800000, |v22|
	s_cbranch_execz .LBB17_17
; %bb.16:
	v_dual_mov_b32 v23, 0 :: v_dual_mov_b32 v26, 1.0
	global_store_b32 v23, v26, s[4:5]
	global_load_b32 v23, v23, s[6:7]
.LBB17_17:
	s_or_b32 exec_lo, exec_lo, s3
	v_fma_mixlo_f16 v25, v24, v25, 0
	v_cmp_eq_f32_e32 vcc_lo, 1.0, v24
	v_fma_mixlo_f16 v19, v20, v19, 0
	v_fma_mixlo_f16 v14, v15, v14, 0
	;; [unrolled: 1-line block ×4, first 2 shown]
	v_cndmask_b32_e32 v4, v25, v4, vcc_lo
	v_cmp_eq_f32_e32 vcc_lo, 1.0, v20
	v_fma_mixlo_f16 v9, v10, v9, 0
	v_fma_mixlo_f16 v6, v7, v6, 0
	s_add_u32 s14, s8, s0
	s_addc_u32 s15, s9, s1
	v_cndmask_b32_e32 v18, v19, v18, vcc_lo
	v_cmp_eq_f32_e32 vcc_lo, 1.0, v16
	s_mov_b32 s0, 0
	v_cndmask_b32_e32 v3, v17, v3, vcc_lo
	v_cmp_eq_f32_e32 vcc_lo, 1.0, v15
	s_delay_alu instid0(VALU_DEP_2)
	v_perm_b32 v3, v18, v3, 0x5040100
	v_cndmask_b32_e32 v13, v14, v13, vcc_lo
	v_cmp_eq_f32_e32 vcc_lo, 1.0, v11
	s_waitcnt vmcnt(0)
	v_fma_mixlo_f16 v14, v23, v22, 0
	v_cndmask_b32_e32 v2, v12, v2, vcc_lo
	v_cmp_eq_f32_e32 vcc_lo, 1.0, v23
	s_delay_alu instid0(VALU_DEP_3) | instskip(SKIP_1) | instid1(VALU_DEP_4)
	v_cndmask_b32_e32 v11, v14, v21, vcc_lo
	v_cmp_eq_f32_e32 vcc_lo, 1.0, v10
	v_perm_b32 v2, v13, v2, 0x5040100
	s_delay_alu instid0(VALU_DEP_3) | instskip(SKIP_3) | instid1(VALU_DEP_1)
	v_perm_b32 v4, v11, v4, 0x5040100
	v_cndmask_b32_e32 v8, v9, v8, vcc_lo
	v_cmp_eq_f32_e32 vcc_lo, 1.0, v7
	v_cndmask_b32_e32 v1, v6, v1, vcc_lo
	v_perm_b32 v1, v8, v1, 0x5040100
	global_store_b128 v5, v[1:4], s[14:15]
.LBB17_18:
	s_and_b32 vcc_lo, exec_lo, s0
	s_cbranch_vccz .LBB17_75
; %bb.19:
	v_cmp_gt_i32_e32 vcc_lo, s12, v0
	v_dual_mov_b32 v9, 0 :: v_dual_mov_b32 v8, 0
	v_or_b32_e32 v1, s2, v0
	v_or_b32_e32 v3, 0x100, v0
	v_mov_b32_e32 v5, v0
	s_and_saveexec_b32 s1, vcc_lo
	s_cbranch_execz .LBB17_21
; %bb.20:
	v_mov_b32_e32 v2, 0
	s_delay_alu instid0(VALU_DEP_1) | instskip(NEXT) | instid1(VALU_DEP_1)
	v_lshlrev_b64 v[4:5], 1, v[1:2]
	v_add_co_u32 v4, s0, s10, v4
	s_delay_alu instid0(VALU_DEP_1)
	v_add_co_ci_u32_e64 v5, s0, s11, v5, s0
	global_load_u16 v8, v[4:5], off
	v_or_b32_e32 v5, 0x100, v0
.LBB17_21:
	s_or_b32 exec_lo, exec_lo, s1
	s_delay_alu instid0(SALU_CYCLE_1) | instskip(NEXT) | instid1(VALU_DEP_1)
	s_mov_b32 s1, exec_lo
	v_cmpx_gt_i32_e64 s12, v5
	s_cbranch_execz .LBB17_23
; %bb.22:
	v_dual_mov_b32 v7, 0 :: v_dual_add_nc_u32 v6, s2, v5
	v_add_nc_u32_e32 v5, 0x100, v5
	s_delay_alu instid0(VALU_DEP_2) | instskip(NEXT) | instid1(VALU_DEP_1)
	v_lshlrev_b64 v[6:7], 1, v[6:7]
	v_add_co_u32 v6, s0, s10, v6
	s_delay_alu instid0(VALU_DEP_1)
	v_add_co_ci_u32_e64 v7, s0, s11, v7, s0
	global_load_u16 v9, v[6:7], off
.LBB17_23:
	s_or_b32 exec_lo, exec_lo, s1
	v_dual_mov_b32 v6, 0 :: v_dual_mov_b32 v11, 0
	s_mov_b32 s1, exec_lo
	v_cmpx_gt_i32_e64 s12, v5
	s_cbranch_execz .LBB17_25
; %bb.24:
	v_dual_mov_b32 v11, 0 :: v_dual_add_nc_u32 v10, s2, v5
	v_add_nc_u32_e32 v5, 0x100, v5
	s_delay_alu instid0(VALU_DEP_2) | instskip(NEXT) | instid1(VALU_DEP_1)
	v_lshlrev_b64 v[10:11], 1, v[10:11]
	v_add_co_u32 v10, s0, s10, v10
	s_delay_alu instid0(VALU_DEP_1)
	v_add_co_ci_u32_e64 v11, s0, s11, v11, s0
	global_load_u16 v11, v[10:11], off
.LBB17_25:
	s_or_b32 exec_lo, exec_lo, s1
	s_delay_alu instid0(SALU_CYCLE_1)
	s_mov_b32 s1, exec_lo
	v_cmpx_gt_i32_e64 s12, v5
	s_cbranch_execz .LBB17_27
; %bb.26:
	v_dual_mov_b32 v7, 0 :: v_dual_add_nc_u32 v6, s2, v5
	v_add_nc_u32_e32 v5, 0x100, v5
	s_delay_alu instid0(VALU_DEP_2) | instskip(NEXT) | instid1(VALU_DEP_1)
	v_lshlrev_b64 v[6:7], 1, v[6:7]
	v_add_co_u32 v6, s0, s10, v6
	s_delay_alu instid0(VALU_DEP_1)
	v_add_co_ci_u32_e64 v7, s0, s11, v7, s0
	global_load_u16 v6, v[6:7], off
.LBB17_27:
	s_or_b32 exec_lo, exec_lo, s1
	v_mov_b32_e32 v4, 0
	v_mov_b32_e32 v10, 0
	s_mov_b32 s1, exec_lo
	v_cmpx_gt_i32_e64 s12, v5
	s_cbranch_execz .LBB17_29
; %bb.28:
	v_dual_mov_b32 v13, 0 :: v_dual_add_nc_u32 v12, s2, v5
	v_add_nc_u32_e32 v5, 0x100, v5
	s_delay_alu instid0(VALU_DEP_2) | instskip(NEXT) | instid1(VALU_DEP_1)
	v_lshlrev_b64 v[12:13], 1, v[12:13]
	v_add_co_u32 v12, s0, s10, v12
	s_delay_alu instid0(VALU_DEP_1)
	v_add_co_ci_u32_e64 v13, s0, s11, v13, s0
	global_load_u16 v10, v[12:13], off
.LBB17_29:
	s_or_b32 exec_lo, exec_lo, s1
	s_delay_alu instid0(SALU_CYCLE_1)
	s_mov_b32 s1, exec_lo
	v_cmpx_gt_i32_e64 s12, v5
	s_cbranch_execz .LBB17_31
; %bb.30:
	v_dual_mov_b32 v13, 0 :: v_dual_add_nc_u32 v12, s2, v5
	v_add_nc_u32_e32 v5, 0x100, v5
	s_delay_alu instid0(VALU_DEP_2) | instskip(NEXT) | instid1(VALU_DEP_1)
	v_lshlrev_b64 v[12:13], 1, v[12:13]
	v_add_co_u32 v12, s0, s10, v12
	s_delay_alu instid0(VALU_DEP_1)
	v_add_co_ci_u32_e64 v13, s0, s11, v13, s0
	global_load_u16 v4, v[12:13], off
.LBB17_31:
	s_or_b32 exec_lo, exec_lo, s1
	v_dual_mov_b32 v2, 0 :: v_dual_mov_b32 v7, 0
	s_mov_b32 s1, exec_lo
	v_cmpx_gt_i32_e64 s12, v5
	s_cbranch_execz .LBB17_35
; %bb.32:
	v_dual_mov_b32 v13, 0 :: v_dual_add_nc_u32 v12, s2, v5
	v_add_nc_u32_e32 v5, 0x100, v5
	s_delay_alu instid0(VALU_DEP_2) | instskip(NEXT) | instid1(VALU_DEP_1)
	v_lshlrev_b64 v[12:13], 1, v[12:13]
	v_add_co_u32 v12, s0, s10, v12
	s_delay_alu instid0(VALU_DEP_1) | instskip(SKIP_2) | instid1(SALU_CYCLE_1)
	v_add_co_ci_u32_e64 v13, s0, s11, v13, s0
	global_load_u16 v7, v[12:13], off
	s_or_b32 exec_lo, exec_lo, s1
	s_mov_b32 s1, exec_lo
	v_cmpx_gt_i32_e64 s12, v5
	s_cbranch_execnz .LBB17_36
.LBB17_33:
	s_or_b32 exec_lo, exec_lo, s1
                                        ; implicit-def: $vgpr5
	s_and_saveexec_b32 s1, vcc_lo
	s_cbranch_execnz .LBB17_37
.LBB17_34:
	s_or_b32 exec_lo, exec_lo, s1
	s_delay_alu instid0(SALU_CYCLE_1)
	s_mov_b32 s1, exec_lo
                                        ; implicit-def: $vgpr8
	v_cmpx_gt_i32_e64 s12, v3
	s_cbranch_execz .LBB17_43
	s_branch .LBB17_40
.LBB17_35:
	s_or_b32 exec_lo, exec_lo, s1
	s_delay_alu instid0(SALU_CYCLE_1)
	s_mov_b32 s1, exec_lo
	v_cmpx_gt_i32_e64 s12, v5
	s_cbranch_execz .LBB17_33
.LBB17_36:
	v_dual_mov_b32 v13, 0 :: v_dual_add_nc_u32 v12, s2, v5
	s_delay_alu instid0(VALU_DEP_1) | instskip(NEXT) | instid1(VALU_DEP_1)
	v_lshlrev_b64 v[12:13], 1, v[12:13]
	v_add_co_u32 v12, s0, s10, v12
	s_delay_alu instid0(VALU_DEP_1)
	v_add_co_ci_u32_e64 v13, s0, s11, v13, s0
	global_load_u16 v2, v[12:13], off
	s_or_b32 exec_lo, exec_lo, s1
                                        ; implicit-def: $vgpr5
	s_and_saveexec_b32 s1, vcc_lo
	s_cbranch_execz .LBB17_34
.LBB17_37:
	s_waitcnt vmcnt(0)
	v_cvt_f32_f16_e32 v5, v8
	s_mov_b32 s0, exec_lo
	s_delay_alu instid0(VALU_DEP_1)
	v_cmpx_nlg_f32_e64 0x7f800000, |v5|
	s_cbranch_execz .LBB17_39
; %bb.38:
	v_dual_mov_b32 v12, 0 :: v_dual_mov_b32 v13, 1.0
	global_store_b32 v12, v13, s[4:5]
.LBB17_39:
	s_or_b32 exec_lo, exec_lo, s0
	v_mov_b32_e32 v12, 0
	global_load_b32 v12, v12, s[6:7]
	s_waitcnt vmcnt(0)
	v_fma_mixlo_f16 v5, v12, v5, 0
	v_cmp_eq_f32_e64 s0, 1.0, v12
	s_delay_alu instid0(VALU_DEP_1) | instskip(SKIP_1) | instid1(SALU_CYCLE_1)
	v_cndmask_b32_e64 v5, v5, v8, s0
	s_or_b32 exec_lo, exec_lo, s1
	s_mov_b32 s1, exec_lo
                                        ; implicit-def: $vgpr8
	v_cmpx_gt_i32_e64 s12, v3
	s_cbranch_execz .LBB17_43
.LBB17_40:
	s_waitcnt vmcnt(0)
	v_cvt_f32_f16_e32 v8, v9
	s_mov_b32 s0, exec_lo
	s_delay_alu instid0(VALU_DEP_1)
	v_cmpx_nlg_f32_e64 0x7f800000, |v8|
	s_cbranch_execz .LBB17_42
; %bb.41:
	v_dual_mov_b32 v12, 0 :: v_dual_mov_b32 v13, 1.0
	global_store_b32 v12, v13, s[4:5]
.LBB17_42:
	s_or_b32 exec_lo, exec_lo, s0
	v_mov_b32_e32 v12, 0
	global_load_b32 v12, v12, s[6:7]
	s_waitcnt vmcnt(0)
	v_fma_mixlo_f16 v8, v12, v8, 0
	v_cmp_eq_f32_e64 s0, 1.0, v12
	s_delay_alu instid0(VALU_DEP_1)
	v_cndmask_b32_e64 v8, v8, v9, s0
.LBB17_43:
	s_or_b32 exec_lo, exec_lo, s1
	s_waitcnt vmcnt(0)
	v_or_b32_e32 v9, 0x200, v0
	s_delay_alu instid0(VALU_DEP_1) | instskip(NEXT) | instid1(VALU_DEP_1)
	v_cmp_gt_i32_e64 s0, s12, v9
                                        ; implicit-def: $vgpr9
	s_and_saveexec_b32 s1, s0
	s_cbranch_execz .LBB17_47
; %bb.44:
	v_cvt_f32_f16_e32 v9, v11
	s_mov_b32 s0, exec_lo
	s_delay_alu instid0(VALU_DEP_1)
	v_cmpx_nlg_f32_e64 0x7f800000, |v9|
	s_cbranch_execz .LBB17_46
; %bb.45:
	v_dual_mov_b32 v12, 0 :: v_dual_mov_b32 v13, 1.0
	global_store_b32 v12, v13, s[4:5]
.LBB17_46:
	s_or_b32 exec_lo, exec_lo, s0
	v_mov_b32_e32 v12, 0
	global_load_b32 v12, v12, s[6:7]
	s_waitcnt vmcnt(0)
	v_fma_mixlo_f16 v9, v12, v9, 0
	v_cmp_eq_f32_e64 s0, 1.0, v12
	s_delay_alu instid0(VALU_DEP_1)
	v_cndmask_b32_e64 v9, v9, v11, s0
.LBB17_47:
	s_or_b32 exec_lo, exec_lo, s1
	v_or_b32_e32 v11, 0x300, v0
	s_delay_alu instid0(VALU_DEP_1) | instskip(NEXT) | instid1(VALU_DEP_1)
	v_cmp_gt_i32_e64 s0, s12, v11
                                        ; implicit-def: $vgpr11
	s_and_saveexec_b32 s1, s0
	s_cbranch_execz .LBB17_51
; %bb.48:
	v_cvt_f32_f16_e32 v11, v6
	s_mov_b32 s0, exec_lo
	s_delay_alu instid0(VALU_DEP_1)
	v_cmpx_nlg_f32_e64 0x7f800000, |v11|
	s_cbranch_execz .LBB17_50
; %bb.49:
	v_dual_mov_b32 v12, 0 :: v_dual_mov_b32 v13, 1.0
	global_store_b32 v12, v13, s[4:5]
.LBB17_50:
	s_or_b32 exec_lo, exec_lo, s0
	v_mov_b32_e32 v12, 0
	global_load_b32 v12, v12, s[6:7]
	s_waitcnt vmcnt(0)
	v_fma_mixlo_f16 v11, v12, v11, 0
	v_cmp_eq_f32_e64 s0, 1.0, v12
	s_delay_alu instid0(VALU_DEP_1)
	v_cndmask_b32_e64 v11, v11, v6, s0
.LBB17_51:
	s_or_b32 exec_lo, exec_lo, s1
	v_or_b32_e32 v6, 0x400, v0
	s_delay_alu instid0(VALU_DEP_1) | instskip(NEXT) | instid1(VALU_DEP_1)
	v_cmp_gt_i32_e64 s0, s12, v6
                                        ; implicit-def: $vgpr6
	s_and_saveexec_b32 s1, s0
	s_cbranch_execz .LBB17_55
; %bb.52:
	v_cvt_f32_f16_e32 v6, v10
	s_mov_b32 s0, exec_lo
	s_delay_alu instid0(VALU_DEP_1)
	v_cmpx_nlg_f32_e64 0x7f800000, |v6|
	s_cbranch_execz .LBB17_54
; %bb.53:
	v_dual_mov_b32 v12, 0 :: v_dual_mov_b32 v13, 1.0
	global_store_b32 v12, v13, s[4:5]
.LBB17_54:
	s_or_b32 exec_lo, exec_lo, s0
	v_mov_b32_e32 v12, 0
	global_load_b32 v12, v12, s[6:7]
	s_waitcnt vmcnt(0)
	v_fma_mixlo_f16 v6, v12, v6, 0
	v_cmp_eq_f32_e64 s0, 1.0, v12
	s_delay_alu instid0(VALU_DEP_1)
	v_cndmask_b32_e64 v6, v6, v10, s0
.LBB17_55:
	s_or_b32 exec_lo, exec_lo, s1
	v_or_b32_e32 v10, 0x500, v0
	s_delay_alu instid0(VALU_DEP_1) | instskip(NEXT) | instid1(VALU_DEP_1)
	v_cmp_gt_i32_e64 s0, s12, v10
                                        ; implicit-def: $vgpr10
	s_and_saveexec_b32 s1, s0
	s_cbranch_execz .LBB17_59
; %bb.56:
	v_cvt_f32_f16_e32 v10, v4
	s_mov_b32 s0, exec_lo
	s_delay_alu instid0(VALU_DEP_1)
	v_cmpx_nlg_f32_e64 0x7f800000, |v10|
	s_cbranch_execz .LBB17_58
; %bb.57:
	v_dual_mov_b32 v12, 0 :: v_dual_mov_b32 v13, 1.0
	global_store_b32 v12, v13, s[4:5]
.LBB17_58:
	s_or_b32 exec_lo, exec_lo, s0
	v_mov_b32_e32 v12, 0
	global_load_b32 v12, v12, s[6:7]
	s_waitcnt vmcnt(0)
	v_fma_mixlo_f16 v10, v12, v10, 0
	v_cmp_eq_f32_e64 s0, 1.0, v12
	s_delay_alu instid0(VALU_DEP_1)
	v_cndmask_b32_e64 v10, v10, v4, s0
.LBB17_59:
	s_or_b32 exec_lo, exec_lo, s1
	v_or_b32_e32 v4, 0x600, v0
	s_delay_alu instid0(VALU_DEP_1) | instskip(NEXT) | instid1(VALU_DEP_1)
	v_cmp_gt_i32_e64 s0, s12, v4
                                        ; implicit-def: $vgpr4
	s_and_saveexec_b32 s1, s0
	s_cbranch_execz .LBB17_63
; %bb.60:
	v_cvt_f32_f16_e32 v4, v7
	s_mov_b32 s0, exec_lo
	s_delay_alu instid0(VALU_DEP_1)
	v_cmpx_nlg_f32_e64 0x7f800000, |v4|
	s_cbranch_execz .LBB17_62
; %bb.61:
	v_dual_mov_b32 v12, 0 :: v_dual_mov_b32 v13, 1.0
	global_store_b32 v12, v13, s[4:5]
.LBB17_62:
	s_or_b32 exec_lo, exec_lo, s0
	v_mov_b32_e32 v12, 0
	global_load_b32 v12, v12, s[6:7]
	s_waitcnt vmcnt(0)
	v_fma_mixlo_f16 v4, v12, v4, 0
	v_cmp_eq_f32_e64 s0, 1.0, v12
	s_delay_alu instid0(VALU_DEP_1)
	v_cndmask_b32_e64 v4, v4, v7, s0
.LBB17_63:
	s_or_b32 exec_lo, exec_lo, s1
	v_or_b32_e32 v7, 0x700, v0
	s_delay_alu instid0(VALU_DEP_1) | instskip(NEXT) | instid1(VALU_DEP_1)
	v_cmp_gt_i32_e64 s0, s12, v7
                                        ; implicit-def: $vgpr7
	s_and_saveexec_b32 s1, s0
	s_cbranch_execz .LBB17_76
; %bb.64:
	v_cvt_f32_f16_e32 v7, v2
	s_mov_b32 s0, exec_lo
	s_delay_alu instid0(VALU_DEP_1)
	v_cmpx_nlg_f32_e64 0x7f800000, |v7|
	s_cbranch_execz .LBB17_66
; %bb.65:
	v_dual_mov_b32 v12, 0 :: v_dual_mov_b32 v13, 1.0
	global_store_b32 v12, v13, s[4:5]
.LBB17_66:
	s_or_b32 exec_lo, exec_lo, s0
	v_mov_b32_e32 v12, 0
	global_load_b32 v12, v12, s[6:7]
	s_waitcnt vmcnt(0)
	v_fma_mixlo_f16 v7, v12, v7, 0
	v_cmp_eq_f32_e64 s0, 1.0, v12
	s_delay_alu instid0(VALU_DEP_1) | instskip(SKIP_2) | instid1(SALU_CYCLE_1)
	v_cndmask_b32_e64 v7, v7, v2, s0
	s_or_b32 exec_lo, exec_lo, s1
	s_and_saveexec_b32 s0, vcc_lo
	s_xor_b32 s0, exec_lo, s0
	s_cbranch_execnz .LBB17_77
.LBB17_67:
	s_or_b32 exec_lo, exec_lo, s0
	s_delay_alu instid0(SALU_CYCLE_1)
	s_mov_b32 s0, exec_lo
	v_cmpx_gt_i32_e64 s12, v0
	s_cbranch_execz .LBB17_78
.LBB17_68:
	v_dual_mov_b32 v2, 0 :: v_dual_add_nc_u32 v1, s2, v0
	v_add_nc_u32_e32 v0, 0x100, v0
	s_delay_alu instid0(VALU_DEP_2) | instskip(NEXT) | instid1(VALU_DEP_1)
	v_lshlrev_b64 v[1:2], 1, v[1:2]
	v_add_co_u32 v1, vcc_lo, s8, v1
	s_delay_alu instid0(VALU_DEP_2) | instskip(SKIP_2) | instid1(SALU_CYCLE_1)
	v_add_co_ci_u32_e32 v2, vcc_lo, s9, v2, vcc_lo
	global_store_b16 v[1:2], v8, off
	s_or_b32 exec_lo, exec_lo, s0
	s_mov_b32 s0, exec_lo
	v_cmpx_gt_i32_e64 s12, v0
	s_cbranch_execnz .LBB17_79
.LBB17_69:
	s_or_b32 exec_lo, exec_lo, s0
	s_delay_alu instid0(SALU_CYCLE_1)
	s_mov_b32 s0, exec_lo
	v_cmpx_gt_i32_e64 s12, v0
	s_cbranch_execz .LBB17_80
.LBB17_70:
	v_dual_mov_b32 v2, 0 :: v_dual_add_nc_u32 v1, s2, v0
	v_add_nc_u32_e32 v0, 0x100, v0
	s_delay_alu instid0(VALU_DEP_2) | instskip(NEXT) | instid1(VALU_DEP_1)
	v_lshlrev_b64 v[1:2], 1, v[1:2]
	v_add_co_u32 v1, vcc_lo, s8, v1
	s_delay_alu instid0(VALU_DEP_2) | instskip(SKIP_2) | instid1(SALU_CYCLE_1)
	v_add_co_ci_u32_e32 v2, vcc_lo, s9, v2, vcc_lo
	global_store_b16 v[1:2], v11, off
	s_or_b32 exec_lo, exec_lo, s0
	s_mov_b32 s0, exec_lo
	v_cmpx_gt_i32_e64 s12, v0
	s_cbranch_execnz .LBB17_81
.LBB17_71:
	s_or_b32 exec_lo, exec_lo, s0
	s_delay_alu instid0(SALU_CYCLE_1)
	s_mov_b32 s0, exec_lo
	v_cmpx_gt_i32_e64 s12, v0
	s_cbranch_execz .LBB17_82
.LBB17_72:
	v_dual_mov_b32 v2, 0 :: v_dual_add_nc_u32 v1, s2, v0
	v_add_nc_u32_e32 v0, 0x100, v0
	s_delay_alu instid0(VALU_DEP_2) | instskip(NEXT) | instid1(VALU_DEP_1)
	v_lshlrev_b64 v[1:2], 1, v[1:2]
	v_add_co_u32 v1, vcc_lo, s8, v1
	s_delay_alu instid0(VALU_DEP_2) | instskip(SKIP_2) | instid1(SALU_CYCLE_1)
	v_add_co_ci_u32_e32 v2, vcc_lo, s9, v2, vcc_lo
	global_store_b16 v[1:2], v10, off
	s_or_b32 exec_lo, exec_lo, s0
	s_mov_b32 s0, exec_lo
	v_cmpx_gt_i32_e64 s12, v0
	s_cbranch_execnz .LBB17_83
.LBB17_73:
	s_or_b32 exec_lo, exec_lo, s0
	s_delay_alu instid0(SALU_CYCLE_1)
	s_mov_b32 s0, exec_lo
	v_cmpx_gt_i32_e64 s12, v0
	s_cbranch_execz .LBB17_75
.LBB17_74:
	v_dual_mov_b32 v1, 0 :: v_dual_add_nc_u32 v0, s2, v0
	s_delay_alu instid0(VALU_DEP_1) | instskip(NEXT) | instid1(VALU_DEP_1)
	v_lshlrev_b64 v[0:1], 1, v[0:1]
	v_add_co_u32 v0, vcc_lo, s8, v0
	s_delay_alu instid0(VALU_DEP_2)
	v_add_co_ci_u32_e32 v1, vcc_lo, s9, v1, vcc_lo
	global_store_b16 v[0:1], v7, off
.LBB17_75:
	s_nop 0
	s_sendmsg sendmsg(MSG_DEALLOC_VGPRS)
	s_endpgm
.LBB17_76:
	s_or_b32 exec_lo, exec_lo, s1
	s_and_saveexec_b32 s0, vcc_lo
	s_delay_alu instid0(SALU_CYCLE_1)
	s_xor_b32 s0, exec_lo, s0
	s_cbranch_execz .LBB17_67
.LBB17_77:
	v_mov_b32_e32 v2, 0
	s_delay_alu instid0(VALU_DEP_1) | instskip(NEXT) | instid1(VALU_DEP_1)
	v_lshlrev_b64 v[0:1], 1, v[1:2]
	v_add_co_u32 v12, vcc_lo, s8, v0
	s_delay_alu instid0(VALU_DEP_2) | instskip(SKIP_3) | instid1(SALU_CYCLE_1)
	v_add_co_ci_u32_e32 v13, vcc_lo, s9, v1, vcc_lo
	v_mov_b32_e32 v0, v3
	global_store_b16 v[12:13], v5, off
	s_or_b32 exec_lo, exec_lo, s0
	s_mov_b32 s0, exec_lo
	v_cmpx_gt_i32_e64 s12, v0
	s_cbranch_execnz .LBB17_68
.LBB17_78:
	s_or_b32 exec_lo, exec_lo, s0
	s_delay_alu instid0(SALU_CYCLE_1)
	s_mov_b32 s0, exec_lo
	v_cmpx_gt_i32_e64 s12, v0
	s_cbranch_execz .LBB17_69
.LBB17_79:
	v_dual_mov_b32 v2, 0 :: v_dual_add_nc_u32 v1, s2, v0
	v_add_nc_u32_e32 v0, 0x100, v0
	s_delay_alu instid0(VALU_DEP_2) | instskip(NEXT) | instid1(VALU_DEP_1)
	v_lshlrev_b64 v[1:2], 1, v[1:2]
	v_add_co_u32 v1, vcc_lo, s8, v1
	s_delay_alu instid0(VALU_DEP_2) | instskip(SKIP_2) | instid1(SALU_CYCLE_1)
	v_add_co_ci_u32_e32 v2, vcc_lo, s9, v2, vcc_lo
	global_store_b16 v[1:2], v9, off
	s_or_b32 exec_lo, exec_lo, s0
	s_mov_b32 s0, exec_lo
	v_cmpx_gt_i32_e64 s12, v0
	s_cbranch_execnz .LBB17_70
.LBB17_80:
	s_or_b32 exec_lo, exec_lo, s0
	s_delay_alu instid0(SALU_CYCLE_1)
	s_mov_b32 s0, exec_lo
	v_cmpx_gt_i32_e64 s12, v0
	s_cbranch_execz .LBB17_71
.LBB17_81:
	v_dual_mov_b32 v2, 0 :: v_dual_add_nc_u32 v1, s2, v0
	v_add_nc_u32_e32 v0, 0x100, v0
	s_delay_alu instid0(VALU_DEP_2) | instskip(NEXT) | instid1(VALU_DEP_1)
	v_lshlrev_b64 v[1:2], 1, v[1:2]
	v_add_co_u32 v1, vcc_lo, s8, v1
	s_delay_alu instid0(VALU_DEP_2) | instskip(SKIP_2) | instid1(SALU_CYCLE_1)
	v_add_co_ci_u32_e32 v2, vcc_lo, s9, v2, vcc_lo
	global_store_b16 v[1:2], v6, off
	s_or_b32 exec_lo, exec_lo, s0
	s_mov_b32 s0, exec_lo
	v_cmpx_gt_i32_e64 s12, v0
	s_cbranch_execnz .LBB17_72
.LBB17_82:
	s_or_b32 exec_lo, exec_lo, s0
	s_delay_alu instid0(SALU_CYCLE_1)
	s_mov_b32 s0, exec_lo
	v_cmpx_gt_i32_e64 s12, v0
	s_cbranch_execz .LBB17_73
.LBB17_83:
	v_dual_mov_b32 v2, 0 :: v_dual_add_nc_u32 v1, s2, v0
	v_add_nc_u32_e32 v0, 0x100, v0
	s_delay_alu instid0(VALU_DEP_2) | instskip(NEXT) | instid1(VALU_DEP_1)
	v_lshlrev_b64 v[1:2], 1, v[1:2]
	v_add_co_u32 v1, vcc_lo, s8, v1
	s_delay_alu instid0(VALU_DEP_2) | instskip(SKIP_2) | instid1(SALU_CYCLE_1)
	v_add_co_ci_u32_e32 v2, vcc_lo, s9, v2, vcc_lo
	global_store_b16 v[1:2], v4, off
	s_or_b32 exec_lo, exec_lo, s0
	s_mov_b32 s0, exec_lo
	v_cmpx_gt_i32_e64 s12, v0
	s_cbranch_execnz .LBB17_74
	s_branch .LBB17_75
	.section	.rodata,"a",@progbits
	.p2align	6, 0x0
	.amdhsa_kernel _ZN2at6native29vectorized_elementwise_kernelILi16EZZZNS0_12_GLOBAL__N_139_amp_non_finite_check_and_unscale_cuda_ERNS_6TensorES4_RKS3_ENKUlvE_clEvENKUlvE1_clEvEUlN3c104HalfEE_St5arrayIPcLm2EEEEviT0_T1_
		.amdhsa_group_segment_fixed_size 0
		.amdhsa_private_segment_fixed_size 0
		.amdhsa_kernarg_size 40
		.amdhsa_user_sgpr_count 15
		.amdhsa_user_sgpr_dispatch_ptr 0
		.amdhsa_user_sgpr_queue_ptr 0
		.amdhsa_user_sgpr_kernarg_segment_ptr 1
		.amdhsa_user_sgpr_dispatch_id 0
		.amdhsa_user_sgpr_private_segment_size 0
		.amdhsa_wavefront_size32 1
		.amdhsa_uses_dynamic_stack 0
		.amdhsa_enable_private_segment 0
		.amdhsa_system_sgpr_workgroup_id_x 1
		.amdhsa_system_sgpr_workgroup_id_y 0
		.amdhsa_system_sgpr_workgroup_id_z 0
		.amdhsa_system_sgpr_workgroup_info 0
		.amdhsa_system_vgpr_workitem_id 0
		.amdhsa_next_free_vgpr 27
		.amdhsa_next_free_sgpr 16
		.amdhsa_reserve_vcc 1
		.amdhsa_float_round_mode_32 0
		.amdhsa_float_round_mode_16_64 0
		.amdhsa_float_denorm_mode_32 3
		.amdhsa_float_denorm_mode_16_64 3
		.amdhsa_dx10_clamp 1
		.amdhsa_ieee_mode 1
		.amdhsa_fp16_overflow 0
		.amdhsa_workgroup_processor_mode 1
		.amdhsa_memory_ordered 1
		.amdhsa_forward_progress 0
		.amdhsa_shared_vgpr_count 0
		.amdhsa_exception_fp_ieee_invalid_op 0
		.amdhsa_exception_fp_denorm_src 0
		.amdhsa_exception_fp_ieee_div_zero 0
		.amdhsa_exception_fp_ieee_overflow 0
		.amdhsa_exception_fp_ieee_underflow 0
		.amdhsa_exception_fp_ieee_inexact 0
		.amdhsa_exception_int_div_zero 0
	.end_amdhsa_kernel
	.section	.text._ZN2at6native29vectorized_elementwise_kernelILi16EZZZNS0_12_GLOBAL__N_139_amp_non_finite_check_and_unscale_cuda_ERNS_6TensorES4_RKS3_ENKUlvE_clEvENKUlvE1_clEvEUlN3c104HalfEE_St5arrayIPcLm2EEEEviT0_T1_,"axG",@progbits,_ZN2at6native29vectorized_elementwise_kernelILi16EZZZNS0_12_GLOBAL__N_139_amp_non_finite_check_and_unscale_cuda_ERNS_6TensorES4_RKS3_ENKUlvE_clEvENKUlvE1_clEvEUlN3c104HalfEE_St5arrayIPcLm2EEEEviT0_T1_,comdat
.Lfunc_end17:
	.size	_ZN2at6native29vectorized_elementwise_kernelILi16EZZZNS0_12_GLOBAL__N_139_amp_non_finite_check_and_unscale_cuda_ERNS_6TensorES4_RKS3_ENKUlvE_clEvENKUlvE1_clEvEUlN3c104HalfEE_St5arrayIPcLm2EEEEviT0_T1_, .Lfunc_end17-_ZN2at6native29vectorized_elementwise_kernelILi16EZZZNS0_12_GLOBAL__N_139_amp_non_finite_check_and_unscale_cuda_ERNS_6TensorES4_RKS3_ENKUlvE_clEvENKUlvE1_clEvEUlN3c104HalfEE_St5arrayIPcLm2EEEEviT0_T1_
                                        ; -- End function
	.section	.AMDGPU.csdata,"",@progbits
; Kernel info:
; codeLenInByte = 3264
; NumSgprs: 18
; NumVgprs: 27
; ScratchSize: 0
; MemoryBound: 0
; FloatMode: 240
; IeeeMode: 1
; LDSByteSize: 0 bytes/workgroup (compile time only)
; SGPRBlocks: 2
; VGPRBlocks: 3
; NumSGPRsForWavesPerEU: 18
; NumVGPRsForWavesPerEU: 27
; Occupancy: 16
; WaveLimiterHint : 0
; COMPUTE_PGM_RSRC2:SCRATCH_EN: 0
; COMPUTE_PGM_RSRC2:USER_SGPR: 15
; COMPUTE_PGM_RSRC2:TRAP_HANDLER: 0
; COMPUTE_PGM_RSRC2:TGID_X_EN: 1
; COMPUTE_PGM_RSRC2:TGID_Y_EN: 0
; COMPUTE_PGM_RSRC2:TGID_Z_EN: 0
; COMPUTE_PGM_RSRC2:TIDIG_COMP_CNT: 0
	.section	.text._ZN2at6native29vectorized_elementwise_kernelILi8EZZZNS0_12_GLOBAL__N_139_amp_non_finite_check_and_unscale_cuda_ERNS_6TensorES4_RKS3_ENKUlvE_clEvENKUlvE1_clEvEUlN3c104HalfEE_St5arrayIPcLm2EEEEviT0_T1_,"axG",@progbits,_ZN2at6native29vectorized_elementwise_kernelILi8EZZZNS0_12_GLOBAL__N_139_amp_non_finite_check_and_unscale_cuda_ERNS_6TensorES4_RKS3_ENKUlvE_clEvENKUlvE1_clEvEUlN3c104HalfEE_St5arrayIPcLm2EEEEviT0_T1_,comdat
	.globl	_ZN2at6native29vectorized_elementwise_kernelILi8EZZZNS0_12_GLOBAL__N_139_amp_non_finite_check_and_unscale_cuda_ERNS_6TensorES4_RKS3_ENKUlvE_clEvENKUlvE1_clEvEUlN3c104HalfEE_St5arrayIPcLm2EEEEviT0_T1_ ; -- Begin function _ZN2at6native29vectorized_elementwise_kernelILi8EZZZNS0_12_GLOBAL__N_139_amp_non_finite_check_and_unscale_cuda_ERNS_6TensorES4_RKS3_ENKUlvE_clEvENKUlvE1_clEvEUlN3c104HalfEE_St5arrayIPcLm2EEEEviT0_T1_
	.p2align	8
	.type	_ZN2at6native29vectorized_elementwise_kernelILi8EZZZNS0_12_GLOBAL__N_139_amp_non_finite_check_and_unscale_cuda_ERNS_6TensorES4_RKS3_ENKUlvE_clEvENKUlvE1_clEvEUlN3c104HalfEE_St5arrayIPcLm2EEEEviT0_T1_,@function
_ZN2at6native29vectorized_elementwise_kernelILi8EZZZNS0_12_GLOBAL__N_139_amp_non_finite_check_and_unscale_cuda_ERNS_6TensorES4_RKS3_ENKUlvE_clEvENKUlvE1_clEvEUlN3c104HalfEE_St5arrayIPcLm2EEEEviT0_T1_: ; @_ZN2at6native29vectorized_elementwise_kernelILi8EZZZNS0_12_GLOBAL__N_139_amp_non_finite_check_and_unscale_cuda_ERNS_6TensorES4_RKS3_ENKUlvE_clEvENKUlvE1_clEvEUlN3c104HalfEE_St5arrayIPcLm2EEEEviT0_T1_
; %bb.0:
	s_clause 0x1
	s_load_b32 s3, s[0:1], 0x0
	s_load_b256 s[4:11], s[0:1], 0x8
	s_lshl_b32 s2, s15, 11
	s_mov_b32 s0, -1
	s_waitcnt lgkmcnt(0)
	s_sub_i32 s12, s3, s2
	s_delay_alu instid0(SALU_CYCLE_1)
	s_cmpk_gt_i32 s12, 0x7ff
	s_cbranch_scc0 .LBB18_18
; %bb.1:
	s_ashr_i32 s3, s2, 31
	v_lshlrev_b32_e32 v5, 4, v0
	s_lshl_b64 s[0:1], s[2:3], 1
	v_mov_b32_e32 v7, 0
	s_add_u32 s14, s10, s0
	s_addc_u32 s15, s11, s1
	s_mov_b32 s3, exec_lo
	global_load_b128 v[1:4], v5, s[14:15]
	s_waitcnt vmcnt(0)
	v_cvt_f32_f16_e32 v6, v1
	s_delay_alu instid0(VALU_DEP_1)
	v_cmpx_nlg_f32_e64 0x7f800000, |v6|
	s_cbranch_execz .LBB18_3
; %bb.2:
	v_mov_b32_e32 v8, 1.0
	global_store_b32 v7, v8, s[4:5]
.LBB18_3:
	s_or_b32 exec_lo, exec_lo, s3
	global_load_b32 v7, v7, s[6:7]
	v_lshrrev_b32_e32 v8, 16, v1
	s_mov_b32 s3, exec_lo
	s_delay_alu instid0(VALU_DEP_1) | instskip(SKIP_2) | instid1(VALU_DEP_2)
	v_cvt_f32_f16_e32 v9, v8
	s_waitcnt vmcnt(0)
	v_mov_b32_e32 v10, v7
	v_cmpx_nlg_f32_e64 0x7f800000, |v9|
	s_cbranch_execz .LBB18_5
; %bb.4:
	v_dual_mov_b32 v10, 0 :: v_dual_mov_b32 v11, 1.0
	global_store_b32 v10, v11, s[4:5]
	global_load_b32 v10, v10, s[6:7]
.LBB18_5:
	s_or_b32 exec_lo, exec_lo, s3
	v_cvt_f32_f16_e32 v12, v2
	s_waitcnt vmcnt(0)
	v_mov_b32_e32 v11, v10
	s_mov_b32 s3, exec_lo
	s_delay_alu instid0(VALU_DEP_2)
	v_cmpx_nlg_f32_e64 0x7f800000, |v12|
	s_cbranch_execz .LBB18_7
; %bb.6:
	v_mov_b32_e32 v11, 0
	v_mov_b32_e32 v13, 1.0
	global_store_b32 v11, v13, s[4:5]
	global_load_b32 v11, v11, s[6:7]
.LBB18_7:
	s_or_b32 exec_lo, exec_lo, s3
	v_lshrrev_b32_e32 v13, 16, v2
	s_waitcnt vmcnt(0)
	v_mov_b32_e32 v15, v11
	s_mov_b32 s3, exec_lo
	s_delay_alu instid0(VALU_DEP_2) | instskip(NEXT) | instid1(VALU_DEP_1)
	v_cvt_f32_f16_e32 v14, v13
	v_cmpx_nlg_f32_e64 0x7f800000, |v14|
	s_cbranch_execz .LBB18_9
; %bb.8:
	v_dual_mov_b32 v15, 0 :: v_dual_mov_b32 v16, 1.0
	global_store_b32 v15, v16, s[4:5]
	global_load_b32 v15, v15, s[6:7]
.LBB18_9:
	s_or_b32 exec_lo, exec_lo, s3
	v_cvt_f32_f16_e32 v17, v3
	s_waitcnt vmcnt(0)
	v_mov_b32_e32 v16, v15
	s_mov_b32 s3, exec_lo
	s_delay_alu instid0(VALU_DEP_2)
	v_cmpx_nlg_f32_e64 0x7f800000, |v17|
	s_cbranch_execz .LBB18_11
; %bb.10:
	v_mov_b32_e32 v16, 0
	v_mov_b32_e32 v18, 1.0
	global_store_b32 v16, v18, s[4:5]
	global_load_b32 v16, v16, s[6:7]
.LBB18_11:
	s_or_b32 exec_lo, exec_lo, s3
	v_lshrrev_b32_e32 v18, 16, v3
	s_waitcnt vmcnt(0)
	v_mov_b32_e32 v20, v16
	s_mov_b32 s3, exec_lo
	s_delay_alu instid0(VALU_DEP_2) | instskip(NEXT) | instid1(VALU_DEP_1)
	v_cvt_f32_f16_e32 v19, v18
	v_cmpx_nlg_f32_e64 0x7f800000, |v19|
	s_cbranch_execz .LBB18_13
; %bb.12:
	v_dual_mov_b32 v20, 0 :: v_dual_mov_b32 v21, 1.0
	global_store_b32 v20, v21, s[4:5]
	global_load_b32 v20, v20, s[6:7]
.LBB18_13:
	s_or_b32 exec_lo, exec_lo, s3
	v_cvt_f32_f16_e32 v25, v4
	s_waitcnt vmcnt(0)
	v_mov_b32_e32 v24, v20
	s_mov_b32 s3, exec_lo
	s_delay_alu instid0(VALU_DEP_2)
	v_cmpx_nlg_f32_e64 0x7f800000, |v25|
	s_cbranch_execz .LBB18_15
; %bb.14:
	v_dual_mov_b32 v21, 0 :: v_dual_mov_b32 v22, 1.0
	global_store_b32 v21, v22, s[4:5]
	global_load_b32 v24, v21, s[6:7]
.LBB18_15:
	s_or_b32 exec_lo, exec_lo, s3
	v_lshrrev_b32_e32 v21, 16, v4
	s_waitcnt vmcnt(0)
	v_mov_b32_e32 v23, v24
	s_mov_b32 s3, exec_lo
	s_delay_alu instid0(VALU_DEP_2) | instskip(NEXT) | instid1(VALU_DEP_1)
	v_cvt_f32_f16_e32 v22, v21
	v_cmpx_nlg_f32_e64 0x7f800000, |v22|
	s_cbranch_execz .LBB18_17
; %bb.16:
	v_dual_mov_b32 v23, 0 :: v_dual_mov_b32 v26, 1.0
	global_store_b32 v23, v26, s[4:5]
	global_load_b32 v23, v23, s[6:7]
.LBB18_17:
	s_or_b32 exec_lo, exec_lo, s3
	v_fma_mixlo_f16 v25, v24, v25, 0
	v_cmp_eq_f32_e32 vcc_lo, 1.0, v24
	v_fma_mixlo_f16 v19, v20, v19, 0
	v_fma_mixlo_f16 v14, v15, v14, 0
	;; [unrolled: 1-line block ×4, first 2 shown]
	v_cndmask_b32_e32 v4, v25, v4, vcc_lo
	v_cmp_eq_f32_e32 vcc_lo, 1.0, v20
	v_fma_mixlo_f16 v9, v10, v9, 0
	v_fma_mixlo_f16 v6, v7, v6, 0
	s_add_u32 s14, s8, s0
	s_addc_u32 s15, s9, s1
	v_cndmask_b32_e32 v18, v19, v18, vcc_lo
	v_cmp_eq_f32_e32 vcc_lo, 1.0, v16
	s_mov_b32 s0, 0
	v_cndmask_b32_e32 v3, v17, v3, vcc_lo
	v_cmp_eq_f32_e32 vcc_lo, 1.0, v15
	s_delay_alu instid0(VALU_DEP_2)
	v_perm_b32 v3, v18, v3, 0x5040100
	v_cndmask_b32_e32 v13, v14, v13, vcc_lo
	v_cmp_eq_f32_e32 vcc_lo, 1.0, v11
	s_waitcnt vmcnt(0)
	v_fma_mixlo_f16 v14, v23, v22, 0
	v_cndmask_b32_e32 v2, v12, v2, vcc_lo
	v_cmp_eq_f32_e32 vcc_lo, 1.0, v23
	s_delay_alu instid0(VALU_DEP_3) | instskip(SKIP_1) | instid1(VALU_DEP_4)
	v_cndmask_b32_e32 v11, v14, v21, vcc_lo
	v_cmp_eq_f32_e32 vcc_lo, 1.0, v10
	v_perm_b32 v2, v13, v2, 0x5040100
	s_delay_alu instid0(VALU_DEP_3) | instskip(SKIP_3) | instid1(VALU_DEP_1)
	v_perm_b32 v4, v11, v4, 0x5040100
	v_cndmask_b32_e32 v8, v9, v8, vcc_lo
	v_cmp_eq_f32_e32 vcc_lo, 1.0, v7
	v_cndmask_b32_e32 v1, v6, v1, vcc_lo
	v_perm_b32 v1, v8, v1, 0x5040100
	global_store_b128 v5, v[1:4], s[14:15]
.LBB18_18:
	s_and_b32 vcc_lo, exec_lo, s0
	s_cbranch_vccz .LBB18_75
; %bb.19:
	v_cmp_gt_i32_e32 vcc_lo, s12, v0
	v_dual_mov_b32 v9, 0 :: v_dual_mov_b32 v8, 0
	v_or_b32_e32 v1, s2, v0
	v_or_b32_e32 v3, 0x100, v0
	v_mov_b32_e32 v5, v0
	s_and_saveexec_b32 s1, vcc_lo
	s_cbranch_execz .LBB18_21
; %bb.20:
	v_mov_b32_e32 v2, 0
	s_delay_alu instid0(VALU_DEP_1) | instskip(NEXT) | instid1(VALU_DEP_1)
	v_lshlrev_b64 v[4:5], 1, v[1:2]
	v_add_co_u32 v4, s0, s10, v4
	s_delay_alu instid0(VALU_DEP_1)
	v_add_co_ci_u32_e64 v5, s0, s11, v5, s0
	global_load_u16 v8, v[4:5], off
	v_or_b32_e32 v5, 0x100, v0
.LBB18_21:
	s_or_b32 exec_lo, exec_lo, s1
	s_delay_alu instid0(SALU_CYCLE_1) | instskip(NEXT) | instid1(VALU_DEP_1)
	s_mov_b32 s1, exec_lo
	v_cmpx_gt_i32_e64 s12, v5
	s_cbranch_execz .LBB18_23
; %bb.22:
	v_dual_mov_b32 v7, 0 :: v_dual_add_nc_u32 v6, s2, v5
	v_add_nc_u32_e32 v5, 0x100, v5
	s_delay_alu instid0(VALU_DEP_2) | instskip(NEXT) | instid1(VALU_DEP_1)
	v_lshlrev_b64 v[6:7], 1, v[6:7]
	v_add_co_u32 v6, s0, s10, v6
	s_delay_alu instid0(VALU_DEP_1)
	v_add_co_ci_u32_e64 v7, s0, s11, v7, s0
	global_load_u16 v9, v[6:7], off
.LBB18_23:
	s_or_b32 exec_lo, exec_lo, s1
	v_dual_mov_b32 v6, 0 :: v_dual_mov_b32 v11, 0
	s_mov_b32 s1, exec_lo
	v_cmpx_gt_i32_e64 s12, v5
	s_cbranch_execz .LBB18_25
; %bb.24:
	v_dual_mov_b32 v11, 0 :: v_dual_add_nc_u32 v10, s2, v5
	v_add_nc_u32_e32 v5, 0x100, v5
	s_delay_alu instid0(VALU_DEP_2) | instskip(NEXT) | instid1(VALU_DEP_1)
	v_lshlrev_b64 v[10:11], 1, v[10:11]
	v_add_co_u32 v10, s0, s10, v10
	s_delay_alu instid0(VALU_DEP_1)
	v_add_co_ci_u32_e64 v11, s0, s11, v11, s0
	global_load_u16 v11, v[10:11], off
.LBB18_25:
	s_or_b32 exec_lo, exec_lo, s1
	s_delay_alu instid0(SALU_CYCLE_1)
	s_mov_b32 s1, exec_lo
	v_cmpx_gt_i32_e64 s12, v5
	s_cbranch_execz .LBB18_27
; %bb.26:
	v_dual_mov_b32 v7, 0 :: v_dual_add_nc_u32 v6, s2, v5
	v_add_nc_u32_e32 v5, 0x100, v5
	s_delay_alu instid0(VALU_DEP_2) | instskip(NEXT) | instid1(VALU_DEP_1)
	v_lshlrev_b64 v[6:7], 1, v[6:7]
	v_add_co_u32 v6, s0, s10, v6
	s_delay_alu instid0(VALU_DEP_1)
	v_add_co_ci_u32_e64 v7, s0, s11, v7, s0
	global_load_u16 v6, v[6:7], off
.LBB18_27:
	s_or_b32 exec_lo, exec_lo, s1
	v_mov_b32_e32 v4, 0
	v_mov_b32_e32 v10, 0
	s_mov_b32 s1, exec_lo
	v_cmpx_gt_i32_e64 s12, v5
	s_cbranch_execz .LBB18_29
; %bb.28:
	v_dual_mov_b32 v13, 0 :: v_dual_add_nc_u32 v12, s2, v5
	v_add_nc_u32_e32 v5, 0x100, v5
	s_delay_alu instid0(VALU_DEP_2) | instskip(NEXT) | instid1(VALU_DEP_1)
	v_lshlrev_b64 v[12:13], 1, v[12:13]
	v_add_co_u32 v12, s0, s10, v12
	s_delay_alu instid0(VALU_DEP_1)
	v_add_co_ci_u32_e64 v13, s0, s11, v13, s0
	global_load_u16 v10, v[12:13], off
.LBB18_29:
	s_or_b32 exec_lo, exec_lo, s1
	s_delay_alu instid0(SALU_CYCLE_1)
	s_mov_b32 s1, exec_lo
	v_cmpx_gt_i32_e64 s12, v5
	s_cbranch_execz .LBB18_31
; %bb.30:
	v_dual_mov_b32 v13, 0 :: v_dual_add_nc_u32 v12, s2, v5
	v_add_nc_u32_e32 v5, 0x100, v5
	s_delay_alu instid0(VALU_DEP_2) | instskip(NEXT) | instid1(VALU_DEP_1)
	v_lshlrev_b64 v[12:13], 1, v[12:13]
	v_add_co_u32 v12, s0, s10, v12
	s_delay_alu instid0(VALU_DEP_1)
	v_add_co_ci_u32_e64 v13, s0, s11, v13, s0
	global_load_u16 v4, v[12:13], off
.LBB18_31:
	s_or_b32 exec_lo, exec_lo, s1
	v_dual_mov_b32 v2, 0 :: v_dual_mov_b32 v7, 0
	s_mov_b32 s1, exec_lo
	v_cmpx_gt_i32_e64 s12, v5
	s_cbranch_execz .LBB18_35
; %bb.32:
	v_dual_mov_b32 v13, 0 :: v_dual_add_nc_u32 v12, s2, v5
	v_add_nc_u32_e32 v5, 0x100, v5
	s_delay_alu instid0(VALU_DEP_2) | instskip(NEXT) | instid1(VALU_DEP_1)
	v_lshlrev_b64 v[12:13], 1, v[12:13]
	v_add_co_u32 v12, s0, s10, v12
	s_delay_alu instid0(VALU_DEP_1) | instskip(SKIP_2) | instid1(SALU_CYCLE_1)
	v_add_co_ci_u32_e64 v13, s0, s11, v13, s0
	global_load_u16 v7, v[12:13], off
	s_or_b32 exec_lo, exec_lo, s1
	s_mov_b32 s1, exec_lo
	v_cmpx_gt_i32_e64 s12, v5
	s_cbranch_execnz .LBB18_36
.LBB18_33:
	s_or_b32 exec_lo, exec_lo, s1
                                        ; implicit-def: $vgpr5
	s_and_saveexec_b32 s1, vcc_lo
	s_cbranch_execnz .LBB18_37
.LBB18_34:
	s_or_b32 exec_lo, exec_lo, s1
	s_delay_alu instid0(SALU_CYCLE_1)
	s_mov_b32 s1, exec_lo
                                        ; implicit-def: $vgpr8
	v_cmpx_gt_i32_e64 s12, v3
	s_cbranch_execz .LBB18_43
	s_branch .LBB18_40
.LBB18_35:
	s_or_b32 exec_lo, exec_lo, s1
	s_delay_alu instid0(SALU_CYCLE_1)
	s_mov_b32 s1, exec_lo
	v_cmpx_gt_i32_e64 s12, v5
	s_cbranch_execz .LBB18_33
.LBB18_36:
	v_dual_mov_b32 v13, 0 :: v_dual_add_nc_u32 v12, s2, v5
	s_delay_alu instid0(VALU_DEP_1) | instskip(NEXT) | instid1(VALU_DEP_1)
	v_lshlrev_b64 v[12:13], 1, v[12:13]
	v_add_co_u32 v12, s0, s10, v12
	s_delay_alu instid0(VALU_DEP_1)
	v_add_co_ci_u32_e64 v13, s0, s11, v13, s0
	global_load_u16 v2, v[12:13], off
	s_or_b32 exec_lo, exec_lo, s1
                                        ; implicit-def: $vgpr5
	s_and_saveexec_b32 s1, vcc_lo
	s_cbranch_execz .LBB18_34
.LBB18_37:
	s_waitcnt vmcnt(0)
	v_cvt_f32_f16_e32 v5, v8
	s_mov_b32 s0, exec_lo
	s_delay_alu instid0(VALU_DEP_1)
	v_cmpx_nlg_f32_e64 0x7f800000, |v5|
	s_cbranch_execz .LBB18_39
; %bb.38:
	v_dual_mov_b32 v12, 0 :: v_dual_mov_b32 v13, 1.0
	global_store_b32 v12, v13, s[4:5]
.LBB18_39:
	s_or_b32 exec_lo, exec_lo, s0
	v_mov_b32_e32 v12, 0
	global_load_b32 v12, v12, s[6:7]
	s_waitcnt vmcnt(0)
	v_fma_mixlo_f16 v5, v12, v5, 0
	v_cmp_eq_f32_e64 s0, 1.0, v12
	s_delay_alu instid0(VALU_DEP_1) | instskip(SKIP_1) | instid1(SALU_CYCLE_1)
	v_cndmask_b32_e64 v5, v5, v8, s0
	s_or_b32 exec_lo, exec_lo, s1
	s_mov_b32 s1, exec_lo
                                        ; implicit-def: $vgpr8
	v_cmpx_gt_i32_e64 s12, v3
	s_cbranch_execz .LBB18_43
.LBB18_40:
	s_waitcnt vmcnt(0)
	v_cvt_f32_f16_e32 v8, v9
	s_mov_b32 s0, exec_lo
	s_delay_alu instid0(VALU_DEP_1)
	v_cmpx_nlg_f32_e64 0x7f800000, |v8|
	s_cbranch_execz .LBB18_42
; %bb.41:
	v_dual_mov_b32 v12, 0 :: v_dual_mov_b32 v13, 1.0
	global_store_b32 v12, v13, s[4:5]
.LBB18_42:
	s_or_b32 exec_lo, exec_lo, s0
	v_mov_b32_e32 v12, 0
	global_load_b32 v12, v12, s[6:7]
	s_waitcnt vmcnt(0)
	v_fma_mixlo_f16 v8, v12, v8, 0
	v_cmp_eq_f32_e64 s0, 1.0, v12
	s_delay_alu instid0(VALU_DEP_1)
	v_cndmask_b32_e64 v8, v8, v9, s0
.LBB18_43:
	s_or_b32 exec_lo, exec_lo, s1
	s_waitcnt vmcnt(0)
	v_or_b32_e32 v9, 0x200, v0
	s_delay_alu instid0(VALU_DEP_1) | instskip(NEXT) | instid1(VALU_DEP_1)
	v_cmp_gt_i32_e64 s0, s12, v9
                                        ; implicit-def: $vgpr9
	s_and_saveexec_b32 s1, s0
	s_cbranch_execz .LBB18_47
; %bb.44:
	v_cvt_f32_f16_e32 v9, v11
	s_mov_b32 s0, exec_lo
	s_delay_alu instid0(VALU_DEP_1)
	v_cmpx_nlg_f32_e64 0x7f800000, |v9|
	s_cbranch_execz .LBB18_46
; %bb.45:
	v_dual_mov_b32 v12, 0 :: v_dual_mov_b32 v13, 1.0
	global_store_b32 v12, v13, s[4:5]
.LBB18_46:
	s_or_b32 exec_lo, exec_lo, s0
	v_mov_b32_e32 v12, 0
	global_load_b32 v12, v12, s[6:7]
	s_waitcnt vmcnt(0)
	v_fma_mixlo_f16 v9, v12, v9, 0
	v_cmp_eq_f32_e64 s0, 1.0, v12
	s_delay_alu instid0(VALU_DEP_1)
	v_cndmask_b32_e64 v9, v9, v11, s0
.LBB18_47:
	s_or_b32 exec_lo, exec_lo, s1
	v_or_b32_e32 v11, 0x300, v0
	s_delay_alu instid0(VALU_DEP_1) | instskip(NEXT) | instid1(VALU_DEP_1)
	v_cmp_gt_i32_e64 s0, s12, v11
                                        ; implicit-def: $vgpr11
	s_and_saveexec_b32 s1, s0
	s_cbranch_execz .LBB18_51
; %bb.48:
	v_cvt_f32_f16_e32 v11, v6
	s_mov_b32 s0, exec_lo
	s_delay_alu instid0(VALU_DEP_1)
	v_cmpx_nlg_f32_e64 0x7f800000, |v11|
	s_cbranch_execz .LBB18_50
; %bb.49:
	v_dual_mov_b32 v12, 0 :: v_dual_mov_b32 v13, 1.0
	global_store_b32 v12, v13, s[4:5]
.LBB18_50:
	s_or_b32 exec_lo, exec_lo, s0
	v_mov_b32_e32 v12, 0
	global_load_b32 v12, v12, s[6:7]
	s_waitcnt vmcnt(0)
	v_fma_mixlo_f16 v11, v12, v11, 0
	v_cmp_eq_f32_e64 s0, 1.0, v12
	s_delay_alu instid0(VALU_DEP_1)
	v_cndmask_b32_e64 v11, v11, v6, s0
.LBB18_51:
	s_or_b32 exec_lo, exec_lo, s1
	v_or_b32_e32 v6, 0x400, v0
	s_delay_alu instid0(VALU_DEP_1) | instskip(NEXT) | instid1(VALU_DEP_1)
	v_cmp_gt_i32_e64 s0, s12, v6
                                        ; implicit-def: $vgpr6
	s_and_saveexec_b32 s1, s0
	s_cbranch_execz .LBB18_55
; %bb.52:
	v_cvt_f32_f16_e32 v6, v10
	s_mov_b32 s0, exec_lo
	s_delay_alu instid0(VALU_DEP_1)
	v_cmpx_nlg_f32_e64 0x7f800000, |v6|
	s_cbranch_execz .LBB18_54
; %bb.53:
	v_dual_mov_b32 v12, 0 :: v_dual_mov_b32 v13, 1.0
	global_store_b32 v12, v13, s[4:5]
.LBB18_54:
	s_or_b32 exec_lo, exec_lo, s0
	v_mov_b32_e32 v12, 0
	global_load_b32 v12, v12, s[6:7]
	s_waitcnt vmcnt(0)
	v_fma_mixlo_f16 v6, v12, v6, 0
	v_cmp_eq_f32_e64 s0, 1.0, v12
	s_delay_alu instid0(VALU_DEP_1)
	v_cndmask_b32_e64 v6, v6, v10, s0
.LBB18_55:
	s_or_b32 exec_lo, exec_lo, s1
	v_or_b32_e32 v10, 0x500, v0
	s_delay_alu instid0(VALU_DEP_1) | instskip(NEXT) | instid1(VALU_DEP_1)
	v_cmp_gt_i32_e64 s0, s12, v10
                                        ; implicit-def: $vgpr10
	s_and_saveexec_b32 s1, s0
	s_cbranch_execz .LBB18_59
; %bb.56:
	v_cvt_f32_f16_e32 v10, v4
	s_mov_b32 s0, exec_lo
	s_delay_alu instid0(VALU_DEP_1)
	v_cmpx_nlg_f32_e64 0x7f800000, |v10|
	s_cbranch_execz .LBB18_58
; %bb.57:
	v_dual_mov_b32 v12, 0 :: v_dual_mov_b32 v13, 1.0
	global_store_b32 v12, v13, s[4:5]
.LBB18_58:
	s_or_b32 exec_lo, exec_lo, s0
	v_mov_b32_e32 v12, 0
	global_load_b32 v12, v12, s[6:7]
	s_waitcnt vmcnt(0)
	v_fma_mixlo_f16 v10, v12, v10, 0
	v_cmp_eq_f32_e64 s0, 1.0, v12
	s_delay_alu instid0(VALU_DEP_1)
	v_cndmask_b32_e64 v10, v10, v4, s0
.LBB18_59:
	s_or_b32 exec_lo, exec_lo, s1
	v_or_b32_e32 v4, 0x600, v0
	s_delay_alu instid0(VALU_DEP_1) | instskip(NEXT) | instid1(VALU_DEP_1)
	v_cmp_gt_i32_e64 s0, s12, v4
                                        ; implicit-def: $vgpr4
	s_and_saveexec_b32 s1, s0
	s_cbranch_execz .LBB18_63
; %bb.60:
	v_cvt_f32_f16_e32 v4, v7
	s_mov_b32 s0, exec_lo
	s_delay_alu instid0(VALU_DEP_1)
	v_cmpx_nlg_f32_e64 0x7f800000, |v4|
	s_cbranch_execz .LBB18_62
; %bb.61:
	v_dual_mov_b32 v12, 0 :: v_dual_mov_b32 v13, 1.0
	global_store_b32 v12, v13, s[4:5]
.LBB18_62:
	s_or_b32 exec_lo, exec_lo, s0
	v_mov_b32_e32 v12, 0
	global_load_b32 v12, v12, s[6:7]
	s_waitcnt vmcnt(0)
	v_fma_mixlo_f16 v4, v12, v4, 0
	v_cmp_eq_f32_e64 s0, 1.0, v12
	s_delay_alu instid0(VALU_DEP_1)
	v_cndmask_b32_e64 v4, v4, v7, s0
.LBB18_63:
	s_or_b32 exec_lo, exec_lo, s1
	v_or_b32_e32 v7, 0x700, v0
	s_delay_alu instid0(VALU_DEP_1) | instskip(NEXT) | instid1(VALU_DEP_1)
	v_cmp_gt_i32_e64 s0, s12, v7
                                        ; implicit-def: $vgpr7
	s_and_saveexec_b32 s1, s0
	s_cbranch_execz .LBB18_76
; %bb.64:
	v_cvt_f32_f16_e32 v7, v2
	s_mov_b32 s0, exec_lo
	s_delay_alu instid0(VALU_DEP_1)
	v_cmpx_nlg_f32_e64 0x7f800000, |v7|
	s_cbranch_execz .LBB18_66
; %bb.65:
	v_dual_mov_b32 v12, 0 :: v_dual_mov_b32 v13, 1.0
	global_store_b32 v12, v13, s[4:5]
.LBB18_66:
	s_or_b32 exec_lo, exec_lo, s0
	v_mov_b32_e32 v12, 0
	global_load_b32 v12, v12, s[6:7]
	s_waitcnt vmcnt(0)
	v_fma_mixlo_f16 v7, v12, v7, 0
	v_cmp_eq_f32_e64 s0, 1.0, v12
	s_delay_alu instid0(VALU_DEP_1) | instskip(SKIP_2) | instid1(SALU_CYCLE_1)
	v_cndmask_b32_e64 v7, v7, v2, s0
	s_or_b32 exec_lo, exec_lo, s1
	s_and_saveexec_b32 s0, vcc_lo
	s_xor_b32 s0, exec_lo, s0
	s_cbranch_execnz .LBB18_77
.LBB18_67:
	s_or_b32 exec_lo, exec_lo, s0
	s_delay_alu instid0(SALU_CYCLE_1)
	s_mov_b32 s0, exec_lo
	v_cmpx_gt_i32_e64 s12, v0
	s_cbranch_execz .LBB18_78
.LBB18_68:
	v_dual_mov_b32 v2, 0 :: v_dual_add_nc_u32 v1, s2, v0
	v_add_nc_u32_e32 v0, 0x100, v0
	s_delay_alu instid0(VALU_DEP_2) | instskip(NEXT) | instid1(VALU_DEP_1)
	v_lshlrev_b64 v[1:2], 1, v[1:2]
	v_add_co_u32 v1, vcc_lo, s8, v1
	s_delay_alu instid0(VALU_DEP_2) | instskip(SKIP_2) | instid1(SALU_CYCLE_1)
	v_add_co_ci_u32_e32 v2, vcc_lo, s9, v2, vcc_lo
	global_store_b16 v[1:2], v8, off
	s_or_b32 exec_lo, exec_lo, s0
	s_mov_b32 s0, exec_lo
	v_cmpx_gt_i32_e64 s12, v0
	s_cbranch_execnz .LBB18_79
.LBB18_69:
	s_or_b32 exec_lo, exec_lo, s0
	s_delay_alu instid0(SALU_CYCLE_1)
	s_mov_b32 s0, exec_lo
	v_cmpx_gt_i32_e64 s12, v0
	s_cbranch_execz .LBB18_80
.LBB18_70:
	v_dual_mov_b32 v2, 0 :: v_dual_add_nc_u32 v1, s2, v0
	v_add_nc_u32_e32 v0, 0x100, v0
	s_delay_alu instid0(VALU_DEP_2) | instskip(NEXT) | instid1(VALU_DEP_1)
	v_lshlrev_b64 v[1:2], 1, v[1:2]
	v_add_co_u32 v1, vcc_lo, s8, v1
	s_delay_alu instid0(VALU_DEP_2) | instskip(SKIP_2) | instid1(SALU_CYCLE_1)
	v_add_co_ci_u32_e32 v2, vcc_lo, s9, v2, vcc_lo
	global_store_b16 v[1:2], v11, off
	s_or_b32 exec_lo, exec_lo, s0
	s_mov_b32 s0, exec_lo
	v_cmpx_gt_i32_e64 s12, v0
	s_cbranch_execnz .LBB18_81
.LBB18_71:
	s_or_b32 exec_lo, exec_lo, s0
	s_delay_alu instid0(SALU_CYCLE_1)
	s_mov_b32 s0, exec_lo
	v_cmpx_gt_i32_e64 s12, v0
	s_cbranch_execz .LBB18_82
.LBB18_72:
	v_dual_mov_b32 v2, 0 :: v_dual_add_nc_u32 v1, s2, v0
	v_add_nc_u32_e32 v0, 0x100, v0
	s_delay_alu instid0(VALU_DEP_2) | instskip(NEXT) | instid1(VALU_DEP_1)
	v_lshlrev_b64 v[1:2], 1, v[1:2]
	v_add_co_u32 v1, vcc_lo, s8, v1
	s_delay_alu instid0(VALU_DEP_2) | instskip(SKIP_2) | instid1(SALU_CYCLE_1)
	v_add_co_ci_u32_e32 v2, vcc_lo, s9, v2, vcc_lo
	global_store_b16 v[1:2], v10, off
	s_or_b32 exec_lo, exec_lo, s0
	s_mov_b32 s0, exec_lo
	v_cmpx_gt_i32_e64 s12, v0
	s_cbranch_execnz .LBB18_83
.LBB18_73:
	s_or_b32 exec_lo, exec_lo, s0
	s_delay_alu instid0(SALU_CYCLE_1)
	s_mov_b32 s0, exec_lo
	v_cmpx_gt_i32_e64 s12, v0
	s_cbranch_execz .LBB18_75
.LBB18_74:
	v_dual_mov_b32 v1, 0 :: v_dual_add_nc_u32 v0, s2, v0
	s_delay_alu instid0(VALU_DEP_1) | instskip(NEXT) | instid1(VALU_DEP_1)
	v_lshlrev_b64 v[0:1], 1, v[0:1]
	v_add_co_u32 v0, vcc_lo, s8, v0
	s_delay_alu instid0(VALU_DEP_2)
	v_add_co_ci_u32_e32 v1, vcc_lo, s9, v1, vcc_lo
	global_store_b16 v[0:1], v7, off
.LBB18_75:
	s_nop 0
	s_sendmsg sendmsg(MSG_DEALLOC_VGPRS)
	s_endpgm
.LBB18_76:
	s_or_b32 exec_lo, exec_lo, s1
	s_and_saveexec_b32 s0, vcc_lo
	s_delay_alu instid0(SALU_CYCLE_1)
	s_xor_b32 s0, exec_lo, s0
	s_cbranch_execz .LBB18_67
.LBB18_77:
	v_mov_b32_e32 v2, 0
	s_delay_alu instid0(VALU_DEP_1) | instskip(NEXT) | instid1(VALU_DEP_1)
	v_lshlrev_b64 v[0:1], 1, v[1:2]
	v_add_co_u32 v12, vcc_lo, s8, v0
	s_delay_alu instid0(VALU_DEP_2) | instskip(SKIP_3) | instid1(SALU_CYCLE_1)
	v_add_co_ci_u32_e32 v13, vcc_lo, s9, v1, vcc_lo
	v_mov_b32_e32 v0, v3
	global_store_b16 v[12:13], v5, off
	s_or_b32 exec_lo, exec_lo, s0
	s_mov_b32 s0, exec_lo
	v_cmpx_gt_i32_e64 s12, v0
	s_cbranch_execnz .LBB18_68
.LBB18_78:
	s_or_b32 exec_lo, exec_lo, s0
	s_delay_alu instid0(SALU_CYCLE_1)
	s_mov_b32 s0, exec_lo
	v_cmpx_gt_i32_e64 s12, v0
	s_cbranch_execz .LBB18_69
.LBB18_79:
	v_dual_mov_b32 v2, 0 :: v_dual_add_nc_u32 v1, s2, v0
	v_add_nc_u32_e32 v0, 0x100, v0
	s_delay_alu instid0(VALU_DEP_2) | instskip(NEXT) | instid1(VALU_DEP_1)
	v_lshlrev_b64 v[1:2], 1, v[1:2]
	v_add_co_u32 v1, vcc_lo, s8, v1
	s_delay_alu instid0(VALU_DEP_2) | instskip(SKIP_2) | instid1(SALU_CYCLE_1)
	v_add_co_ci_u32_e32 v2, vcc_lo, s9, v2, vcc_lo
	global_store_b16 v[1:2], v9, off
	s_or_b32 exec_lo, exec_lo, s0
	s_mov_b32 s0, exec_lo
	v_cmpx_gt_i32_e64 s12, v0
	s_cbranch_execnz .LBB18_70
.LBB18_80:
	s_or_b32 exec_lo, exec_lo, s0
	s_delay_alu instid0(SALU_CYCLE_1)
	s_mov_b32 s0, exec_lo
	v_cmpx_gt_i32_e64 s12, v0
	s_cbranch_execz .LBB18_71
.LBB18_81:
	v_dual_mov_b32 v2, 0 :: v_dual_add_nc_u32 v1, s2, v0
	v_add_nc_u32_e32 v0, 0x100, v0
	s_delay_alu instid0(VALU_DEP_2) | instskip(NEXT) | instid1(VALU_DEP_1)
	v_lshlrev_b64 v[1:2], 1, v[1:2]
	v_add_co_u32 v1, vcc_lo, s8, v1
	s_delay_alu instid0(VALU_DEP_2) | instskip(SKIP_2) | instid1(SALU_CYCLE_1)
	v_add_co_ci_u32_e32 v2, vcc_lo, s9, v2, vcc_lo
	global_store_b16 v[1:2], v6, off
	s_or_b32 exec_lo, exec_lo, s0
	s_mov_b32 s0, exec_lo
	v_cmpx_gt_i32_e64 s12, v0
	s_cbranch_execnz .LBB18_72
.LBB18_82:
	s_or_b32 exec_lo, exec_lo, s0
	s_delay_alu instid0(SALU_CYCLE_1)
	s_mov_b32 s0, exec_lo
	v_cmpx_gt_i32_e64 s12, v0
	s_cbranch_execz .LBB18_73
.LBB18_83:
	v_dual_mov_b32 v2, 0 :: v_dual_add_nc_u32 v1, s2, v0
	v_add_nc_u32_e32 v0, 0x100, v0
	s_delay_alu instid0(VALU_DEP_2) | instskip(NEXT) | instid1(VALU_DEP_1)
	v_lshlrev_b64 v[1:2], 1, v[1:2]
	v_add_co_u32 v1, vcc_lo, s8, v1
	s_delay_alu instid0(VALU_DEP_2) | instskip(SKIP_2) | instid1(SALU_CYCLE_1)
	v_add_co_ci_u32_e32 v2, vcc_lo, s9, v2, vcc_lo
	global_store_b16 v[1:2], v4, off
	s_or_b32 exec_lo, exec_lo, s0
	s_mov_b32 s0, exec_lo
	v_cmpx_gt_i32_e64 s12, v0
	s_cbranch_execnz .LBB18_74
	s_branch .LBB18_75
	.section	.rodata,"a",@progbits
	.p2align	6, 0x0
	.amdhsa_kernel _ZN2at6native29vectorized_elementwise_kernelILi8EZZZNS0_12_GLOBAL__N_139_amp_non_finite_check_and_unscale_cuda_ERNS_6TensorES4_RKS3_ENKUlvE_clEvENKUlvE1_clEvEUlN3c104HalfEE_St5arrayIPcLm2EEEEviT0_T1_
		.amdhsa_group_segment_fixed_size 0
		.amdhsa_private_segment_fixed_size 0
		.amdhsa_kernarg_size 40
		.amdhsa_user_sgpr_count 15
		.amdhsa_user_sgpr_dispatch_ptr 0
		.amdhsa_user_sgpr_queue_ptr 0
		.amdhsa_user_sgpr_kernarg_segment_ptr 1
		.amdhsa_user_sgpr_dispatch_id 0
		.amdhsa_user_sgpr_private_segment_size 0
		.amdhsa_wavefront_size32 1
		.amdhsa_uses_dynamic_stack 0
		.amdhsa_enable_private_segment 0
		.amdhsa_system_sgpr_workgroup_id_x 1
		.amdhsa_system_sgpr_workgroup_id_y 0
		.amdhsa_system_sgpr_workgroup_id_z 0
		.amdhsa_system_sgpr_workgroup_info 0
		.amdhsa_system_vgpr_workitem_id 0
		.amdhsa_next_free_vgpr 27
		.amdhsa_next_free_sgpr 16
		.amdhsa_reserve_vcc 1
		.amdhsa_float_round_mode_32 0
		.amdhsa_float_round_mode_16_64 0
		.amdhsa_float_denorm_mode_32 3
		.amdhsa_float_denorm_mode_16_64 3
		.amdhsa_dx10_clamp 1
		.amdhsa_ieee_mode 1
		.amdhsa_fp16_overflow 0
		.amdhsa_workgroup_processor_mode 1
		.amdhsa_memory_ordered 1
		.amdhsa_forward_progress 0
		.amdhsa_shared_vgpr_count 0
		.amdhsa_exception_fp_ieee_invalid_op 0
		.amdhsa_exception_fp_denorm_src 0
		.amdhsa_exception_fp_ieee_div_zero 0
		.amdhsa_exception_fp_ieee_overflow 0
		.amdhsa_exception_fp_ieee_underflow 0
		.amdhsa_exception_fp_ieee_inexact 0
		.amdhsa_exception_int_div_zero 0
	.end_amdhsa_kernel
	.section	.text._ZN2at6native29vectorized_elementwise_kernelILi8EZZZNS0_12_GLOBAL__N_139_amp_non_finite_check_and_unscale_cuda_ERNS_6TensorES4_RKS3_ENKUlvE_clEvENKUlvE1_clEvEUlN3c104HalfEE_St5arrayIPcLm2EEEEviT0_T1_,"axG",@progbits,_ZN2at6native29vectorized_elementwise_kernelILi8EZZZNS0_12_GLOBAL__N_139_amp_non_finite_check_and_unscale_cuda_ERNS_6TensorES4_RKS3_ENKUlvE_clEvENKUlvE1_clEvEUlN3c104HalfEE_St5arrayIPcLm2EEEEviT0_T1_,comdat
.Lfunc_end18:
	.size	_ZN2at6native29vectorized_elementwise_kernelILi8EZZZNS0_12_GLOBAL__N_139_amp_non_finite_check_and_unscale_cuda_ERNS_6TensorES4_RKS3_ENKUlvE_clEvENKUlvE1_clEvEUlN3c104HalfEE_St5arrayIPcLm2EEEEviT0_T1_, .Lfunc_end18-_ZN2at6native29vectorized_elementwise_kernelILi8EZZZNS0_12_GLOBAL__N_139_amp_non_finite_check_and_unscale_cuda_ERNS_6TensorES4_RKS3_ENKUlvE_clEvENKUlvE1_clEvEUlN3c104HalfEE_St5arrayIPcLm2EEEEviT0_T1_
                                        ; -- End function
	.section	.AMDGPU.csdata,"",@progbits
; Kernel info:
; codeLenInByte = 3264
; NumSgprs: 18
; NumVgprs: 27
; ScratchSize: 0
; MemoryBound: 0
; FloatMode: 240
; IeeeMode: 1
; LDSByteSize: 0 bytes/workgroup (compile time only)
; SGPRBlocks: 2
; VGPRBlocks: 3
; NumSGPRsForWavesPerEU: 18
; NumVGPRsForWavesPerEU: 27
; Occupancy: 16
; WaveLimiterHint : 0
; COMPUTE_PGM_RSRC2:SCRATCH_EN: 0
; COMPUTE_PGM_RSRC2:USER_SGPR: 15
; COMPUTE_PGM_RSRC2:TRAP_HANDLER: 0
; COMPUTE_PGM_RSRC2:TGID_X_EN: 1
; COMPUTE_PGM_RSRC2:TGID_Y_EN: 0
; COMPUTE_PGM_RSRC2:TGID_Z_EN: 0
; COMPUTE_PGM_RSRC2:TIDIG_COMP_CNT: 0
	.section	.text._ZN2at6native29vectorized_elementwise_kernelILi4EZZZNS0_12_GLOBAL__N_139_amp_non_finite_check_and_unscale_cuda_ERNS_6TensorES4_RKS3_ENKUlvE_clEvENKUlvE1_clEvEUlN3c104HalfEE_St5arrayIPcLm2EEEEviT0_T1_,"axG",@progbits,_ZN2at6native29vectorized_elementwise_kernelILi4EZZZNS0_12_GLOBAL__N_139_amp_non_finite_check_and_unscale_cuda_ERNS_6TensorES4_RKS3_ENKUlvE_clEvENKUlvE1_clEvEUlN3c104HalfEE_St5arrayIPcLm2EEEEviT0_T1_,comdat
	.globl	_ZN2at6native29vectorized_elementwise_kernelILi4EZZZNS0_12_GLOBAL__N_139_amp_non_finite_check_and_unscale_cuda_ERNS_6TensorES4_RKS3_ENKUlvE_clEvENKUlvE1_clEvEUlN3c104HalfEE_St5arrayIPcLm2EEEEviT0_T1_ ; -- Begin function _ZN2at6native29vectorized_elementwise_kernelILi4EZZZNS0_12_GLOBAL__N_139_amp_non_finite_check_and_unscale_cuda_ERNS_6TensorES4_RKS3_ENKUlvE_clEvENKUlvE1_clEvEUlN3c104HalfEE_St5arrayIPcLm2EEEEviT0_T1_
	.p2align	8
	.type	_ZN2at6native29vectorized_elementwise_kernelILi4EZZZNS0_12_GLOBAL__N_139_amp_non_finite_check_and_unscale_cuda_ERNS_6TensorES4_RKS3_ENKUlvE_clEvENKUlvE1_clEvEUlN3c104HalfEE_St5arrayIPcLm2EEEEviT0_T1_,@function
_ZN2at6native29vectorized_elementwise_kernelILi4EZZZNS0_12_GLOBAL__N_139_amp_non_finite_check_and_unscale_cuda_ERNS_6TensorES4_RKS3_ENKUlvE_clEvENKUlvE1_clEvEUlN3c104HalfEE_St5arrayIPcLm2EEEEviT0_T1_: ; @_ZN2at6native29vectorized_elementwise_kernelILi4EZZZNS0_12_GLOBAL__N_139_amp_non_finite_check_and_unscale_cuda_ERNS_6TensorES4_RKS3_ENKUlvE_clEvENKUlvE1_clEvEUlN3c104HalfEE_St5arrayIPcLm2EEEEviT0_T1_
; %bb.0:
	s_clause 0x1
	s_load_b32 s3, s[0:1], 0x0
	s_load_b256 s[4:11], s[0:1], 0x8
	s_lshl_b32 s2, s15, 11
	s_mov_b32 s0, -1
	s_waitcnt lgkmcnt(0)
	s_sub_i32 s12, s3, s2
	s_delay_alu instid0(SALU_CYCLE_1)
	s_cmpk_gt_i32 s12, 0x7ff
	s_cbranch_scc0 .LBB19_18
; %bb.1:
	s_ashr_i32 s3, s2, 31
	v_lshlrev_b32_e32 v5, 3, v0
	s_lshl_b64 s[0:1], s[2:3], 1
	v_mov_b32_e32 v7, 0
	s_add_u32 s14, s10, s0
	s_addc_u32 s15, s11, s1
	s_mov_b32 s3, exec_lo
	s_clause 0x1
	global_load_b64 v[1:2], v5, s[14:15]
	global_load_b64 v[3:4], v5, s[14:15] offset:2048
	s_waitcnt vmcnt(1)
	v_cvt_f32_f16_e32 v6, v1
	s_delay_alu instid0(VALU_DEP_1)
	v_cmpx_nlg_f32_e64 0x7f800000, |v6|
	s_cbranch_execz .LBB19_3
; %bb.2:
	v_mov_b32_e32 v8, 1.0
	global_store_b32 v7, v8, s[4:5]
.LBB19_3:
	s_or_b32 exec_lo, exec_lo, s3
	global_load_b32 v7, v7, s[6:7]
	v_lshrrev_b32_e32 v8, 16, v1
	s_mov_b32 s3, exec_lo
	s_delay_alu instid0(VALU_DEP_1) | instskip(SKIP_2) | instid1(VALU_DEP_2)
	v_cvt_f32_f16_e32 v10, v8
	s_waitcnt vmcnt(0)
	v_mov_b32_e32 v9, v7
	v_cmpx_nlg_f32_e64 0x7f800000, |v10|
	s_cbranch_execz .LBB19_5
; %bb.4:
	v_mov_b32_e32 v9, 0
	v_mov_b32_e32 v11, 1.0
	global_store_b32 v9, v11, s[4:5]
	global_load_b32 v9, v9, s[6:7]
.LBB19_5:
	s_or_b32 exec_lo, exec_lo, s3
	v_cvt_f32_f16_e32 v12, v2
	s_waitcnt vmcnt(0)
	v_mov_b32_e32 v11, v9
	s_mov_b32 s3, exec_lo
	s_delay_alu instid0(VALU_DEP_2)
	v_cmpx_nlg_f32_e64 0x7f800000, |v12|
	s_cbranch_execz .LBB19_7
; %bb.6:
	v_mov_b32_e32 v11, 0
	v_mov_b32_e32 v13, 1.0
	global_store_b32 v11, v13, s[4:5]
	global_load_b32 v11, v11, s[6:7]
.LBB19_7:
	s_or_b32 exec_lo, exec_lo, s3
	v_lshrrev_b32_e32 v13, 16, v2
	s_waitcnt vmcnt(0)
	v_mov_b32_e32 v14, v11
	s_mov_b32 s3, exec_lo
	s_delay_alu instid0(VALU_DEP_2) | instskip(NEXT) | instid1(VALU_DEP_1)
	v_cvt_f32_f16_e32 v15, v13
	v_cmpx_nlg_f32_e64 0x7f800000, |v15|
	s_cbranch_execz .LBB19_9
; %bb.8:
	v_mov_b32_e32 v14, 0
	v_mov_b32_e32 v16, 1.0
	global_store_b32 v14, v16, s[4:5]
	global_load_b32 v14, v14, s[6:7]
.LBB19_9:
	s_or_b32 exec_lo, exec_lo, s3
	v_cvt_f32_f16_e32 v17, v3
	s_waitcnt vmcnt(0)
	v_mov_b32_e32 v16, v14
	s_mov_b32 s3, exec_lo
	s_delay_alu instid0(VALU_DEP_2)
	v_cmpx_nlg_f32_e64 0x7f800000, |v17|
	s_cbranch_execz .LBB19_11
; %bb.10:
	v_mov_b32_e32 v16, 0
	v_mov_b32_e32 v18, 1.0
	global_store_b32 v16, v18, s[4:5]
	global_load_b32 v16, v16, s[6:7]
.LBB19_11:
	s_or_b32 exec_lo, exec_lo, s3
	v_lshrrev_b32_e32 v18, 16, v3
	s_waitcnt vmcnt(0)
	v_mov_b32_e32 v21, v16
	s_mov_b32 s3, exec_lo
	s_delay_alu instid0(VALU_DEP_2) | instskip(NEXT) | instid1(VALU_DEP_1)
	v_cvt_f32_f16_e32 v20, v18
	v_cmpx_nlg_f32_e64 0x7f800000, |v20|
	s_cbranch_execz .LBB19_13
; %bb.12:
	v_mov_b32_e32 v19, 0
	v_mov_b32_e32 v21, 1.0
	global_store_b32 v19, v21, s[4:5]
	global_load_b32 v21, v19, s[6:7]
.LBB19_13:
	s_or_b32 exec_lo, exec_lo, s3
	v_cvt_f32_f16_e32 v25, v4
	s_waitcnt vmcnt(0)
	v_mov_b32_e32 v24, v21
	s_mov_b32 s3, exec_lo
	s_delay_alu instid0(VALU_DEP_2)
	v_cmpx_nlg_f32_e64 0x7f800000, |v25|
	s_cbranch_execz .LBB19_15
; %bb.14:
	v_dual_mov_b32 v19, 0 :: v_dual_mov_b32 v22, 1.0
	global_store_b32 v19, v22, s[4:5]
	global_load_b32 v24, v19, s[6:7]
.LBB19_15:
	s_or_b32 exec_lo, exec_lo, s3
	v_lshrrev_b32_e32 v19, 16, v4
	s_waitcnt vmcnt(0)
	v_mov_b32_e32 v23, v24
	s_mov_b32 s3, exec_lo
	s_delay_alu instid0(VALU_DEP_2) | instskip(NEXT) | instid1(VALU_DEP_1)
	v_cvt_f32_f16_e32 v22, v19
	v_cmpx_nlg_f32_e64 0x7f800000, |v22|
	s_cbranch_execz .LBB19_17
; %bb.16:
	v_dual_mov_b32 v23, 0 :: v_dual_mov_b32 v26, 1.0
	global_store_b32 v23, v26, s[4:5]
	global_load_b32 v23, v23, s[6:7]
.LBB19_17:
	s_or_b32 exec_lo, exec_lo, s3
	v_fma_mixlo_f16 v25, v24, v25, 0
	v_cmp_eq_f32_e32 vcc_lo, 1.0, v24
	v_fma_mixlo_f16 v20, v21, v20, 0
	v_fma_mixlo_f16 v15, v14, v15, 0
	;; [unrolled: 1-line block ×4, first 2 shown]
	v_cndmask_b32_e32 v4, v25, v4, vcc_lo
	v_cmp_eq_f32_e32 vcc_lo, 1.0, v21
	v_fma_mixlo_f16 v6, v7, v6, 0
	v_fma_mixlo_f16 v12, v11, v12, 0
	s_add_u32 s14, s8, s0
	s_addc_u32 s15, s9, s1
	v_cndmask_b32_e32 v18, v20, v18, vcc_lo
	v_cmp_eq_f32_e32 vcc_lo, 1.0, v16
	s_mov_b32 s0, 0
	v_cndmask_b32_e32 v3, v17, v3, vcc_lo
	v_cmp_eq_f32_e32 vcc_lo, 1.0, v14
	s_delay_alu instid0(VALU_DEP_2)
	v_and_b32_e32 v3, 0xffff, v3
	v_cndmask_b32_e32 v13, v15, v13, vcc_lo
	v_cmp_eq_f32_e32 vcc_lo, 1.0, v9
	s_waitcnt vmcnt(0)
	v_fma_mixlo_f16 v9, v23, v22, 0
	v_and_b32_e32 v4, 0xffff, v4
	v_cndmask_b32_e32 v8, v10, v8, vcc_lo
	v_cmp_eq_f32_e32 vcc_lo, 1.0, v7
	v_cndmask_b32_e32 v1, v6, v1, vcc_lo
	v_cmp_eq_f32_e32 vcc_lo, 1.0, v11
	;; [unrolled: 2-line block ×3, first 2 shown]
	s_delay_alu instid0(VALU_DEP_4) | instskip(SKIP_4) | instid1(VALU_DEP_4)
	v_and_b32_e32 v1, 0xffff, v1
	v_lshlrev_b32_e32 v7, 16, v8
	v_lshlrev_b32_e32 v8, 16, v13
	v_and_b32_e32 v2, 0xffff, v2
	v_dual_cndmask_b32 v6, v9, v19 :: v_dual_lshlrev_b32 v9, 16, v18
	v_or_b32_e32 v1, v7, v1
	s_delay_alu instid0(VALU_DEP_3) | instskip(NEXT) | instid1(VALU_DEP_3)
	v_or3_b32 v2, v2, 0, v8
	v_lshlrev_b32_e32 v6, 16, v6
	s_delay_alu instid0(VALU_DEP_4) | instskip(NEXT) | instid1(VALU_DEP_4)
	v_or_b32_e32 v3, v9, v3
	v_or3_b32 v1, 0, v1, 0
	s_delay_alu instid0(VALU_DEP_3) | instskip(NEXT) | instid1(VALU_DEP_3)
	v_or3_b32 v4, v4, 0, v6
	v_or3_b32 v3, 0, v3, 0
	s_clause 0x1
	global_store_b64 v5, v[1:2], s[14:15]
	global_store_b64 v5, v[3:4], s[14:15] offset:2048
.LBB19_18:
	s_and_b32 vcc_lo, exec_lo, s0
	s_cbranch_vccz .LBB19_75
; %bb.19:
	v_cmp_gt_i32_e32 vcc_lo, s12, v0
	v_dual_mov_b32 v9, 0 :: v_dual_mov_b32 v8, 0
	v_or_b32_e32 v1, s2, v0
	v_or_b32_e32 v3, 0x100, v0
	v_mov_b32_e32 v5, v0
	s_and_saveexec_b32 s1, vcc_lo
	s_cbranch_execz .LBB19_21
; %bb.20:
	v_mov_b32_e32 v2, 0
	s_delay_alu instid0(VALU_DEP_1) | instskip(NEXT) | instid1(VALU_DEP_1)
	v_lshlrev_b64 v[4:5], 1, v[1:2]
	v_add_co_u32 v4, s0, s10, v4
	s_delay_alu instid0(VALU_DEP_1)
	v_add_co_ci_u32_e64 v5, s0, s11, v5, s0
	global_load_u16 v8, v[4:5], off
	v_or_b32_e32 v5, 0x100, v0
.LBB19_21:
	s_or_b32 exec_lo, exec_lo, s1
	s_delay_alu instid0(SALU_CYCLE_1) | instskip(NEXT) | instid1(VALU_DEP_1)
	s_mov_b32 s1, exec_lo
	v_cmpx_gt_i32_e64 s12, v5
	s_cbranch_execz .LBB19_23
; %bb.22:
	v_dual_mov_b32 v7, 0 :: v_dual_add_nc_u32 v6, s2, v5
	v_add_nc_u32_e32 v5, 0x100, v5
	s_delay_alu instid0(VALU_DEP_2) | instskip(NEXT) | instid1(VALU_DEP_1)
	v_lshlrev_b64 v[6:7], 1, v[6:7]
	v_add_co_u32 v6, s0, s10, v6
	s_delay_alu instid0(VALU_DEP_1)
	v_add_co_ci_u32_e64 v7, s0, s11, v7, s0
	global_load_u16 v9, v[6:7], off
.LBB19_23:
	s_or_b32 exec_lo, exec_lo, s1
	v_dual_mov_b32 v6, 0 :: v_dual_mov_b32 v11, 0
	s_mov_b32 s1, exec_lo
	v_cmpx_gt_i32_e64 s12, v5
	s_cbranch_execz .LBB19_25
; %bb.24:
	v_dual_mov_b32 v11, 0 :: v_dual_add_nc_u32 v10, s2, v5
	v_add_nc_u32_e32 v5, 0x100, v5
	s_delay_alu instid0(VALU_DEP_2) | instskip(NEXT) | instid1(VALU_DEP_1)
	v_lshlrev_b64 v[10:11], 1, v[10:11]
	v_add_co_u32 v10, s0, s10, v10
	s_delay_alu instid0(VALU_DEP_1)
	v_add_co_ci_u32_e64 v11, s0, s11, v11, s0
	global_load_u16 v11, v[10:11], off
.LBB19_25:
	s_or_b32 exec_lo, exec_lo, s1
	s_delay_alu instid0(SALU_CYCLE_1)
	s_mov_b32 s1, exec_lo
	v_cmpx_gt_i32_e64 s12, v5
	s_cbranch_execz .LBB19_27
; %bb.26:
	v_dual_mov_b32 v7, 0 :: v_dual_add_nc_u32 v6, s2, v5
	v_add_nc_u32_e32 v5, 0x100, v5
	s_delay_alu instid0(VALU_DEP_2) | instskip(NEXT) | instid1(VALU_DEP_1)
	v_lshlrev_b64 v[6:7], 1, v[6:7]
	v_add_co_u32 v6, s0, s10, v6
	s_delay_alu instid0(VALU_DEP_1)
	v_add_co_ci_u32_e64 v7, s0, s11, v7, s0
	global_load_u16 v6, v[6:7], off
.LBB19_27:
	s_or_b32 exec_lo, exec_lo, s1
	v_mov_b32_e32 v4, 0
	v_mov_b32_e32 v10, 0
	s_mov_b32 s1, exec_lo
	v_cmpx_gt_i32_e64 s12, v5
	s_cbranch_execz .LBB19_29
; %bb.28:
	v_dual_mov_b32 v13, 0 :: v_dual_add_nc_u32 v12, s2, v5
	v_add_nc_u32_e32 v5, 0x100, v5
	s_delay_alu instid0(VALU_DEP_2) | instskip(NEXT) | instid1(VALU_DEP_1)
	v_lshlrev_b64 v[12:13], 1, v[12:13]
	v_add_co_u32 v12, s0, s10, v12
	s_delay_alu instid0(VALU_DEP_1)
	v_add_co_ci_u32_e64 v13, s0, s11, v13, s0
	global_load_u16 v10, v[12:13], off
.LBB19_29:
	s_or_b32 exec_lo, exec_lo, s1
	s_delay_alu instid0(SALU_CYCLE_1)
	s_mov_b32 s1, exec_lo
	v_cmpx_gt_i32_e64 s12, v5
	s_cbranch_execz .LBB19_31
; %bb.30:
	v_dual_mov_b32 v13, 0 :: v_dual_add_nc_u32 v12, s2, v5
	v_add_nc_u32_e32 v5, 0x100, v5
	s_delay_alu instid0(VALU_DEP_2) | instskip(NEXT) | instid1(VALU_DEP_1)
	v_lshlrev_b64 v[12:13], 1, v[12:13]
	v_add_co_u32 v12, s0, s10, v12
	s_delay_alu instid0(VALU_DEP_1)
	v_add_co_ci_u32_e64 v13, s0, s11, v13, s0
	global_load_u16 v4, v[12:13], off
.LBB19_31:
	s_or_b32 exec_lo, exec_lo, s1
	v_dual_mov_b32 v2, 0 :: v_dual_mov_b32 v7, 0
	s_mov_b32 s1, exec_lo
	v_cmpx_gt_i32_e64 s12, v5
	s_cbranch_execz .LBB19_35
; %bb.32:
	v_dual_mov_b32 v13, 0 :: v_dual_add_nc_u32 v12, s2, v5
	v_add_nc_u32_e32 v5, 0x100, v5
	s_delay_alu instid0(VALU_DEP_2) | instskip(NEXT) | instid1(VALU_DEP_1)
	v_lshlrev_b64 v[12:13], 1, v[12:13]
	v_add_co_u32 v12, s0, s10, v12
	s_delay_alu instid0(VALU_DEP_1) | instskip(SKIP_2) | instid1(SALU_CYCLE_1)
	v_add_co_ci_u32_e64 v13, s0, s11, v13, s0
	global_load_u16 v7, v[12:13], off
	s_or_b32 exec_lo, exec_lo, s1
	s_mov_b32 s1, exec_lo
	v_cmpx_gt_i32_e64 s12, v5
	s_cbranch_execnz .LBB19_36
.LBB19_33:
	s_or_b32 exec_lo, exec_lo, s1
                                        ; implicit-def: $vgpr5
	s_and_saveexec_b32 s1, vcc_lo
	s_cbranch_execnz .LBB19_37
.LBB19_34:
	s_or_b32 exec_lo, exec_lo, s1
	s_delay_alu instid0(SALU_CYCLE_1)
	s_mov_b32 s1, exec_lo
                                        ; implicit-def: $vgpr8
	v_cmpx_gt_i32_e64 s12, v3
	s_cbranch_execz .LBB19_43
	s_branch .LBB19_40
.LBB19_35:
	s_or_b32 exec_lo, exec_lo, s1
	s_delay_alu instid0(SALU_CYCLE_1)
	s_mov_b32 s1, exec_lo
	v_cmpx_gt_i32_e64 s12, v5
	s_cbranch_execz .LBB19_33
.LBB19_36:
	v_dual_mov_b32 v13, 0 :: v_dual_add_nc_u32 v12, s2, v5
	s_delay_alu instid0(VALU_DEP_1) | instskip(NEXT) | instid1(VALU_DEP_1)
	v_lshlrev_b64 v[12:13], 1, v[12:13]
	v_add_co_u32 v12, s0, s10, v12
	s_delay_alu instid0(VALU_DEP_1)
	v_add_co_ci_u32_e64 v13, s0, s11, v13, s0
	global_load_u16 v2, v[12:13], off
	s_or_b32 exec_lo, exec_lo, s1
                                        ; implicit-def: $vgpr5
	s_and_saveexec_b32 s1, vcc_lo
	s_cbranch_execz .LBB19_34
.LBB19_37:
	s_waitcnt vmcnt(0)
	v_cvt_f32_f16_e32 v5, v8
	s_mov_b32 s0, exec_lo
	s_delay_alu instid0(VALU_DEP_1)
	v_cmpx_nlg_f32_e64 0x7f800000, |v5|
	s_cbranch_execz .LBB19_39
; %bb.38:
	v_dual_mov_b32 v12, 0 :: v_dual_mov_b32 v13, 1.0
	global_store_b32 v12, v13, s[4:5]
.LBB19_39:
	s_or_b32 exec_lo, exec_lo, s0
	v_mov_b32_e32 v12, 0
	global_load_b32 v12, v12, s[6:7]
	s_waitcnt vmcnt(0)
	v_fma_mixlo_f16 v5, v12, v5, 0
	v_cmp_eq_f32_e64 s0, 1.0, v12
	s_delay_alu instid0(VALU_DEP_1) | instskip(SKIP_1) | instid1(SALU_CYCLE_1)
	v_cndmask_b32_e64 v5, v5, v8, s0
	s_or_b32 exec_lo, exec_lo, s1
	s_mov_b32 s1, exec_lo
                                        ; implicit-def: $vgpr8
	v_cmpx_gt_i32_e64 s12, v3
	s_cbranch_execz .LBB19_43
.LBB19_40:
	s_waitcnt vmcnt(0)
	v_cvt_f32_f16_e32 v8, v9
	s_mov_b32 s0, exec_lo
	s_delay_alu instid0(VALU_DEP_1)
	v_cmpx_nlg_f32_e64 0x7f800000, |v8|
	s_cbranch_execz .LBB19_42
; %bb.41:
	v_dual_mov_b32 v12, 0 :: v_dual_mov_b32 v13, 1.0
	global_store_b32 v12, v13, s[4:5]
.LBB19_42:
	s_or_b32 exec_lo, exec_lo, s0
	v_mov_b32_e32 v12, 0
	global_load_b32 v12, v12, s[6:7]
	s_waitcnt vmcnt(0)
	v_fma_mixlo_f16 v8, v12, v8, 0
	v_cmp_eq_f32_e64 s0, 1.0, v12
	s_delay_alu instid0(VALU_DEP_1)
	v_cndmask_b32_e64 v8, v8, v9, s0
.LBB19_43:
	s_or_b32 exec_lo, exec_lo, s1
	s_waitcnt vmcnt(0)
	v_or_b32_e32 v9, 0x200, v0
	s_delay_alu instid0(VALU_DEP_1) | instskip(NEXT) | instid1(VALU_DEP_1)
	v_cmp_gt_i32_e64 s0, s12, v9
                                        ; implicit-def: $vgpr9
	s_and_saveexec_b32 s1, s0
	s_cbranch_execz .LBB19_47
; %bb.44:
	v_cvt_f32_f16_e32 v9, v11
	s_mov_b32 s0, exec_lo
	s_delay_alu instid0(VALU_DEP_1)
	v_cmpx_nlg_f32_e64 0x7f800000, |v9|
	s_cbranch_execz .LBB19_46
; %bb.45:
	v_dual_mov_b32 v12, 0 :: v_dual_mov_b32 v13, 1.0
	global_store_b32 v12, v13, s[4:5]
.LBB19_46:
	s_or_b32 exec_lo, exec_lo, s0
	v_mov_b32_e32 v12, 0
	global_load_b32 v12, v12, s[6:7]
	s_waitcnt vmcnt(0)
	v_fma_mixlo_f16 v9, v12, v9, 0
	v_cmp_eq_f32_e64 s0, 1.0, v12
	s_delay_alu instid0(VALU_DEP_1)
	v_cndmask_b32_e64 v9, v9, v11, s0
.LBB19_47:
	s_or_b32 exec_lo, exec_lo, s1
	v_or_b32_e32 v11, 0x300, v0
	s_delay_alu instid0(VALU_DEP_1) | instskip(NEXT) | instid1(VALU_DEP_1)
	v_cmp_gt_i32_e64 s0, s12, v11
                                        ; implicit-def: $vgpr11
	s_and_saveexec_b32 s1, s0
	s_cbranch_execz .LBB19_51
; %bb.48:
	v_cvt_f32_f16_e32 v11, v6
	s_mov_b32 s0, exec_lo
	s_delay_alu instid0(VALU_DEP_1)
	v_cmpx_nlg_f32_e64 0x7f800000, |v11|
	s_cbranch_execz .LBB19_50
; %bb.49:
	v_dual_mov_b32 v12, 0 :: v_dual_mov_b32 v13, 1.0
	global_store_b32 v12, v13, s[4:5]
.LBB19_50:
	s_or_b32 exec_lo, exec_lo, s0
	v_mov_b32_e32 v12, 0
	global_load_b32 v12, v12, s[6:7]
	s_waitcnt vmcnt(0)
	v_fma_mixlo_f16 v11, v12, v11, 0
	v_cmp_eq_f32_e64 s0, 1.0, v12
	s_delay_alu instid0(VALU_DEP_1)
	v_cndmask_b32_e64 v11, v11, v6, s0
.LBB19_51:
	s_or_b32 exec_lo, exec_lo, s1
	v_or_b32_e32 v6, 0x400, v0
	s_delay_alu instid0(VALU_DEP_1) | instskip(NEXT) | instid1(VALU_DEP_1)
	v_cmp_gt_i32_e64 s0, s12, v6
                                        ; implicit-def: $vgpr6
	s_and_saveexec_b32 s1, s0
	s_cbranch_execz .LBB19_55
; %bb.52:
	v_cvt_f32_f16_e32 v6, v10
	s_mov_b32 s0, exec_lo
	s_delay_alu instid0(VALU_DEP_1)
	v_cmpx_nlg_f32_e64 0x7f800000, |v6|
	s_cbranch_execz .LBB19_54
; %bb.53:
	v_dual_mov_b32 v12, 0 :: v_dual_mov_b32 v13, 1.0
	global_store_b32 v12, v13, s[4:5]
.LBB19_54:
	s_or_b32 exec_lo, exec_lo, s0
	v_mov_b32_e32 v12, 0
	global_load_b32 v12, v12, s[6:7]
	s_waitcnt vmcnt(0)
	v_fma_mixlo_f16 v6, v12, v6, 0
	v_cmp_eq_f32_e64 s0, 1.0, v12
	s_delay_alu instid0(VALU_DEP_1)
	v_cndmask_b32_e64 v6, v6, v10, s0
.LBB19_55:
	s_or_b32 exec_lo, exec_lo, s1
	v_or_b32_e32 v10, 0x500, v0
	s_delay_alu instid0(VALU_DEP_1) | instskip(NEXT) | instid1(VALU_DEP_1)
	v_cmp_gt_i32_e64 s0, s12, v10
                                        ; implicit-def: $vgpr10
	s_and_saveexec_b32 s1, s0
	s_cbranch_execz .LBB19_59
; %bb.56:
	v_cvt_f32_f16_e32 v10, v4
	s_mov_b32 s0, exec_lo
	s_delay_alu instid0(VALU_DEP_1)
	v_cmpx_nlg_f32_e64 0x7f800000, |v10|
	s_cbranch_execz .LBB19_58
; %bb.57:
	v_dual_mov_b32 v12, 0 :: v_dual_mov_b32 v13, 1.0
	global_store_b32 v12, v13, s[4:5]
.LBB19_58:
	s_or_b32 exec_lo, exec_lo, s0
	v_mov_b32_e32 v12, 0
	global_load_b32 v12, v12, s[6:7]
	s_waitcnt vmcnt(0)
	v_fma_mixlo_f16 v10, v12, v10, 0
	v_cmp_eq_f32_e64 s0, 1.0, v12
	s_delay_alu instid0(VALU_DEP_1)
	v_cndmask_b32_e64 v10, v10, v4, s0
.LBB19_59:
	s_or_b32 exec_lo, exec_lo, s1
	v_or_b32_e32 v4, 0x600, v0
	s_delay_alu instid0(VALU_DEP_1) | instskip(NEXT) | instid1(VALU_DEP_1)
	v_cmp_gt_i32_e64 s0, s12, v4
                                        ; implicit-def: $vgpr4
	s_and_saveexec_b32 s1, s0
	s_cbranch_execz .LBB19_63
; %bb.60:
	v_cvt_f32_f16_e32 v4, v7
	s_mov_b32 s0, exec_lo
	s_delay_alu instid0(VALU_DEP_1)
	v_cmpx_nlg_f32_e64 0x7f800000, |v4|
	s_cbranch_execz .LBB19_62
; %bb.61:
	v_dual_mov_b32 v12, 0 :: v_dual_mov_b32 v13, 1.0
	global_store_b32 v12, v13, s[4:5]
.LBB19_62:
	s_or_b32 exec_lo, exec_lo, s0
	v_mov_b32_e32 v12, 0
	global_load_b32 v12, v12, s[6:7]
	s_waitcnt vmcnt(0)
	v_fma_mixlo_f16 v4, v12, v4, 0
	v_cmp_eq_f32_e64 s0, 1.0, v12
	s_delay_alu instid0(VALU_DEP_1)
	v_cndmask_b32_e64 v4, v4, v7, s0
.LBB19_63:
	s_or_b32 exec_lo, exec_lo, s1
	v_or_b32_e32 v7, 0x700, v0
	s_delay_alu instid0(VALU_DEP_1) | instskip(NEXT) | instid1(VALU_DEP_1)
	v_cmp_gt_i32_e64 s0, s12, v7
                                        ; implicit-def: $vgpr7
	s_and_saveexec_b32 s1, s0
	s_cbranch_execz .LBB19_76
; %bb.64:
	v_cvt_f32_f16_e32 v7, v2
	s_mov_b32 s0, exec_lo
	s_delay_alu instid0(VALU_DEP_1)
	v_cmpx_nlg_f32_e64 0x7f800000, |v7|
	s_cbranch_execz .LBB19_66
; %bb.65:
	v_dual_mov_b32 v12, 0 :: v_dual_mov_b32 v13, 1.0
	global_store_b32 v12, v13, s[4:5]
.LBB19_66:
	s_or_b32 exec_lo, exec_lo, s0
	v_mov_b32_e32 v12, 0
	global_load_b32 v12, v12, s[6:7]
	s_waitcnt vmcnt(0)
	v_fma_mixlo_f16 v7, v12, v7, 0
	v_cmp_eq_f32_e64 s0, 1.0, v12
	s_delay_alu instid0(VALU_DEP_1) | instskip(SKIP_2) | instid1(SALU_CYCLE_1)
	v_cndmask_b32_e64 v7, v7, v2, s0
	s_or_b32 exec_lo, exec_lo, s1
	s_and_saveexec_b32 s0, vcc_lo
	s_xor_b32 s0, exec_lo, s0
	s_cbranch_execnz .LBB19_77
.LBB19_67:
	s_or_b32 exec_lo, exec_lo, s0
	s_delay_alu instid0(SALU_CYCLE_1)
	s_mov_b32 s0, exec_lo
	v_cmpx_gt_i32_e64 s12, v0
	s_cbranch_execz .LBB19_78
.LBB19_68:
	v_dual_mov_b32 v2, 0 :: v_dual_add_nc_u32 v1, s2, v0
	v_add_nc_u32_e32 v0, 0x100, v0
	s_delay_alu instid0(VALU_DEP_2) | instskip(NEXT) | instid1(VALU_DEP_1)
	v_lshlrev_b64 v[1:2], 1, v[1:2]
	v_add_co_u32 v1, vcc_lo, s8, v1
	s_delay_alu instid0(VALU_DEP_2) | instskip(SKIP_2) | instid1(SALU_CYCLE_1)
	v_add_co_ci_u32_e32 v2, vcc_lo, s9, v2, vcc_lo
	global_store_b16 v[1:2], v8, off
	s_or_b32 exec_lo, exec_lo, s0
	s_mov_b32 s0, exec_lo
	v_cmpx_gt_i32_e64 s12, v0
	s_cbranch_execnz .LBB19_79
.LBB19_69:
	s_or_b32 exec_lo, exec_lo, s0
	s_delay_alu instid0(SALU_CYCLE_1)
	s_mov_b32 s0, exec_lo
	v_cmpx_gt_i32_e64 s12, v0
	s_cbranch_execz .LBB19_80
.LBB19_70:
	v_dual_mov_b32 v2, 0 :: v_dual_add_nc_u32 v1, s2, v0
	v_add_nc_u32_e32 v0, 0x100, v0
	s_delay_alu instid0(VALU_DEP_2) | instskip(NEXT) | instid1(VALU_DEP_1)
	v_lshlrev_b64 v[1:2], 1, v[1:2]
	v_add_co_u32 v1, vcc_lo, s8, v1
	s_delay_alu instid0(VALU_DEP_2) | instskip(SKIP_2) | instid1(SALU_CYCLE_1)
	v_add_co_ci_u32_e32 v2, vcc_lo, s9, v2, vcc_lo
	global_store_b16 v[1:2], v11, off
	s_or_b32 exec_lo, exec_lo, s0
	s_mov_b32 s0, exec_lo
	v_cmpx_gt_i32_e64 s12, v0
	s_cbranch_execnz .LBB19_81
.LBB19_71:
	s_or_b32 exec_lo, exec_lo, s0
	s_delay_alu instid0(SALU_CYCLE_1)
	s_mov_b32 s0, exec_lo
	v_cmpx_gt_i32_e64 s12, v0
	s_cbranch_execz .LBB19_82
.LBB19_72:
	v_dual_mov_b32 v2, 0 :: v_dual_add_nc_u32 v1, s2, v0
	v_add_nc_u32_e32 v0, 0x100, v0
	s_delay_alu instid0(VALU_DEP_2) | instskip(NEXT) | instid1(VALU_DEP_1)
	v_lshlrev_b64 v[1:2], 1, v[1:2]
	v_add_co_u32 v1, vcc_lo, s8, v1
	s_delay_alu instid0(VALU_DEP_2) | instskip(SKIP_2) | instid1(SALU_CYCLE_1)
	v_add_co_ci_u32_e32 v2, vcc_lo, s9, v2, vcc_lo
	global_store_b16 v[1:2], v10, off
	s_or_b32 exec_lo, exec_lo, s0
	s_mov_b32 s0, exec_lo
	v_cmpx_gt_i32_e64 s12, v0
	s_cbranch_execnz .LBB19_83
.LBB19_73:
	s_or_b32 exec_lo, exec_lo, s0
	s_delay_alu instid0(SALU_CYCLE_1)
	s_mov_b32 s0, exec_lo
	v_cmpx_gt_i32_e64 s12, v0
	s_cbranch_execz .LBB19_75
.LBB19_74:
	v_dual_mov_b32 v1, 0 :: v_dual_add_nc_u32 v0, s2, v0
	s_delay_alu instid0(VALU_DEP_1) | instskip(NEXT) | instid1(VALU_DEP_1)
	v_lshlrev_b64 v[0:1], 1, v[0:1]
	v_add_co_u32 v0, vcc_lo, s8, v0
	s_delay_alu instid0(VALU_DEP_2)
	v_add_co_ci_u32_e32 v1, vcc_lo, s9, v1, vcc_lo
	global_store_b16 v[0:1], v7, off
.LBB19_75:
	s_nop 0
	s_sendmsg sendmsg(MSG_DEALLOC_VGPRS)
	s_endpgm
.LBB19_76:
	s_or_b32 exec_lo, exec_lo, s1
	s_and_saveexec_b32 s0, vcc_lo
	s_delay_alu instid0(SALU_CYCLE_1)
	s_xor_b32 s0, exec_lo, s0
	s_cbranch_execz .LBB19_67
.LBB19_77:
	v_mov_b32_e32 v2, 0
	s_delay_alu instid0(VALU_DEP_1) | instskip(NEXT) | instid1(VALU_DEP_1)
	v_lshlrev_b64 v[0:1], 1, v[1:2]
	v_add_co_u32 v12, vcc_lo, s8, v0
	s_delay_alu instid0(VALU_DEP_2) | instskip(SKIP_3) | instid1(SALU_CYCLE_1)
	v_add_co_ci_u32_e32 v13, vcc_lo, s9, v1, vcc_lo
	v_mov_b32_e32 v0, v3
	global_store_b16 v[12:13], v5, off
	s_or_b32 exec_lo, exec_lo, s0
	s_mov_b32 s0, exec_lo
	v_cmpx_gt_i32_e64 s12, v0
	s_cbranch_execnz .LBB19_68
.LBB19_78:
	s_or_b32 exec_lo, exec_lo, s0
	s_delay_alu instid0(SALU_CYCLE_1)
	s_mov_b32 s0, exec_lo
	v_cmpx_gt_i32_e64 s12, v0
	s_cbranch_execz .LBB19_69
.LBB19_79:
	v_dual_mov_b32 v2, 0 :: v_dual_add_nc_u32 v1, s2, v0
	v_add_nc_u32_e32 v0, 0x100, v0
	s_delay_alu instid0(VALU_DEP_2) | instskip(NEXT) | instid1(VALU_DEP_1)
	v_lshlrev_b64 v[1:2], 1, v[1:2]
	v_add_co_u32 v1, vcc_lo, s8, v1
	s_delay_alu instid0(VALU_DEP_2) | instskip(SKIP_2) | instid1(SALU_CYCLE_1)
	v_add_co_ci_u32_e32 v2, vcc_lo, s9, v2, vcc_lo
	global_store_b16 v[1:2], v9, off
	s_or_b32 exec_lo, exec_lo, s0
	s_mov_b32 s0, exec_lo
	v_cmpx_gt_i32_e64 s12, v0
	s_cbranch_execnz .LBB19_70
.LBB19_80:
	s_or_b32 exec_lo, exec_lo, s0
	s_delay_alu instid0(SALU_CYCLE_1)
	s_mov_b32 s0, exec_lo
	v_cmpx_gt_i32_e64 s12, v0
	s_cbranch_execz .LBB19_71
.LBB19_81:
	v_dual_mov_b32 v2, 0 :: v_dual_add_nc_u32 v1, s2, v0
	v_add_nc_u32_e32 v0, 0x100, v0
	s_delay_alu instid0(VALU_DEP_2) | instskip(NEXT) | instid1(VALU_DEP_1)
	v_lshlrev_b64 v[1:2], 1, v[1:2]
	v_add_co_u32 v1, vcc_lo, s8, v1
	s_delay_alu instid0(VALU_DEP_2) | instskip(SKIP_2) | instid1(SALU_CYCLE_1)
	v_add_co_ci_u32_e32 v2, vcc_lo, s9, v2, vcc_lo
	global_store_b16 v[1:2], v6, off
	s_or_b32 exec_lo, exec_lo, s0
	s_mov_b32 s0, exec_lo
	v_cmpx_gt_i32_e64 s12, v0
	s_cbranch_execnz .LBB19_72
.LBB19_82:
	s_or_b32 exec_lo, exec_lo, s0
	s_delay_alu instid0(SALU_CYCLE_1)
	s_mov_b32 s0, exec_lo
	v_cmpx_gt_i32_e64 s12, v0
	s_cbranch_execz .LBB19_73
.LBB19_83:
	v_dual_mov_b32 v2, 0 :: v_dual_add_nc_u32 v1, s2, v0
	v_add_nc_u32_e32 v0, 0x100, v0
	s_delay_alu instid0(VALU_DEP_2) | instskip(NEXT) | instid1(VALU_DEP_1)
	v_lshlrev_b64 v[1:2], 1, v[1:2]
	v_add_co_u32 v1, vcc_lo, s8, v1
	s_delay_alu instid0(VALU_DEP_2) | instskip(SKIP_2) | instid1(SALU_CYCLE_1)
	v_add_co_ci_u32_e32 v2, vcc_lo, s9, v2, vcc_lo
	global_store_b16 v[1:2], v4, off
	s_or_b32 exec_lo, exec_lo, s0
	s_mov_b32 s0, exec_lo
	v_cmpx_gt_i32_e64 s12, v0
	s_cbranch_execnz .LBB19_74
	s_branch .LBB19_75
	.section	.rodata,"a",@progbits
	.p2align	6, 0x0
	.amdhsa_kernel _ZN2at6native29vectorized_elementwise_kernelILi4EZZZNS0_12_GLOBAL__N_139_amp_non_finite_check_and_unscale_cuda_ERNS_6TensorES4_RKS3_ENKUlvE_clEvENKUlvE1_clEvEUlN3c104HalfEE_St5arrayIPcLm2EEEEviT0_T1_
		.amdhsa_group_segment_fixed_size 0
		.amdhsa_private_segment_fixed_size 0
		.amdhsa_kernarg_size 40
		.amdhsa_user_sgpr_count 15
		.amdhsa_user_sgpr_dispatch_ptr 0
		.amdhsa_user_sgpr_queue_ptr 0
		.amdhsa_user_sgpr_kernarg_segment_ptr 1
		.amdhsa_user_sgpr_dispatch_id 0
		.amdhsa_user_sgpr_private_segment_size 0
		.amdhsa_wavefront_size32 1
		.amdhsa_uses_dynamic_stack 0
		.amdhsa_enable_private_segment 0
		.amdhsa_system_sgpr_workgroup_id_x 1
		.amdhsa_system_sgpr_workgroup_id_y 0
		.amdhsa_system_sgpr_workgroup_id_z 0
		.amdhsa_system_sgpr_workgroup_info 0
		.amdhsa_system_vgpr_workitem_id 0
		.amdhsa_next_free_vgpr 27
		.amdhsa_next_free_sgpr 16
		.amdhsa_reserve_vcc 1
		.amdhsa_float_round_mode_32 0
		.amdhsa_float_round_mode_16_64 0
		.amdhsa_float_denorm_mode_32 3
		.amdhsa_float_denorm_mode_16_64 3
		.amdhsa_dx10_clamp 1
		.amdhsa_ieee_mode 1
		.amdhsa_fp16_overflow 0
		.amdhsa_workgroup_processor_mode 1
		.amdhsa_memory_ordered 1
		.amdhsa_forward_progress 0
		.amdhsa_shared_vgpr_count 0
		.amdhsa_exception_fp_ieee_invalid_op 0
		.amdhsa_exception_fp_denorm_src 0
		.amdhsa_exception_fp_ieee_div_zero 0
		.amdhsa_exception_fp_ieee_overflow 0
		.amdhsa_exception_fp_ieee_underflow 0
		.amdhsa_exception_fp_ieee_inexact 0
		.amdhsa_exception_int_div_zero 0
	.end_amdhsa_kernel
	.section	.text._ZN2at6native29vectorized_elementwise_kernelILi4EZZZNS0_12_GLOBAL__N_139_amp_non_finite_check_and_unscale_cuda_ERNS_6TensorES4_RKS3_ENKUlvE_clEvENKUlvE1_clEvEUlN3c104HalfEE_St5arrayIPcLm2EEEEviT0_T1_,"axG",@progbits,_ZN2at6native29vectorized_elementwise_kernelILi4EZZZNS0_12_GLOBAL__N_139_amp_non_finite_check_and_unscale_cuda_ERNS_6TensorES4_RKS3_ENKUlvE_clEvENKUlvE1_clEvEUlN3c104HalfEE_St5arrayIPcLm2EEEEviT0_T1_,comdat
.Lfunc_end19:
	.size	_ZN2at6native29vectorized_elementwise_kernelILi4EZZZNS0_12_GLOBAL__N_139_amp_non_finite_check_and_unscale_cuda_ERNS_6TensorES4_RKS3_ENKUlvE_clEvENKUlvE1_clEvEUlN3c104HalfEE_St5arrayIPcLm2EEEEviT0_T1_, .Lfunc_end19-_ZN2at6native29vectorized_elementwise_kernelILi4EZZZNS0_12_GLOBAL__N_139_amp_non_finite_check_and_unscale_cuda_ERNS_6TensorES4_RKS3_ENKUlvE_clEvENKUlvE1_clEvEUlN3c104HalfEE_St5arrayIPcLm2EEEEviT0_T1_
                                        ; -- End function
	.section	.AMDGPU.csdata,"",@progbits
; Kernel info:
; codeLenInByte = 3336
; NumSgprs: 18
; NumVgprs: 27
; ScratchSize: 0
; MemoryBound: 0
; FloatMode: 240
; IeeeMode: 1
; LDSByteSize: 0 bytes/workgroup (compile time only)
; SGPRBlocks: 2
; VGPRBlocks: 3
; NumSGPRsForWavesPerEU: 18
; NumVGPRsForWavesPerEU: 27
; Occupancy: 16
; WaveLimiterHint : 1
; COMPUTE_PGM_RSRC2:SCRATCH_EN: 0
; COMPUTE_PGM_RSRC2:USER_SGPR: 15
; COMPUTE_PGM_RSRC2:TRAP_HANDLER: 0
; COMPUTE_PGM_RSRC2:TGID_X_EN: 1
; COMPUTE_PGM_RSRC2:TGID_Y_EN: 0
; COMPUTE_PGM_RSRC2:TGID_Z_EN: 0
; COMPUTE_PGM_RSRC2:TIDIG_COMP_CNT: 0
	.section	.text._ZN2at6native29vectorized_elementwise_kernelILi2EZZZNS0_12_GLOBAL__N_139_amp_non_finite_check_and_unscale_cuda_ERNS_6TensorES4_RKS3_ENKUlvE_clEvENKUlvE1_clEvEUlN3c104HalfEE_St5arrayIPcLm2EEEEviT0_T1_,"axG",@progbits,_ZN2at6native29vectorized_elementwise_kernelILi2EZZZNS0_12_GLOBAL__N_139_amp_non_finite_check_and_unscale_cuda_ERNS_6TensorES4_RKS3_ENKUlvE_clEvENKUlvE1_clEvEUlN3c104HalfEE_St5arrayIPcLm2EEEEviT0_T1_,comdat
	.globl	_ZN2at6native29vectorized_elementwise_kernelILi2EZZZNS0_12_GLOBAL__N_139_amp_non_finite_check_and_unscale_cuda_ERNS_6TensorES4_RKS3_ENKUlvE_clEvENKUlvE1_clEvEUlN3c104HalfEE_St5arrayIPcLm2EEEEviT0_T1_ ; -- Begin function _ZN2at6native29vectorized_elementwise_kernelILi2EZZZNS0_12_GLOBAL__N_139_amp_non_finite_check_and_unscale_cuda_ERNS_6TensorES4_RKS3_ENKUlvE_clEvENKUlvE1_clEvEUlN3c104HalfEE_St5arrayIPcLm2EEEEviT0_T1_
	.p2align	8
	.type	_ZN2at6native29vectorized_elementwise_kernelILi2EZZZNS0_12_GLOBAL__N_139_amp_non_finite_check_and_unscale_cuda_ERNS_6TensorES4_RKS3_ENKUlvE_clEvENKUlvE1_clEvEUlN3c104HalfEE_St5arrayIPcLm2EEEEviT0_T1_,@function
_ZN2at6native29vectorized_elementwise_kernelILi2EZZZNS0_12_GLOBAL__N_139_amp_non_finite_check_and_unscale_cuda_ERNS_6TensorES4_RKS3_ENKUlvE_clEvENKUlvE1_clEvEUlN3c104HalfEE_St5arrayIPcLm2EEEEviT0_T1_: ; @_ZN2at6native29vectorized_elementwise_kernelILi2EZZZNS0_12_GLOBAL__N_139_amp_non_finite_check_and_unscale_cuda_ERNS_6TensorES4_RKS3_ENKUlvE_clEvENKUlvE1_clEvEUlN3c104HalfEE_St5arrayIPcLm2EEEEviT0_T1_
; %bb.0:
	s_clause 0x1
	s_load_b32 s3, s[0:1], 0x0
	s_load_b256 s[4:11], s[0:1], 0x8
	s_lshl_b32 s2, s15, 11
	s_mov_b32 s0, -1
	s_waitcnt lgkmcnt(0)
	s_sub_i32 s12, s3, s2
	s_delay_alu instid0(SALU_CYCLE_1)
	s_cmpk_gt_i32 s12, 0x7ff
	s_cbranch_scc0 .LBB20_18
; %bb.1:
	s_ashr_i32 s3, s2, 31
	v_lshlrev_b32_e32 v1, 2, v0
	s_lshl_b64 s[0:1], s[2:3], 1
	v_mov_b32_e32 v5, 0
	s_add_u32 s14, s10, s0
	s_addc_u32 s15, s11, s1
	s_mov_b32 s3, exec_lo
	s_clause 0x3
	global_load_b32 v2, v1, s[14:15]
	global_load_b32 v3, v1, s[14:15] offset:1024
	global_load_b32 v6, v1, s[14:15] offset:2048
	;; [unrolled: 1-line block ×3, first 2 shown]
	s_waitcnt vmcnt(3)
	v_cvt_f32_f16_e32 v4, v2
	s_delay_alu instid0(VALU_DEP_1)
	v_cmpx_nlg_f32_e64 0x7f800000, |v4|
	s_cbranch_execz .LBB20_3
; %bb.2:
	v_mov_b32_e32 v7, 1.0
	global_store_b32 v5, v7, s[4:5]
.LBB20_3:
	s_or_b32 exec_lo, exec_lo, s3
	global_load_b32 v5, v5, s[6:7]
	v_lshrrev_b32_e32 v7, 16, v2
	s_mov_b32 s3, exec_lo
	s_delay_alu instid0(VALU_DEP_1) | instskip(SKIP_2) | instid1(VALU_DEP_2)
	v_cvt_f32_f16_e32 v10, v7
	s_waitcnt vmcnt(0)
	v_mov_b32_e32 v9, v5
	v_cmpx_nlg_f32_e64 0x7f800000, |v10|
	s_cbranch_execz .LBB20_5
; %bb.4:
	v_mov_b32_e32 v9, 0
	v_mov_b32_e32 v11, 1.0
	global_store_b32 v9, v11, s[4:5]
	global_load_b32 v9, v9, s[6:7]
.LBB20_5:
	s_or_b32 exec_lo, exec_lo, s3
	v_cvt_f32_f16_e32 v11, v3
	s_waitcnt vmcnt(0)
	v_mov_b32_e32 v12, v9
	s_mov_b32 s3, exec_lo
	s_delay_alu instid0(VALU_DEP_2)
	v_cmpx_nlg_f32_e64 0x7f800000, |v11|
	s_cbranch_execz .LBB20_7
; %bb.6:
	v_dual_mov_b32 v12, 0 :: v_dual_mov_b32 v13, 1.0
	global_store_b32 v12, v13, s[4:5]
	global_load_b32 v12, v12, s[6:7]
.LBB20_7:
	s_or_b32 exec_lo, exec_lo, s3
	v_lshrrev_b32_e32 v13, 16, v3
	s_waitcnt vmcnt(0)
	v_mov_b32_e32 v15, v12
	s_mov_b32 s3, exec_lo
	s_delay_alu instid0(VALU_DEP_2) | instskip(NEXT) | instid1(VALU_DEP_1)
	v_cvt_f32_f16_e32 v14, v13
	v_cmpx_nlg_f32_e64 0x7f800000, |v14|
	s_cbranch_execz .LBB20_9
; %bb.8:
	v_dual_mov_b32 v15, 0 :: v_dual_mov_b32 v16, 1.0
	global_store_b32 v15, v16, s[4:5]
	global_load_b32 v15, v15, s[6:7]
.LBB20_9:
	s_or_b32 exec_lo, exec_lo, s3
	v_cvt_f32_f16_e32 v17, v6
	s_waitcnt vmcnt(0)
	v_mov_b32_e32 v16, v15
	s_mov_b32 s3, exec_lo
	s_delay_alu instid0(VALU_DEP_2)
	v_cmpx_nlg_f32_e64 0x7f800000, |v17|
	s_cbranch_execz .LBB20_11
; %bb.10:
	v_mov_b32_e32 v16, 0
	v_mov_b32_e32 v18, 1.0
	global_store_b32 v16, v18, s[4:5]
	global_load_b32 v16, v16, s[6:7]
.LBB20_11:
	s_or_b32 exec_lo, exec_lo, s3
	v_lshrrev_b32_e32 v18, 16, v6
	s_waitcnt vmcnt(0)
	v_mov_b32_e32 v21, v16
	s_mov_b32 s3, exec_lo
	s_delay_alu instid0(VALU_DEP_2) | instskip(NEXT) | instid1(VALU_DEP_1)
	v_cvt_f32_f16_e32 v19, v18
	v_cmpx_nlg_f32_e64 0x7f800000, |v19|
	s_cbranch_execz .LBB20_13
; %bb.12:
	v_dual_mov_b32 v20, 0 :: v_dual_mov_b32 v21, 1.0
	global_store_b32 v20, v21, s[4:5]
	global_load_b32 v21, v20, s[6:7]
.LBB20_13:
	s_or_b32 exec_lo, exec_lo, s3
	v_cvt_f32_f16_e32 v25, v8
	s_waitcnt vmcnt(0)
	v_mov_b32_e32 v24, v21
	s_mov_b32 s3, exec_lo
	s_delay_alu instid0(VALU_DEP_2)
	v_cmpx_nlg_f32_e64 0x7f800000, |v25|
	s_cbranch_execz .LBB20_15
; %bb.14:
	v_mov_b32_e32 v20, 0
	v_mov_b32_e32 v22, 1.0
	global_store_b32 v20, v22, s[4:5]
	global_load_b32 v24, v20, s[6:7]
.LBB20_15:
	s_or_b32 exec_lo, exec_lo, s3
	v_lshrrev_b32_e32 v20, 16, v8
	s_waitcnt vmcnt(0)
	v_mov_b32_e32 v23, v24
	s_mov_b32 s3, exec_lo
	s_delay_alu instid0(VALU_DEP_2) | instskip(NEXT) | instid1(VALU_DEP_1)
	v_cvt_f32_f16_e32 v22, v20
	v_cmpx_nlg_f32_e64 0x7f800000, |v22|
	s_cbranch_execz .LBB20_17
; %bb.16:
	v_dual_mov_b32 v23, 0 :: v_dual_mov_b32 v26, 1.0
	global_store_b32 v23, v26, s[4:5]
	global_load_b32 v23, v23, s[6:7]
.LBB20_17:
	s_or_b32 exec_lo, exec_lo, s3
	v_fma_mixlo_f16 v25, v24, v25, 0
	v_cmp_eq_f32_e32 vcc_lo, 1.0, v24
	v_fma_mixlo_f16 v19, v21, v19, 0
	v_fma_mixlo_f16 v14, v15, v14, 0
	;; [unrolled: 1-line block ×4, first 2 shown]
	v_cndmask_b32_e32 v8, v25, v8, vcc_lo
	v_cmp_eq_f32_e32 vcc_lo, 1.0, v21
	v_fma_mixlo_f16 v11, v12, v11, 0
	v_fma_mixlo_f16 v4, v5, v4, 0
	s_add_u32 s14, s8, s0
	s_addc_u32 s15, s9, s1
	v_cndmask_b32_e32 v18, v19, v18, vcc_lo
	v_cmp_eq_f32_e32 vcc_lo, 1.0, v16
	s_mov_b32 s0, 0
	v_cndmask_b32_e32 v6, v17, v6, vcc_lo
	v_cmp_eq_f32_e32 vcc_lo, 1.0, v15
	v_cndmask_b32_e32 v13, v14, v13, vcc_lo
	v_cmp_eq_f32_e32 vcc_lo, 1.0, v12
	v_dual_cndmask_b32 v3, v11, v3 :: v_dual_and_b32 v8, 0xffff, v8
	v_cmp_eq_f32_e32 vcc_lo, 1.0, v9
	s_waitcnt vmcnt(0)
	v_fma_mixlo_f16 v11, v23, v22, 0
	v_and_b32_e32 v6, 0xffff, v6
	v_and_b32_e32 v3, 0xffff, v3
	v_cndmask_b32_e32 v7, v10, v7, vcc_lo
	v_cmp_eq_f32_e32 vcc_lo, 1.0, v5
	v_lshlrev_b32_e32 v9, 16, v18
	s_delay_alu instid0(VALU_DEP_3) | instskip(SKIP_2) | instid1(VALU_DEP_3)
	v_dual_cndmask_b32 v2, v4, v2 :: v_dual_lshlrev_b32 v5, 16, v7
	v_cmp_eq_f32_e32 vcc_lo, 1.0, v23
	v_lshlrev_b32_e32 v7, 16, v13
	v_and_b32_e32 v2, 0xffff, v2
	v_cndmask_b32_e32 v4, v11, v20, vcc_lo
	s_delay_alu instid0(VALU_DEP_3) | instskip(NEXT) | instid1(VALU_DEP_3)
	v_or_b32_e32 v3, v7, v3
	v_or_b32_e32 v2, v5, v2
	s_delay_alu instid0(VALU_DEP_3) | instskip(SKIP_1) | instid1(VALU_DEP_2)
	v_lshlrev_b32_e32 v4, 16, v4
	v_or_b32_e32 v5, v9, v6
	v_or_b32_e32 v4, v4, v8
	s_clause 0x3
	global_store_b32 v1, v2, s[14:15]
	global_store_b32 v1, v3, s[14:15] offset:1024
	global_store_b32 v1, v5, s[14:15] offset:2048
	;; [unrolled: 1-line block ×3, first 2 shown]
.LBB20_18:
	s_and_b32 vcc_lo, exec_lo, s0
	s_cbranch_vccz .LBB20_75
; %bb.19:
	v_cmp_gt_i32_e32 vcc_lo, s12, v0
	v_dual_mov_b32 v9, 0 :: v_dual_mov_b32 v8, 0
	v_or_b32_e32 v1, s2, v0
	v_or_b32_e32 v3, 0x100, v0
	v_mov_b32_e32 v5, v0
	s_and_saveexec_b32 s1, vcc_lo
	s_cbranch_execz .LBB20_21
; %bb.20:
	v_mov_b32_e32 v2, 0
	s_delay_alu instid0(VALU_DEP_1) | instskip(NEXT) | instid1(VALU_DEP_1)
	v_lshlrev_b64 v[4:5], 1, v[1:2]
	v_add_co_u32 v4, s0, s10, v4
	s_delay_alu instid0(VALU_DEP_1)
	v_add_co_ci_u32_e64 v5, s0, s11, v5, s0
	global_load_u16 v8, v[4:5], off
	v_or_b32_e32 v5, 0x100, v0
.LBB20_21:
	s_or_b32 exec_lo, exec_lo, s1
	s_delay_alu instid0(SALU_CYCLE_1) | instskip(NEXT) | instid1(VALU_DEP_1)
	s_mov_b32 s1, exec_lo
	v_cmpx_gt_i32_e64 s12, v5
	s_cbranch_execz .LBB20_23
; %bb.22:
	v_dual_mov_b32 v7, 0 :: v_dual_add_nc_u32 v6, s2, v5
	v_add_nc_u32_e32 v5, 0x100, v5
	s_delay_alu instid0(VALU_DEP_2) | instskip(NEXT) | instid1(VALU_DEP_1)
	v_lshlrev_b64 v[6:7], 1, v[6:7]
	v_add_co_u32 v6, s0, s10, v6
	s_delay_alu instid0(VALU_DEP_1)
	v_add_co_ci_u32_e64 v7, s0, s11, v7, s0
	global_load_u16 v9, v[6:7], off
.LBB20_23:
	s_or_b32 exec_lo, exec_lo, s1
	v_dual_mov_b32 v6, 0 :: v_dual_mov_b32 v11, 0
	s_mov_b32 s1, exec_lo
	v_cmpx_gt_i32_e64 s12, v5
	s_cbranch_execz .LBB20_25
; %bb.24:
	v_dual_mov_b32 v11, 0 :: v_dual_add_nc_u32 v10, s2, v5
	v_add_nc_u32_e32 v5, 0x100, v5
	s_delay_alu instid0(VALU_DEP_2) | instskip(NEXT) | instid1(VALU_DEP_1)
	v_lshlrev_b64 v[10:11], 1, v[10:11]
	v_add_co_u32 v10, s0, s10, v10
	s_delay_alu instid0(VALU_DEP_1)
	v_add_co_ci_u32_e64 v11, s0, s11, v11, s0
	global_load_u16 v11, v[10:11], off
.LBB20_25:
	s_or_b32 exec_lo, exec_lo, s1
	s_delay_alu instid0(SALU_CYCLE_1)
	s_mov_b32 s1, exec_lo
	v_cmpx_gt_i32_e64 s12, v5
	s_cbranch_execz .LBB20_27
; %bb.26:
	v_dual_mov_b32 v7, 0 :: v_dual_add_nc_u32 v6, s2, v5
	v_add_nc_u32_e32 v5, 0x100, v5
	s_delay_alu instid0(VALU_DEP_2) | instskip(NEXT) | instid1(VALU_DEP_1)
	v_lshlrev_b64 v[6:7], 1, v[6:7]
	v_add_co_u32 v6, s0, s10, v6
	s_delay_alu instid0(VALU_DEP_1)
	v_add_co_ci_u32_e64 v7, s0, s11, v7, s0
	global_load_u16 v6, v[6:7], off
.LBB20_27:
	s_or_b32 exec_lo, exec_lo, s1
	v_mov_b32_e32 v4, 0
	v_mov_b32_e32 v10, 0
	s_mov_b32 s1, exec_lo
	v_cmpx_gt_i32_e64 s12, v5
	s_cbranch_execz .LBB20_29
; %bb.28:
	v_dual_mov_b32 v13, 0 :: v_dual_add_nc_u32 v12, s2, v5
	v_add_nc_u32_e32 v5, 0x100, v5
	s_delay_alu instid0(VALU_DEP_2) | instskip(NEXT) | instid1(VALU_DEP_1)
	v_lshlrev_b64 v[12:13], 1, v[12:13]
	v_add_co_u32 v12, s0, s10, v12
	s_delay_alu instid0(VALU_DEP_1)
	v_add_co_ci_u32_e64 v13, s0, s11, v13, s0
	global_load_u16 v10, v[12:13], off
.LBB20_29:
	s_or_b32 exec_lo, exec_lo, s1
	s_delay_alu instid0(SALU_CYCLE_1)
	s_mov_b32 s1, exec_lo
	v_cmpx_gt_i32_e64 s12, v5
	s_cbranch_execz .LBB20_31
; %bb.30:
	v_dual_mov_b32 v13, 0 :: v_dual_add_nc_u32 v12, s2, v5
	v_add_nc_u32_e32 v5, 0x100, v5
	s_delay_alu instid0(VALU_DEP_2) | instskip(NEXT) | instid1(VALU_DEP_1)
	v_lshlrev_b64 v[12:13], 1, v[12:13]
	v_add_co_u32 v12, s0, s10, v12
	s_delay_alu instid0(VALU_DEP_1)
	v_add_co_ci_u32_e64 v13, s0, s11, v13, s0
	global_load_u16 v4, v[12:13], off
.LBB20_31:
	s_or_b32 exec_lo, exec_lo, s1
	v_dual_mov_b32 v2, 0 :: v_dual_mov_b32 v7, 0
	s_mov_b32 s1, exec_lo
	v_cmpx_gt_i32_e64 s12, v5
	s_cbranch_execz .LBB20_35
; %bb.32:
	v_dual_mov_b32 v13, 0 :: v_dual_add_nc_u32 v12, s2, v5
	v_add_nc_u32_e32 v5, 0x100, v5
	s_delay_alu instid0(VALU_DEP_2) | instskip(NEXT) | instid1(VALU_DEP_1)
	v_lshlrev_b64 v[12:13], 1, v[12:13]
	v_add_co_u32 v12, s0, s10, v12
	s_delay_alu instid0(VALU_DEP_1) | instskip(SKIP_2) | instid1(SALU_CYCLE_1)
	v_add_co_ci_u32_e64 v13, s0, s11, v13, s0
	global_load_u16 v7, v[12:13], off
	s_or_b32 exec_lo, exec_lo, s1
	s_mov_b32 s1, exec_lo
	v_cmpx_gt_i32_e64 s12, v5
	s_cbranch_execnz .LBB20_36
.LBB20_33:
	s_or_b32 exec_lo, exec_lo, s1
                                        ; implicit-def: $vgpr5
	s_and_saveexec_b32 s1, vcc_lo
	s_cbranch_execnz .LBB20_37
.LBB20_34:
	s_or_b32 exec_lo, exec_lo, s1
	s_delay_alu instid0(SALU_CYCLE_1)
	s_mov_b32 s1, exec_lo
                                        ; implicit-def: $vgpr8
	v_cmpx_gt_i32_e64 s12, v3
	s_cbranch_execz .LBB20_43
	s_branch .LBB20_40
.LBB20_35:
	s_or_b32 exec_lo, exec_lo, s1
	s_delay_alu instid0(SALU_CYCLE_1)
	s_mov_b32 s1, exec_lo
	v_cmpx_gt_i32_e64 s12, v5
	s_cbranch_execz .LBB20_33
.LBB20_36:
	v_dual_mov_b32 v13, 0 :: v_dual_add_nc_u32 v12, s2, v5
	s_delay_alu instid0(VALU_DEP_1) | instskip(NEXT) | instid1(VALU_DEP_1)
	v_lshlrev_b64 v[12:13], 1, v[12:13]
	v_add_co_u32 v12, s0, s10, v12
	s_delay_alu instid0(VALU_DEP_1)
	v_add_co_ci_u32_e64 v13, s0, s11, v13, s0
	global_load_u16 v2, v[12:13], off
	s_or_b32 exec_lo, exec_lo, s1
                                        ; implicit-def: $vgpr5
	s_and_saveexec_b32 s1, vcc_lo
	s_cbranch_execz .LBB20_34
.LBB20_37:
	s_waitcnt vmcnt(0)
	v_cvt_f32_f16_e32 v5, v8
	s_mov_b32 s0, exec_lo
	s_delay_alu instid0(VALU_DEP_1)
	v_cmpx_nlg_f32_e64 0x7f800000, |v5|
	s_cbranch_execz .LBB20_39
; %bb.38:
	v_dual_mov_b32 v12, 0 :: v_dual_mov_b32 v13, 1.0
	global_store_b32 v12, v13, s[4:5]
.LBB20_39:
	s_or_b32 exec_lo, exec_lo, s0
	v_mov_b32_e32 v12, 0
	global_load_b32 v12, v12, s[6:7]
	s_waitcnt vmcnt(0)
	v_fma_mixlo_f16 v5, v12, v5, 0
	v_cmp_eq_f32_e64 s0, 1.0, v12
	s_delay_alu instid0(VALU_DEP_1) | instskip(SKIP_1) | instid1(SALU_CYCLE_1)
	v_cndmask_b32_e64 v5, v5, v8, s0
	s_or_b32 exec_lo, exec_lo, s1
	s_mov_b32 s1, exec_lo
                                        ; implicit-def: $vgpr8
	v_cmpx_gt_i32_e64 s12, v3
	s_cbranch_execz .LBB20_43
.LBB20_40:
	s_waitcnt vmcnt(0)
	v_cvt_f32_f16_e32 v8, v9
	s_mov_b32 s0, exec_lo
	s_delay_alu instid0(VALU_DEP_1)
	v_cmpx_nlg_f32_e64 0x7f800000, |v8|
	s_cbranch_execz .LBB20_42
; %bb.41:
	v_dual_mov_b32 v12, 0 :: v_dual_mov_b32 v13, 1.0
	global_store_b32 v12, v13, s[4:5]
.LBB20_42:
	s_or_b32 exec_lo, exec_lo, s0
	v_mov_b32_e32 v12, 0
	global_load_b32 v12, v12, s[6:7]
	s_waitcnt vmcnt(0)
	v_fma_mixlo_f16 v8, v12, v8, 0
	v_cmp_eq_f32_e64 s0, 1.0, v12
	s_delay_alu instid0(VALU_DEP_1)
	v_cndmask_b32_e64 v8, v8, v9, s0
.LBB20_43:
	s_or_b32 exec_lo, exec_lo, s1
	s_waitcnt vmcnt(0)
	v_or_b32_e32 v9, 0x200, v0
	s_delay_alu instid0(VALU_DEP_1) | instskip(NEXT) | instid1(VALU_DEP_1)
	v_cmp_gt_i32_e64 s0, s12, v9
                                        ; implicit-def: $vgpr9
	s_and_saveexec_b32 s1, s0
	s_cbranch_execz .LBB20_47
; %bb.44:
	v_cvt_f32_f16_e32 v9, v11
	s_mov_b32 s0, exec_lo
	s_delay_alu instid0(VALU_DEP_1)
	v_cmpx_nlg_f32_e64 0x7f800000, |v9|
	s_cbranch_execz .LBB20_46
; %bb.45:
	v_dual_mov_b32 v12, 0 :: v_dual_mov_b32 v13, 1.0
	global_store_b32 v12, v13, s[4:5]
.LBB20_46:
	s_or_b32 exec_lo, exec_lo, s0
	v_mov_b32_e32 v12, 0
	global_load_b32 v12, v12, s[6:7]
	s_waitcnt vmcnt(0)
	v_fma_mixlo_f16 v9, v12, v9, 0
	v_cmp_eq_f32_e64 s0, 1.0, v12
	s_delay_alu instid0(VALU_DEP_1)
	v_cndmask_b32_e64 v9, v9, v11, s0
.LBB20_47:
	s_or_b32 exec_lo, exec_lo, s1
	v_or_b32_e32 v11, 0x300, v0
	s_delay_alu instid0(VALU_DEP_1) | instskip(NEXT) | instid1(VALU_DEP_1)
	v_cmp_gt_i32_e64 s0, s12, v11
                                        ; implicit-def: $vgpr11
	s_and_saveexec_b32 s1, s0
	s_cbranch_execz .LBB20_51
; %bb.48:
	v_cvt_f32_f16_e32 v11, v6
	s_mov_b32 s0, exec_lo
	s_delay_alu instid0(VALU_DEP_1)
	v_cmpx_nlg_f32_e64 0x7f800000, |v11|
	s_cbranch_execz .LBB20_50
; %bb.49:
	v_dual_mov_b32 v12, 0 :: v_dual_mov_b32 v13, 1.0
	global_store_b32 v12, v13, s[4:5]
.LBB20_50:
	s_or_b32 exec_lo, exec_lo, s0
	v_mov_b32_e32 v12, 0
	global_load_b32 v12, v12, s[6:7]
	s_waitcnt vmcnt(0)
	v_fma_mixlo_f16 v11, v12, v11, 0
	v_cmp_eq_f32_e64 s0, 1.0, v12
	s_delay_alu instid0(VALU_DEP_1)
	v_cndmask_b32_e64 v11, v11, v6, s0
.LBB20_51:
	s_or_b32 exec_lo, exec_lo, s1
	v_or_b32_e32 v6, 0x400, v0
	s_delay_alu instid0(VALU_DEP_1) | instskip(NEXT) | instid1(VALU_DEP_1)
	v_cmp_gt_i32_e64 s0, s12, v6
                                        ; implicit-def: $vgpr6
	s_and_saveexec_b32 s1, s0
	s_cbranch_execz .LBB20_55
; %bb.52:
	v_cvt_f32_f16_e32 v6, v10
	s_mov_b32 s0, exec_lo
	s_delay_alu instid0(VALU_DEP_1)
	v_cmpx_nlg_f32_e64 0x7f800000, |v6|
	s_cbranch_execz .LBB20_54
; %bb.53:
	v_dual_mov_b32 v12, 0 :: v_dual_mov_b32 v13, 1.0
	global_store_b32 v12, v13, s[4:5]
.LBB20_54:
	s_or_b32 exec_lo, exec_lo, s0
	v_mov_b32_e32 v12, 0
	global_load_b32 v12, v12, s[6:7]
	s_waitcnt vmcnt(0)
	v_fma_mixlo_f16 v6, v12, v6, 0
	v_cmp_eq_f32_e64 s0, 1.0, v12
	s_delay_alu instid0(VALU_DEP_1)
	v_cndmask_b32_e64 v6, v6, v10, s0
.LBB20_55:
	s_or_b32 exec_lo, exec_lo, s1
	v_or_b32_e32 v10, 0x500, v0
	s_delay_alu instid0(VALU_DEP_1) | instskip(NEXT) | instid1(VALU_DEP_1)
	v_cmp_gt_i32_e64 s0, s12, v10
                                        ; implicit-def: $vgpr10
	s_and_saveexec_b32 s1, s0
	s_cbranch_execz .LBB20_59
; %bb.56:
	v_cvt_f32_f16_e32 v10, v4
	s_mov_b32 s0, exec_lo
	s_delay_alu instid0(VALU_DEP_1)
	v_cmpx_nlg_f32_e64 0x7f800000, |v10|
	s_cbranch_execz .LBB20_58
; %bb.57:
	v_dual_mov_b32 v12, 0 :: v_dual_mov_b32 v13, 1.0
	global_store_b32 v12, v13, s[4:5]
.LBB20_58:
	s_or_b32 exec_lo, exec_lo, s0
	v_mov_b32_e32 v12, 0
	global_load_b32 v12, v12, s[6:7]
	s_waitcnt vmcnt(0)
	v_fma_mixlo_f16 v10, v12, v10, 0
	v_cmp_eq_f32_e64 s0, 1.0, v12
	s_delay_alu instid0(VALU_DEP_1)
	v_cndmask_b32_e64 v10, v10, v4, s0
.LBB20_59:
	s_or_b32 exec_lo, exec_lo, s1
	v_or_b32_e32 v4, 0x600, v0
	s_delay_alu instid0(VALU_DEP_1) | instskip(NEXT) | instid1(VALU_DEP_1)
	v_cmp_gt_i32_e64 s0, s12, v4
                                        ; implicit-def: $vgpr4
	s_and_saveexec_b32 s1, s0
	s_cbranch_execz .LBB20_63
; %bb.60:
	v_cvt_f32_f16_e32 v4, v7
	s_mov_b32 s0, exec_lo
	s_delay_alu instid0(VALU_DEP_1)
	v_cmpx_nlg_f32_e64 0x7f800000, |v4|
	s_cbranch_execz .LBB20_62
; %bb.61:
	v_dual_mov_b32 v12, 0 :: v_dual_mov_b32 v13, 1.0
	global_store_b32 v12, v13, s[4:5]
.LBB20_62:
	s_or_b32 exec_lo, exec_lo, s0
	v_mov_b32_e32 v12, 0
	global_load_b32 v12, v12, s[6:7]
	s_waitcnt vmcnt(0)
	v_fma_mixlo_f16 v4, v12, v4, 0
	v_cmp_eq_f32_e64 s0, 1.0, v12
	s_delay_alu instid0(VALU_DEP_1)
	v_cndmask_b32_e64 v4, v4, v7, s0
.LBB20_63:
	s_or_b32 exec_lo, exec_lo, s1
	v_or_b32_e32 v7, 0x700, v0
	s_delay_alu instid0(VALU_DEP_1) | instskip(NEXT) | instid1(VALU_DEP_1)
	v_cmp_gt_i32_e64 s0, s12, v7
                                        ; implicit-def: $vgpr7
	s_and_saveexec_b32 s1, s0
	s_cbranch_execz .LBB20_76
; %bb.64:
	v_cvt_f32_f16_e32 v7, v2
	s_mov_b32 s0, exec_lo
	s_delay_alu instid0(VALU_DEP_1)
	v_cmpx_nlg_f32_e64 0x7f800000, |v7|
	s_cbranch_execz .LBB20_66
; %bb.65:
	v_dual_mov_b32 v12, 0 :: v_dual_mov_b32 v13, 1.0
	global_store_b32 v12, v13, s[4:5]
.LBB20_66:
	s_or_b32 exec_lo, exec_lo, s0
	v_mov_b32_e32 v12, 0
	global_load_b32 v12, v12, s[6:7]
	s_waitcnt vmcnt(0)
	v_fma_mixlo_f16 v7, v12, v7, 0
	v_cmp_eq_f32_e64 s0, 1.0, v12
	s_delay_alu instid0(VALU_DEP_1) | instskip(SKIP_2) | instid1(SALU_CYCLE_1)
	v_cndmask_b32_e64 v7, v7, v2, s0
	s_or_b32 exec_lo, exec_lo, s1
	s_and_saveexec_b32 s0, vcc_lo
	s_xor_b32 s0, exec_lo, s0
	s_cbranch_execnz .LBB20_77
.LBB20_67:
	s_or_b32 exec_lo, exec_lo, s0
	s_delay_alu instid0(SALU_CYCLE_1)
	s_mov_b32 s0, exec_lo
	v_cmpx_gt_i32_e64 s12, v0
	s_cbranch_execz .LBB20_78
.LBB20_68:
	v_dual_mov_b32 v2, 0 :: v_dual_add_nc_u32 v1, s2, v0
	v_add_nc_u32_e32 v0, 0x100, v0
	s_delay_alu instid0(VALU_DEP_2) | instskip(NEXT) | instid1(VALU_DEP_1)
	v_lshlrev_b64 v[1:2], 1, v[1:2]
	v_add_co_u32 v1, vcc_lo, s8, v1
	s_delay_alu instid0(VALU_DEP_2) | instskip(SKIP_2) | instid1(SALU_CYCLE_1)
	v_add_co_ci_u32_e32 v2, vcc_lo, s9, v2, vcc_lo
	global_store_b16 v[1:2], v8, off
	s_or_b32 exec_lo, exec_lo, s0
	s_mov_b32 s0, exec_lo
	v_cmpx_gt_i32_e64 s12, v0
	s_cbranch_execnz .LBB20_79
.LBB20_69:
	s_or_b32 exec_lo, exec_lo, s0
	s_delay_alu instid0(SALU_CYCLE_1)
	s_mov_b32 s0, exec_lo
	v_cmpx_gt_i32_e64 s12, v0
	s_cbranch_execz .LBB20_80
.LBB20_70:
	v_dual_mov_b32 v2, 0 :: v_dual_add_nc_u32 v1, s2, v0
	v_add_nc_u32_e32 v0, 0x100, v0
	s_delay_alu instid0(VALU_DEP_2) | instskip(NEXT) | instid1(VALU_DEP_1)
	v_lshlrev_b64 v[1:2], 1, v[1:2]
	v_add_co_u32 v1, vcc_lo, s8, v1
	s_delay_alu instid0(VALU_DEP_2) | instskip(SKIP_2) | instid1(SALU_CYCLE_1)
	v_add_co_ci_u32_e32 v2, vcc_lo, s9, v2, vcc_lo
	global_store_b16 v[1:2], v11, off
	s_or_b32 exec_lo, exec_lo, s0
	s_mov_b32 s0, exec_lo
	v_cmpx_gt_i32_e64 s12, v0
	s_cbranch_execnz .LBB20_81
.LBB20_71:
	s_or_b32 exec_lo, exec_lo, s0
	s_delay_alu instid0(SALU_CYCLE_1)
	s_mov_b32 s0, exec_lo
	v_cmpx_gt_i32_e64 s12, v0
	s_cbranch_execz .LBB20_82
.LBB20_72:
	v_dual_mov_b32 v2, 0 :: v_dual_add_nc_u32 v1, s2, v0
	v_add_nc_u32_e32 v0, 0x100, v0
	s_delay_alu instid0(VALU_DEP_2) | instskip(NEXT) | instid1(VALU_DEP_1)
	v_lshlrev_b64 v[1:2], 1, v[1:2]
	v_add_co_u32 v1, vcc_lo, s8, v1
	s_delay_alu instid0(VALU_DEP_2) | instskip(SKIP_2) | instid1(SALU_CYCLE_1)
	v_add_co_ci_u32_e32 v2, vcc_lo, s9, v2, vcc_lo
	global_store_b16 v[1:2], v10, off
	s_or_b32 exec_lo, exec_lo, s0
	s_mov_b32 s0, exec_lo
	v_cmpx_gt_i32_e64 s12, v0
	s_cbranch_execnz .LBB20_83
.LBB20_73:
	s_or_b32 exec_lo, exec_lo, s0
	s_delay_alu instid0(SALU_CYCLE_1)
	s_mov_b32 s0, exec_lo
	v_cmpx_gt_i32_e64 s12, v0
	s_cbranch_execz .LBB20_75
.LBB20_74:
	v_dual_mov_b32 v1, 0 :: v_dual_add_nc_u32 v0, s2, v0
	s_delay_alu instid0(VALU_DEP_1) | instskip(NEXT) | instid1(VALU_DEP_1)
	v_lshlrev_b64 v[0:1], 1, v[0:1]
	v_add_co_u32 v0, vcc_lo, s8, v0
	s_delay_alu instid0(VALU_DEP_2)
	v_add_co_ci_u32_e32 v1, vcc_lo, s9, v1, vcc_lo
	global_store_b16 v[0:1], v7, off
.LBB20_75:
	s_nop 0
	s_sendmsg sendmsg(MSG_DEALLOC_VGPRS)
	s_endpgm
.LBB20_76:
	s_or_b32 exec_lo, exec_lo, s1
	s_and_saveexec_b32 s0, vcc_lo
	s_delay_alu instid0(SALU_CYCLE_1)
	s_xor_b32 s0, exec_lo, s0
	s_cbranch_execz .LBB20_67
.LBB20_77:
	v_mov_b32_e32 v2, 0
	s_delay_alu instid0(VALU_DEP_1) | instskip(NEXT) | instid1(VALU_DEP_1)
	v_lshlrev_b64 v[0:1], 1, v[1:2]
	v_add_co_u32 v12, vcc_lo, s8, v0
	s_delay_alu instid0(VALU_DEP_2) | instskip(SKIP_3) | instid1(SALU_CYCLE_1)
	v_add_co_ci_u32_e32 v13, vcc_lo, s9, v1, vcc_lo
	v_mov_b32_e32 v0, v3
	global_store_b16 v[12:13], v5, off
	s_or_b32 exec_lo, exec_lo, s0
	s_mov_b32 s0, exec_lo
	v_cmpx_gt_i32_e64 s12, v0
	s_cbranch_execnz .LBB20_68
.LBB20_78:
	s_or_b32 exec_lo, exec_lo, s0
	s_delay_alu instid0(SALU_CYCLE_1)
	s_mov_b32 s0, exec_lo
	v_cmpx_gt_i32_e64 s12, v0
	s_cbranch_execz .LBB20_69
.LBB20_79:
	v_dual_mov_b32 v2, 0 :: v_dual_add_nc_u32 v1, s2, v0
	v_add_nc_u32_e32 v0, 0x100, v0
	s_delay_alu instid0(VALU_DEP_2) | instskip(NEXT) | instid1(VALU_DEP_1)
	v_lshlrev_b64 v[1:2], 1, v[1:2]
	v_add_co_u32 v1, vcc_lo, s8, v1
	s_delay_alu instid0(VALU_DEP_2) | instskip(SKIP_2) | instid1(SALU_CYCLE_1)
	v_add_co_ci_u32_e32 v2, vcc_lo, s9, v2, vcc_lo
	global_store_b16 v[1:2], v9, off
	s_or_b32 exec_lo, exec_lo, s0
	s_mov_b32 s0, exec_lo
	v_cmpx_gt_i32_e64 s12, v0
	s_cbranch_execnz .LBB20_70
.LBB20_80:
	s_or_b32 exec_lo, exec_lo, s0
	s_delay_alu instid0(SALU_CYCLE_1)
	s_mov_b32 s0, exec_lo
	v_cmpx_gt_i32_e64 s12, v0
	s_cbranch_execz .LBB20_71
.LBB20_81:
	v_dual_mov_b32 v2, 0 :: v_dual_add_nc_u32 v1, s2, v0
	v_add_nc_u32_e32 v0, 0x100, v0
	s_delay_alu instid0(VALU_DEP_2) | instskip(NEXT) | instid1(VALU_DEP_1)
	v_lshlrev_b64 v[1:2], 1, v[1:2]
	v_add_co_u32 v1, vcc_lo, s8, v1
	s_delay_alu instid0(VALU_DEP_2) | instskip(SKIP_2) | instid1(SALU_CYCLE_1)
	v_add_co_ci_u32_e32 v2, vcc_lo, s9, v2, vcc_lo
	global_store_b16 v[1:2], v6, off
	s_or_b32 exec_lo, exec_lo, s0
	s_mov_b32 s0, exec_lo
	v_cmpx_gt_i32_e64 s12, v0
	s_cbranch_execnz .LBB20_72
.LBB20_82:
	s_or_b32 exec_lo, exec_lo, s0
	s_delay_alu instid0(SALU_CYCLE_1)
	s_mov_b32 s0, exec_lo
	v_cmpx_gt_i32_e64 s12, v0
	s_cbranch_execz .LBB20_73
.LBB20_83:
	v_dual_mov_b32 v2, 0 :: v_dual_add_nc_u32 v1, s2, v0
	v_add_nc_u32_e32 v0, 0x100, v0
	s_delay_alu instid0(VALU_DEP_2) | instskip(NEXT) | instid1(VALU_DEP_1)
	v_lshlrev_b64 v[1:2], 1, v[1:2]
	v_add_co_u32 v1, vcc_lo, s8, v1
	s_delay_alu instid0(VALU_DEP_2) | instskip(SKIP_2) | instid1(SALU_CYCLE_1)
	v_add_co_ci_u32_e32 v2, vcc_lo, s9, v2, vcc_lo
	global_store_b16 v[1:2], v4, off
	s_or_b32 exec_lo, exec_lo, s0
	s_mov_b32 s0, exec_lo
	v_cmpx_gt_i32_e64 s12, v0
	s_cbranch_execnz .LBB20_74
	s_branch .LBB20_75
	.section	.rodata,"a",@progbits
	.p2align	6, 0x0
	.amdhsa_kernel _ZN2at6native29vectorized_elementwise_kernelILi2EZZZNS0_12_GLOBAL__N_139_amp_non_finite_check_and_unscale_cuda_ERNS_6TensorES4_RKS3_ENKUlvE_clEvENKUlvE1_clEvEUlN3c104HalfEE_St5arrayIPcLm2EEEEviT0_T1_
		.amdhsa_group_segment_fixed_size 0
		.amdhsa_private_segment_fixed_size 0
		.amdhsa_kernarg_size 40
		.amdhsa_user_sgpr_count 15
		.amdhsa_user_sgpr_dispatch_ptr 0
		.amdhsa_user_sgpr_queue_ptr 0
		.amdhsa_user_sgpr_kernarg_segment_ptr 1
		.amdhsa_user_sgpr_dispatch_id 0
		.amdhsa_user_sgpr_private_segment_size 0
		.amdhsa_wavefront_size32 1
		.amdhsa_uses_dynamic_stack 0
		.amdhsa_enable_private_segment 0
		.amdhsa_system_sgpr_workgroup_id_x 1
		.amdhsa_system_sgpr_workgroup_id_y 0
		.amdhsa_system_sgpr_workgroup_id_z 0
		.amdhsa_system_sgpr_workgroup_info 0
		.amdhsa_system_vgpr_workitem_id 0
		.amdhsa_next_free_vgpr 27
		.amdhsa_next_free_sgpr 16
		.amdhsa_reserve_vcc 1
		.amdhsa_float_round_mode_32 0
		.amdhsa_float_round_mode_16_64 0
		.amdhsa_float_denorm_mode_32 3
		.amdhsa_float_denorm_mode_16_64 3
		.amdhsa_dx10_clamp 1
		.amdhsa_ieee_mode 1
		.amdhsa_fp16_overflow 0
		.amdhsa_workgroup_processor_mode 1
		.amdhsa_memory_ordered 1
		.amdhsa_forward_progress 0
		.amdhsa_shared_vgpr_count 0
		.amdhsa_exception_fp_ieee_invalid_op 0
		.amdhsa_exception_fp_denorm_src 0
		.amdhsa_exception_fp_ieee_div_zero 0
		.amdhsa_exception_fp_ieee_overflow 0
		.amdhsa_exception_fp_ieee_underflow 0
		.amdhsa_exception_fp_ieee_inexact 0
		.amdhsa_exception_int_div_zero 0
	.end_amdhsa_kernel
	.section	.text._ZN2at6native29vectorized_elementwise_kernelILi2EZZZNS0_12_GLOBAL__N_139_amp_non_finite_check_and_unscale_cuda_ERNS_6TensorES4_RKS3_ENKUlvE_clEvENKUlvE1_clEvEUlN3c104HalfEE_St5arrayIPcLm2EEEEviT0_T1_,"axG",@progbits,_ZN2at6native29vectorized_elementwise_kernelILi2EZZZNS0_12_GLOBAL__N_139_amp_non_finite_check_and_unscale_cuda_ERNS_6TensorES4_RKS3_ENKUlvE_clEvENKUlvE1_clEvEUlN3c104HalfEE_St5arrayIPcLm2EEEEviT0_T1_,comdat
.Lfunc_end20:
	.size	_ZN2at6native29vectorized_elementwise_kernelILi2EZZZNS0_12_GLOBAL__N_139_amp_non_finite_check_and_unscale_cuda_ERNS_6TensorES4_RKS3_ENKUlvE_clEvENKUlvE1_clEvEUlN3c104HalfEE_St5arrayIPcLm2EEEEviT0_T1_, .Lfunc_end20-_ZN2at6native29vectorized_elementwise_kernelILi2EZZZNS0_12_GLOBAL__N_139_amp_non_finite_check_and_unscale_cuda_ERNS_6TensorES4_RKS3_ENKUlvE_clEvENKUlvE1_clEvEUlN3c104HalfEE_St5arrayIPcLm2EEEEviT0_T1_
                                        ; -- End function
	.section	.AMDGPU.csdata,"",@progbits
; Kernel info:
; codeLenInByte = 3336
; NumSgprs: 18
; NumVgprs: 27
; ScratchSize: 0
; MemoryBound: 0
; FloatMode: 240
; IeeeMode: 1
; LDSByteSize: 0 bytes/workgroup (compile time only)
; SGPRBlocks: 2
; VGPRBlocks: 3
; NumSGPRsForWavesPerEU: 18
; NumVGPRsForWavesPerEU: 27
; Occupancy: 16
; WaveLimiterHint : 1
; COMPUTE_PGM_RSRC2:SCRATCH_EN: 0
; COMPUTE_PGM_RSRC2:USER_SGPR: 15
; COMPUTE_PGM_RSRC2:TRAP_HANDLER: 0
; COMPUTE_PGM_RSRC2:TGID_X_EN: 1
; COMPUTE_PGM_RSRC2:TGID_Y_EN: 0
; COMPUTE_PGM_RSRC2:TGID_Z_EN: 0
; COMPUTE_PGM_RSRC2:TIDIG_COMP_CNT: 0
	.section	.text._ZN2at6native27unrolled_elementwise_kernelIZZZNS0_12_GLOBAL__N_139_amp_non_finite_check_and_unscale_cuda_ERNS_6TensorES4_RKS3_ENKUlvE_clEvENKUlvE1_clEvEUlN3c104HalfEE_St5arrayIPcLm2EELi4E23TrivialOffsetCalculatorILi1EjESG_NS0_6memory15LoadWithoutCastENSH_16StoreWithoutCastEEEviT_T0_T2_T3_T4_T5_,"axG",@progbits,_ZN2at6native27unrolled_elementwise_kernelIZZZNS0_12_GLOBAL__N_139_amp_non_finite_check_and_unscale_cuda_ERNS_6TensorES4_RKS3_ENKUlvE_clEvENKUlvE1_clEvEUlN3c104HalfEE_St5arrayIPcLm2EELi4E23TrivialOffsetCalculatorILi1EjESG_NS0_6memory15LoadWithoutCastENSH_16StoreWithoutCastEEEviT_T0_T2_T3_T4_T5_,comdat
	.globl	_ZN2at6native27unrolled_elementwise_kernelIZZZNS0_12_GLOBAL__N_139_amp_non_finite_check_and_unscale_cuda_ERNS_6TensorES4_RKS3_ENKUlvE_clEvENKUlvE1_clEvEUlN3c104HalfEE_St5arrayIPcLm2EELi4E23TrivialOffsetCalculatorILi1EjESG_NS0_6memory15LoadWithoutCastENSH_16StoreWithoutCastEEEviT_T0_T2_T3_T4_T5_ ; -- Begin function _ZN2at6native27unrolled_elementwise_kernelIZZZNS0_12_GLOBAL__N_139_amp_non_finite_check_and_unscale_cuda_ERNS_6TensorES4_RKS3_ENKUlvE_clEvENKUlvE1_clEvEUlN3c104HalfEE_St5arrayIPcLm2EELi4E23TrivialOffsetCalculatorILi1EjESG_NS0_6memory15LoadWithoutCastENSH_16StoreWithoutCastEEEviT_T0_T2_T3_T4_T5_
	.p2align	8
	.type	_ZN2at6native27unrolled_elementwise_kernelIZZZNS0_12_GLOBAL__N_139_amp_non_finite_check_and_unscale_cuda_ERNS_6TensorES4_RKS3_ENKUlvE_clEvENKUlvE1_clEvEUlN3c104HalfEE_St5arrayIPcLm2EELi4E23TrivialOffsetCalculatorILi1EjESG_NS0_6memory15LoadWithoutCastENSH_16StoreWithoutCastEEEviT_T0_T2_T3_T4_T5_,@function
_ZN2at6native27unrolled_elementwise_kernelIZZZNS0_12_GLOBAL__N_139_amp_non_finite_check_and_unscale_cuda_ERNS_6TensorES4_RKS3_ENKUlvE_clEvENKUlvE1_clEvEUlN3c104HalfEE_St5arrayIPcLm2EELi4E23TrivialOffsetCalculatorILi1EjESG_NS0_6memory15LoadWithoutCastENSH_16StoreWithoutCastEEEviT_T0_T2_T3_T4_T5_: ; @_ZN2at6native27unrolled_elementwise_kernelIZZZNS0_12_GLOBAL__N_139_amp_non_finite_check_and_unscale_cuda_ERNS_6TensorES4_RKS3_ENKUlvE_clEvENKUlvE1_clEvEUlN3c104HalfEE_St5arrayIPcLm2EELi4E23TrivialOffsetCalculatorILi1EjESG_NS0_6memory15LoadWithoutCastENSH_16StoreWithoutCastEEEviT_T0_T2_T3_T4_T5_
; %bb.0:
	s_clause 0x1
	s_load_b32 s2, s[0:1], 0x0
	s_load_b256 s[4:11], s[0:1], 0x8
	s_lshl_b32 s1, s15, 10
	v_dual_mov_b32 v4, 0 :: v_dual_mov_b32 v7, 0
	v_or_b32_e32 v1, s1, v0
	v_or_b32_e32 v3, 0x100, v0
	v_mov_b32_e32 v6, v0
	s_waitcnt lgkmcnt(0)
	s_sub_i32 s2, s2, s1
	s_delay_alu instid0(SALU_CYCLE_1)
	v_cmp_gt_i32_e32 vcc_lo, s2, v0
	s_and_saveexec_b32 s3, vcc_lo
	s_cbranch_execz .LBB21_2
; %bb.1:
	v_mov_b32_e32 v2, 0
	s_delay_alu instid0(VALU_DEP_1) | instskip(NEXT) | instid1(VALU_DEP_1)
	v_lshlrev_b64 v[5:6], 1, v[1:2]
	v_add_co_u32 v5, s0, s10, v5
	s_delay_alu instid0(VALU_DEP_1)
	v_add_co_ci_u32_e64 v6, s0, s11, v6, s0
	global_load_u16 v7, v[5:6], off
	v_or_b32_e32 v6, 0x100, v0
.LBB21_2:
	s_or_b32 exec_lo, exec_lo, s3
	s_delay_alu instid0(SALU_CYCLE_1) | instskip(NEXT) | instid1(VALU_DEP_1)
	s_mov_b32 s3, exec_lo
	v_cmpx_gt_i32_e64 s2, v6
	s_cbranch_execz .LBB21_4
; %bb.3:
	v_dual_mov_b32 v5, 0 :: v_dual_add_nc_u32 v4, s1, v6
	v_add_nc_u32_e32 v6, 0x100, v6
	s_delay_alu instid0(VALU_DEP_2) | instskip(NEXT) | instid1(VALU_DEP_1)
	v_lshlrev_b64 v[4:5], 1, v[4:5]
	v_add_co_u32 v4, s0, s10, v4
	s_delay_alu instid0(VALU_DEP_1)
	v_add_co_ci_u32_e64 v5, s0, s11, v5, s0
	global_load_u16 v4, v[4:5], off
.LBB21_4:
	s_or_b32 exec_lo, exec_lo, s3
	v_dual_mov_b32 v2, 0 :: v_dual_mov_b32 v5, 0
	s_mov_b32 s3, exec_lo
	v_cmpx_gt_i32_e64 s2, v6
	s_cbranch_execz .LBB21_8
; %bb.5:
	v_dual_mov_b32 v9, 0 :: v_dual_add_nc_u32 v8, s1, v6
	v_add_nc_u32_e32 v6, 0x100, v6
	s_delay_alu instid0(VALU_DEP_2) | instskip(NEXT) | instid1(VALU_DEP_1)
	v_lshlrev_b64 v[8:9], 1, v[8:9]
	v_add_co_u32 v8, s0, s10, v8
	s_delay_alu instid0(VALU_DEP_1) | instskip(SKIP_2) | instid1(SALU_CYCLE_1)
	v_add_co_ci_u32_e64 v9, s0, s11, v9, s0
	global_load_u16 v5, v[8:9], off
	s_or_b32 exec_lo, exec_lo, s3
	s_mov_b32 s3, exec_lo
	v_cmpx_gt_i32_e64 s2, v6
	s_cbranch_execnz .LBB21_9
.LBB21_6:
	s_or_b32 exec_lo, exec_lo, s3
                                        ; implicit-def: $vgpr6
	s_and_saveexec_b32 s3, vcc_lo
	s_cbranch_execnz .LBB21_10
.LBB21_7:
	s_or_b32 exec_lo, exec_lo, s3
	s_delay_alu instid0(SALU_CYCLE_1)
	s_mov_b32 s3, exec_lo
                                        ; implicit-def: $vgpr7
	v_cmpx_gt_i32_e64 s2, v3
	s_cbranch_execz .LBB21_16
	s_branch .LBB21_13
.LBB21_8:
	s_or_b32 exec_lo, exec_lo, s3
	s_delay_alu instid0(SALU_CYCLE_1)
	s_mov_b32 s3, exec_lo
	v_cmpx_gt_i32_e64 s2, v6
	s_cbranch_execz .LBB21_6
.LBB21_9:
	v_dual_mov_b32 v9, 0 :: v_dual_add_nc_u32 v8, s1, v6
	s_delay_alu instid0(VALU_DEP_1) | instskip(NEXT) | instid1(VALU_DEP_1)
	v_lshlrev_b64 v[8:9], 1, v[8:9]
	v_add_co_u32 v8, s0, s10, v8
	s_delay_alu instid0(VALU_DEP_1)
	v_add_co_ci_u32_e64 v9, s0, s11, v9, s0
	global_load_u16 v2, v[8:9], off
	s_or_b32 exec_lo, exec_lo, s3
                                        ; implicit-def: $vgpr6
	s_and_saveexec_b32 s3, vcc_lo
	s_cbranch_execz .LBB21_7
.LBB21_10:
	s_waitcnt vmcnt(0)
	v_cvt_f32_f16_e32 v6, v7
	s_mov_b32 s0, exec_lo
	s_delay_alu instid0(VALU_DEP_1)
	v_cmpx_nlg_f32_e64 0x7f800000, |v6|
	s_cbranch_execz .LBB21_12
; %bb.11:
	v_dual_mov_b32 v8, 0 :: v_dual_mov_b32 v9, 1.0
	global_store_b32 v8, v9, s[4:5]
.LBB21_12:
	s_or_b32 exec_lo, exec_lo, s0
	v_mov_b32_e32 v8, 0
	global_load_b32 v8, v8, s[6:7]
	s_waitcnt vmcnt(0)
	v_fma_mixlo_f16 v6, v8, v6, 0
	v_cmp_eq_f32_e64 s0, 1.0, v8
	s_delay_alu instid0(VALU_DEP_1) | instskip(SKIP_1) | instid1(SALU_CYCLE_1)
	v_cndmask_b32_e64 v6, v6, v7, s0
	s_or_b32 exec_lo, exec_lo, s3
	s_mov_b32 s3, exec_lo
                                        ; implicit-def: $vgpr7
	v_cmpx_gt_i32_e64 s2, v3
	s_cbranch_execz .LBB21_16
.LBB21_13:
	s_waitcnt vmcnt(0)
	v_cvt_f32_f16_e32 v7, v4
	s_mov_b32 s0, exec_lo
	s_delay_alu instid0(VALU_DEP_1)
	v_cmpx_nlg_f32_e64 0x7f800000, |v7|
	s_cbranch_execz .LBB21_15
; %bb.14:
	v_dual_mov_b32 v8, 0 :: v_dual_mov_b32 v9, 1.0
	global_store_b32 v8, v9, s[4:5]
.LBB21_15:
	s_or_b32 exec_lo, exec_lo, s0
	v_mov_b32_e32 v8, 0
	global_load_b32 v8, v8, s[6:7]
	s_waitcnt vmcnt(0)
	v_fma_mixlo_f16 v7, v8, v7, 0
	v_cmp_eq_f32_e64 s0, 1.0, v8
	s_delay_alu instid0(VALU_DEP_1)
	v_cndmask_b32_e64 v7, v7, v4, s0
.LBB21_16:
	s_or_b32 exec_lo, exec_lo, s3
	s_waitcnt vmcnt(0)
	v_or_b32_e32 v4, 0x200, v0
	s_delay_alu instid0(VALU_DEP_1) | instskip(NEXT) | instid1(VALU_DEP_1)
	v_cmp_gt_i32_e64 s0, s2, v4
                                        ; implicit-def: $vgpr4
	s_and_saveexec_b32 s3, s0
	s_cbranch_execz .LBB21_20
; %bb.17:
	v_cvt_f32_f16_e32 v4, v5
	s_mov_b32 s0, exec_lo
	s_delay_alu instid0(VALU_DEP_1)
	v_cmpx_nlg_f32_e64 0x7f800000, |v4|
	s_cbranch_execz .LBB21_19
; %bb.18:
	v_dual_mov_b32 v8, 0 :: v_dual_mov_b32 v9, 1.0
	global_store_b32 v8, v9, s[4:5]
.LBB21_19:
	s_or_b32 exec_lo, exec_lo, s0
	v_mov_b32_e32 v8, 0
	global_load_b32 v8, v8, s[6:7]
	s_waitcnt vmcnt(0)
	v_fma_mixlo_f16 v4, v8, v4, 0
	v_cmp_eq_f32_e64 s0, 1.0, v8
	s_delay_alu instid0(VALU_DEP_1)
	v_cndmask_b32_e64 v4, v4, v5, s0
.LBB21_20:
	s_or_b32 exec_lo, exec_lo, s3
	v_or_b32_e32 v5, 0x300, v0
	s_delay_alu instid0(VALU_DEP_1) | instskip(NEXT) | instid1(VALU_DEP_1)
	v_cmp_gt_i32_e64 s0, s2, v5
                                        ; implicit-def: $vgpr5
	s_and_saveexec_b32 s3, s0
	s_cbranch_execz .LBB21_28
; %bb.21:
	v_cvt_f32_f16_e32 v5, v2
	s_mov_b32 s0, exec_lo
	s_delay_alu instid0(VALU_DEP_1)
	v_cmpx_nlg_f32_e64 0x7f800000, |v5|
	s_cbranch_execz .LBB21_23
; %bb.22:
	v_dual_mov_b32 v8, 0 :: v_dual_mov_b32 v9, 1.0
	global_store_b32 v8, v9, s[4:5]
.LBB21_23:
	s_or_b32 exec_lo, exec_lo, s0
	v_mov_b32_e32 v8, 0
	global_load_b32 v8, v8, s[6:7]
	s_waitcnt vmcnt(0)
	v_fma_mixlo_f16 v5, v8, v5, 0
	v_cmp_eq_f32_e64 s0, 1.0, v8
	s_delay_alu instid0(VALU_DEP_1) | instskip(SKIP_2) | instid1(SALU_CYCLE_1)
	v_cndmask_b32_e64 v5, v5, v2, s0
	s_or_b32 exec_lo, exec_lo, s3
	s_and_saveexec_b32 s0, vcc_lo
	s_xor_b32 s0, exec_lo, s0
	s_cbranch_execnz .LBB21_29
.LBB21_24:
	s_or_b32 exec_lo, exec_lo, s0
	s_delay_alu instid0(SALU_CYCLE_1)
	s_mov_b32 s0, exec_lo
	v_cmpx_gt_i32_e64 s2, v0
	s_cbranch_execz .LBB21_30
.LBB21_25:
	v_dual_mov_b32 v2, 0 :: v_dual_add_nc_u32 v1, s1, v0
	v_add_nc_u32_e32 v0, 0x100, v0
	s_delay_alu instid0(VALU_DEP_2) | instskip(NEXT) | instid1(VALU_DEP_1)
	v_lshlrev_b64 v[1:2], 1, v[1:2]
	v_add_co_u32 v1, vcc_lo, s8, v1
	s_delay_alu instid0(VALU_DEP_2) | instskip(SKIP_2) | instid1(SALU_CYCLE_1)
	v_add_co_ci_u32_e32 v2, vcc_lo, s9, v2, vcc_lo
	global_store_b16 v[1:2], v7, off
	s_or_b32 exec_lo, exec_lo, s0
	s_mov_b32 s0, exec_lo
	v_cmpx_gt_i32_e64 s2, v0
	s_cbranch_execnz .LBB21_31
.LBB21_26:
	s_or_b32 exec_lo, exec_lo, s0
	s_delay_alu instid0(SALU_CYCLE_1)
	s_mov_b32 s0, exec_lo
	v_cmpx_gt_i32_e64 s2, v0
	s_cbranch_execz .LBB21_32
.LBB21_27:
	v_dual_mov_b32 v1, 0 :: v_dual_add_nc_u32 v0, s1, v0
	s_delay_alu instid0(VALU_DEP_1) | instskip(NEXT) | instid1(VALU_DEP_1)
	v_lshlrev_b64 v[0:1], 1, v[0:1]
	v_add_co_u32 v0, vcc_lo, s8, v0
	s_delay_alu instid0(VALU_DEP_2)
	v_add_co_ci_u32_e32 v1, vcc_lo, s9, v1, vcc_lo
	global_store_b16 v[0:1], v5, off
	s_nop 0
	s_sendmsg sendmsg(MSG_DEALLOC_VGPRS)
	s_endpgm
.LBB21_28:
	s_or_b32 exec_lo, exec_lo, s3
	s_and_saveexec_b32 s0, vcc_lo
	s_delay_alu instid0(SALU_CYCLE_1)
	s_xor_b32 s0, exec_lo, s0
	s_cbranch_execz .LBB21_24
.LBB21_29:
	v_mov_b32_e32 v2, 0
	s_delay_alu instid0(VALU_DEP_1) | instskip(NEXT) | instid1(VALU_DEP_1)
	v_lshlrev_b64 v[0:1], 1, v[1:2]
	v_add_co_u32 v8, vcc_lo, s8, v0
	s_delay_alu instid0(VALU_DEP_2) | instskip(SKIP_3) | instid1(SALU_CYCLE_1)
	v_add_co_ci_u32_e32 v9, vcc_lo, s9, v1, vcc_lo
	v_mov_b32_e32 v0, v3
	global_store_b16 v[8:9], v6, off
	s_or_b32 exec_lo, exec_lo, s0
	s_mov_b32 s0, exec_lo
	v_cmpx_gt_i32_e64 s2, v0
	s_cbranch_execnz .LBB21_25
.LBB21_30:
	s_or_b32 exec_lo, exec_lo, s0
	s_delay_alu instid0(SALU_CYCLE_1)
	s_mov_b32 s0, exec_lo
	v_cmpx_gt_i32_e64 s2, v0
	s_cbranch_execz .LBB21_26
.LBB21_31:
	v_dual_mov_b32 v2, 0 :: v_dual_add_nc_u32 v1, s1, v0
	v_add_nc_u32_e32 v0, 0x100, v0
	s_delay_alu instid0(VALU_DEP_2) | instskip(NEXT) | instid1(VALU_DEP_1)
	v_lshlrev_b64 v[1:2], 1, v[1:2]
	v_add_co_u32 v1, vcc_lo, s8, v1
	s_delay_alu instid0(VALU_DEP_2) | instskip(SKIP_2) | instid1(SALU_CYCLE_1)
	v_add_co_ci_u32_e32 v2, vcc_lo, s9, v2, vcc_lo
	global_store_b16 v[1:2], v4, off
	s_or_b32 exec_lo, exec_lo, s0
	s_mov_b32 s0, exec_lo
	v_cmpx_gt_i32_e64 s2, v0
	s_cbranch_execnz .LBB21_27
.LBB21_32:
	s_nop 0
	s_sendmsg sendmsg(MSG_DEALLOC_VGPRS)
	s_endpgm
	.section	.rodata,"a",@progbits
	.p2align	6, 0x0
	.amdhsa_kernel _ZN2at6native27unrolled_elementwise_kernelIZZZNS0_12_GLOBAL__N_139_amp_non_finite_check_and_unscale_cuda_ERNS_6TensorES4_RKS3_ENKUlvE_clEvENKUlvE1_clEvEUlN3c104HalfEE_St5arrayIPcLm2EELi4E23TrivialOffsetCalculatorILi1EjESG_NS0_6memory15LoadWithoutCastENSH_16StoreWithoutCastEEEviT_T0_T2_T3_T4_T5_
		.amdhsa_group_segment_fixed_size 0
		.amdhsa_private_segment_fixed_size 0
		.amdhsa_kernarg_size 44
		.amdhsa_user_sgpr_count 15
		.amdhsa_user_sgpr_dispatch_ptr 0
		.amdhsa_user_sgpr_queue_ptr 0
		.amdhsa_user_sgpr_kernarg_segment_ptr 1
		.amdhsa_user_sgpr_dispatch_id 0
		.amdhsa_user_sgpr_private_segment_size 0
		.amdhsa_wavefront_size32 1
		.amdhsa_uses_dynamic_stack 0
		.amdhsa_enable_private_segment 0
		.amdhsa_system_sgpr_workgroup_id_x 1
		.amdhsa_system_sgpr_workgroup_id_y 0
		.amdhsa_system_sgpr_workgroup_id_z 0
		.amdhsa_system_sgpr_workgroup_info 0
		.amdhsa_system_vgpr_workitem_id 0
		.amdhsa_next_free_vgpr 10
		.amdhsa_next_free_sgpr 16
		.amdhsa_reserve_vcc 1
		.amdhsa_float_round_mode_32 0
		.amdhsa_float_round_mode_16_64 0
		.amdhsa_float_denorm_mode_32 3
		.amdhsa_float_denorm_mode_16_64 3
		.amdhsa_dx10_clamp 1
		.amdhsa_ieee_mode 1
		.amdhsa_fp16_overflow 0
		.amdhsa_workgroup_processor_mode 1
		.amdhsa_memory_ordered 1
		.amdhsa_forward_progress 0
		.amdhsa_shared_vgpr_count 0
		.amdhsa_exception_fp_ieee_invalid_op 0
		.amdhsa_exception_fp_denorm_src 0
		.amdhsa_exception_fp_ieee_div_zero 0
		.amdhsa_exception_fp_ieee_overflow 0
		.amdhsa_exception_fp_ieee_underflow 0
		.amdhsa_exception_fp_ieee_inexact 0
		.amdhsa_exception_int_div_zero 0
	.end_amdhsa_kernel
	.section	.text._ZN2at6native27unrolled_elementwise_kernelIZZZNS0_12_GLOBAL__N_139_amp_non_finite_check_and_unscale_cuda_ERNS_6TensorES4_RKS3_ENKUlvE_clEvENKUlvE1_clEvEUlN3c104HalfEE_St5arrayIPcLm2EELi4E23TrivialOffsetCalculatorILi1EjESG_NS0_6memory15LoadWithoutCastENSH_16StoreWithoutCastEEEviT_T0_T2_T3_T4_T5_,"axG",@progbits,_ZN2at6native27unrolled_elementwise_kernelIZZZNS0_12_GLOBAL__N_139_amp_non_finite_check_and_unscale_cuda_ERNS_6TensorES4_RKS3_ENKUlvE_clEvENKUlvE1_clEvEUlN3c104HalfEE_St5arrayIPcLm2EELi4E23TrivialOffsetCalculatorILi1EjESG_NS0_6memory15LoadWithoutCastENSH_16StoreWithoutCastEEEviT_T0_T2_T3_T4_T5_,comdat
.Lfunc_end21:
	.size	_ZN2at6native27unrolled_elementwise_kernelIZZZNS0_12_GLOBAL__N_139_amp_non_finite_check_and_unscale_cuda_ERNS_6TensorES4_RKS3_ENKUlvE_clEvENKUlvE1_clEvEUlN3c104HalfEE_St5arrayIPcLm2EELi4E23TrivialOffsetCalculatorILi1EjESG_NS0_6memory15LoadWithoutCastENSH_16StoreWithoutCastEEEviT_T0_T2_T3_T4_T5_, .Lfunc_end21-_ZN2at6native27unrolled_elementwise_kernelIZZZNS0_12_GLOBAL__N_139_amp_non_finite_check_and_unscale_cuda_ERNS_6TensorES4_RKS3_ENKUlvE_clEvENKUlvE1_clEvEUlN3c104HalfEE_St5arrayIPcLm2EELi4E23TrivialOffsetCalculatorILi1EjESG_NS0_6memory15LoadWithoutCastENSH_16StoreWithoutCastEEEviT_T0_T2_T3_T4_T5_
                                        ; -- End function
	.section	.AMDGPU.csdata,"",@progbits
; Kernel info:
; codeLenInByte = 1280
; NumSgprs: 18
; NumVgprs: 10
; ScratchSize: 0
; MemoryBound: 0
; FloatMode: 240
; IeeeMode: 1
; LDSByteSize: 0 bytes/workgroup (compile time only)
; SGPRBlocks: 2
; VGPRBlocks: 1
; NumSGPRsForWavesPerEU: 18
; NumVGPRsForWavesPerEU: 10
; Occupancy: 16
; WaveLimiterHint : 0
; COMPUTE_PGM_RSRC2:SCRATCH_EN: 0
; COMPUTE_PGM_RSRC2:USER_SGPR: 15
; COMPUTE_PGM_RSRC2:TRAP_HANDLER: 0
; COMPUTE_PGM_RSRC2:TGID_X_EN: 1
; COMPUTE_PGM_RSRC2:TGID_Y_EN: 0
; COMPUTE_PGM_RSRC2:TGID_Z_EN: 0
; COMPUTE_PGM_RSRC2:TIDIG_COMP_CNT: 0
	.section	.text._ZN2at6native32elementwise_kernel_manual_unrollILi128ELi8EZNS0_22gpu_kernel_impl_nocastIZZZNS0_12_GLOBAL__N_139_amp_non_finite_check_and_unscale_cuda_ERNS_6TensorES5_RKS4_ENKUlvE_clEvENKUlvE1_clEvEUlN3c104HalfEE_EEvRNS_18TensorIteratorBaseERKT_EUlibE_EEviT1_,"axG",@progbits,_ZN2at6native32elementwise_kernel_manual_unrollILi128ELi8EZNS0_22gpu_kernel_impl_nocastIZZZNS0_12_GLOBAL__N_139_amp_non_finite_check_and_unscale_cuda_ERNS_6TensorES5_RKS4_ENKUlvE_clEvENKUlvE1_clEvEUlN3c104HalfEE_EEvRNS_18TensorIteratorBaseERKT_EUlibE_EEviT1_,comdat
	.globl	_ZN2at6native32elementwise_kernel_manual_unrollILi128ELi8EZNS0_22gpu_kernel_impl_nocastIZZZNS0_12_GLOBAL__N_139_amp_non_finite_check_and_unscale_cuda_ERNS_6TensorES5_RKS4_ENKUlvE_clEvENKUlvE1_clEvEUlN3c104HalfEE_EEvRNS_18TensorIteratorBaseERKT_EUlibE_EEviT1_ ; -- Begin function _ZN2at6native32elementwise_kernel_manual_unrollILi128ELi8EZNS0_22gpu_kernel_impl_nocastIZZZNS0_12_GLOBAL__N_139_amp_non_finite_check_and_unscale_cuda_ERNS_6TensorES5_RKS4_ENKUlvE_clEvENKUlvE1_clEvEUlN3c104HalfEE_EEvRNS_18TensorIteratorBaseERKT_EUlibE_EEviT1_
	.p2align	8
	.type	_ZN2at6native32elementwise_kernel_manual_unrollILi128ELi8EZNS0_22gpu_kernel_impl_nocastIZZZNS0_12_GLOBAL__N_139_amp_non_finite_check_and_unscale_cuda_ERNS_6TensorES5_RKS4_ENKUlvE_clEvENKUlvE1_clEvEUlN3c104HalfEE_EEvRNS_18TensorIteratorBaseERKT_EUlibE_EEviT1_,@function
_ZN2at6native32elementwise_kernel_manual_unrollILi128ELi8EZNS0_22gpu_kernel_impl_nocastIZZZNS0_12_GLOBAL__N_139_amp_non_finite_check_and_unscale_cuda_ERNS_6TensorES5_RKS4_ENKUlvE_clEvENKUlvE1_clEvEUlN3c104HalfEE_EEvRNS_18TensorIteratorBaseERKT_EUlibE_EEviT1_: ; @_ZN2at6native32elementwise_kernel_manual_unrollILi128ELi8EZNS0_22gpu_kernel_impl_nocastIZZZNS0_12_GLOBAL__N_139_amp_non_finite_check_and_unscale_cuda_ERNS_6TensorES5_RKS4_ENKUlvE_clEvENKUlvE1_clEvEUlN3c104HalfEE_EEvRNS_18TensorIteratorBaseERKT_EUlibE_EEviT1_
; %bb.0:
	s_clause 0x1
	s_load_b32 s26, s[0:1], 0x8
	s_load_b32 s31, s[0:1], 0x0
	v_lshl_or_b32 v12, s15, 10, v0
	s_or_b32 s0, s0, 8
	s_mov_b32 s2, exec_lo
	s_delay_alu instid0(VALU_DEP_1) | instskip(SKIP_2) | instid1(SALU_CYCLE_1)
	v_or_b32_e32 v16, 0x380, v12
	s_waitcnt lgkmcnt(0)
	s_add_i32 s27, s26, -1
	s_cmp_gt_u32 s27, 1
	s_cselect_b32 s28, -1, 0
	v_cmpx_le_i32_e64 s31, v16
	s_xor_b32 s29, exec_lo, s2
	s_cbranch_execz .LBB22_7
; %bb.1:
	s_clause 0x3
	s_load_b128 s[16:19], s[0:1], 0x4
	s_load_b64 s[2:3], s[0:1], 0x14
	s_load_b128 s[12:15], s[0:1], 0xc4
	s_load_b256 s[4:11], s[0:1], 0x148
	s_cmp_lg_u32 s26, 0
	s_mov_b32 s35, exec_lo
	s_cselect_b32 s34, -1, 0
	s_add_u32 s20, s0, 0xc4
	s_addc_u32 s21, s1, 0
	s_min_u32 s33, s27, 15
	s_cmp_gt_u32 s26, 1
	s_cselect_b32 s30, -1, 0
	v_cmpx_gt_i32_e64 s31, v12
	s_cbranch_execz .LBB22_14
; %bb.2:
	s_and_not1_b32 vcc_lo, exec_lo, s28
	s_cbranch_vccnz .LBB22_21
; %bb.3:
	v_dual_mov_b32 v0, 0 :: v_dual_mov_b32 v1, 0
	s_and_not1_b32 vcc_lo, exec_lo, s34
	s_mov_b32 s36, 0
	s_cbranch_vccnz .LBB22_141
; %bb.4:
	v_mov_b32_e32 v0, 0
	s_add_i32 s38, s33, 1
	s_cmp_eq_u32 s27, 2
	s_mov_b32 s37, 0
	s_cbranch_scc1 .LBB22_137
; %bb.5:
	v_dual_mov_b32 v1, 0 :: v_dual_mov_b32 v0, 0
	v_mov_b32_e32 v2, v12
	s_and_b32 s37, s38, 28
	s_mov_b32 s39, 0
	s_mov_b64 s[22:23], s[20:21]
	s_mov_b64 s[24:25], s[0:1]
.LBB22_6:                               ; =>This Inner Loop Header: Depth=1
	s_clause 0x1
	s_load_b256 s[40:47], s[24:25], 0x4
	s_load_b128 s[56:59], s[24:25], 0x24
	s_load_b256 s[48:55], s[22:23], 0x0
	s_add_u32 s24, s24, 48
	s_addc_u32 s25, s25, 0
	s_add_i32 s39, s39, 4
	s_add_u32 s22, s22, 32
	s_addc_u32 s23, s23, 0
	s_cmp_lg_u32 s37, s39
	s_waitcnt lgkmcnt(0)
	v_mul_hi_u32 v3, s41, v2
	s_delay_alu instid0(VALU_DEP_1) | instskip(NEXT) | instid1(VALU_DEP_1)
	v_add_nc_u32_e32 v3, v2, v3
	v_lshrrev_b32_e32 v3, s42, v3
	s_delay_alu instid0(VALU_DEP_1) | instskip(SKIP_1) | instid1(VALU_DEP_2)
	v_mul_hi_u32 v4, s44, v3
	v_mul_lo_u32 v6, v3, s40
	v_add_nc_u32_e32 v4, v3, v4
	s_delay_alu instid0(VALU_DEP_2) | instskip(NEXT) | instid1(VALU_DEP_2)
	v_sub_nc_u32_e32 v2, v2, v6
	v_lshrrev_b32_e32 v4, s45, v4
	s_delay_alu instid0(VALU_DEP_2) | instskip(SKIP_1) | instid1(VALU_DEP_3)
	v_mul_lo_u32 v6, v2, s48
	v_mul_lo_u32 v8, v2, s49
	v_mul_hi_u32 v5, s47, v4
	s_delay_alu instid0(VALU_DEP_1) | instskip(NEXT) | instid1(VALU_DEP_1)
	v_add_nc_u32_e32 v5, v4, v5
	v_lshrrev_b32_e32 v5, s56, v5
	s_delay_alu instid0(VALU_DEP_1) | instskip(SKIP_1) | instid1(VALU_DEP_2)
	v_mul_hi_u32 v7, s58, v5
	v_mul_lo_u32 v9, v5, s46
	v_add_nc_u32_e32 v2, v5, v7
	v_mul_lo_u32 v7, v4, s43
	s_delay_alu instid0(VALU_DEP_3) | instskip(NEXT) | instid1(VALU_DEP_3)
	v_sub_nc_u32_e32 v4, v4, v9
	v_lshrrev_b32_e32 v2, s59, v2
	s_delay_alu instid0(VALU_DEP_2) | instskip(SKIP_2) | instid1(VALU_DEP_4)
	v_mul_lo_u32 v9, v4, s52
	v_mul_lo_u32 v4, v4, s53
	v_sub_nc_u32_e32 v3, v3, v7
	v_mul_lo_u32 v10, v2, s57
	s_delay_alu instid0(VALU_DEP_2) | instskip(SKIP_1) | instid1(VALU_DEP_3)
	v_mul_lo_u32 v7, v3, s50
	v_mul_lo_u32 v3, v3, s51
	v_sub_nc_u32_e32 v5, v5, v10
	s_delay_alu instid0(VALU_DEP_3) | instskip(NEXT) | instid1(VALU_DEP_2)
	v_add3_u32 v0, v6, v0, v7
	v_mul_lo_u32 v10, v5, s54
	v_mul_lo_u32 v5, v5, s55
	v_add3_u32 v1, v8, v1, v3
	s_delay_alu instid0(VALU_DEP_3) | instskip(NEXT) | instid1(VALU_DEP_2)
	v_add3_u32 v0, v9, v0, v10
	v_add3_u32 v1, v4, v1, v5
	s_cbranch_scc1 .LBB22_6
	s_branch .LBB22_138
.LBB22_7:
	s_and_not1_saveexec_b32 s2, s29
	s_cbranch_execz .LBB22_234
.LBB22_8:
	v_cndmask_b32_e64 v14, 0, 1, s28
	s_and_not1_b32 vcc_lo, exec_lo, s28
	s_cbranch_vccnz .LBB22_20
; %bb.9:
	v_dual_mov_b32 v0, 0 :: v_dual_mov_b32 v1, 0
	s_cmp_lg_u32 s26, 0
	s_mov_b32 s6, 0
	s_cbranch_scc0 .LBB22_26
; %bb.10:
	s_min_u32 s7, s27, 15
	v_mov_b32_e32 v0, 0
	s_add_i32 s7, s7, 1
	s_cmp_eq_u32 s27, 2
	s_mov_b32 s8, 0
	s_cbranch_scc1 .LBB22_23
; %bb.11:
	v_dual_mov_b32 v1, 0 :: v_dual_mov_b32 v0, 0
	v_mov_b32_e32 v2, v12
	s_add_u32 s2, s0, 0xc4
	s_addc_u32 s3, s1, 0
	s_and_b32 s8, s7, 28
	s_mov_b32 s9, 0
	s_mov_b64 s[4:5], s[0:1]
.LBB22_12:                              ; =>This Inner Loop Header: Depth=1
	s_clause 0x1
	s_load_b256 s[12:19], s[4:5], 0x4
	s_load_b128 s[20:23], s[4:5], 0x24
	s_load_b256 s[36:43], s[2:3], 0x0
	s_add_u32 s4, s4, 48
	s_addc_u32 s5, s5, 0
	s_add_i32 s9, s9, 4
	s_add_u32 s2, s2, 32
	s_addc_u32 s3, s3, 0
	s_cmp_lg_u32 s8, s9
	s_waitcnt lgkmcnt(0)
	v_mul_hi_u32 v3, s13, v2
	s_delay_alu instid0(VALU_DEP_1) | instskip(NEXT) | instid1(VALU_DEP_1)
	v_add_nc_u32_e32 v3, v2, v3
	v_lshrrev_b32_e32 v3, s14, v3
	s_delay_alu instid0(VALU_DEP_1) | instskip(SKIP_1) | instid1(VALU_DEP_2)
	v_mul_hi_u32 v4, s16, v3
	v_mul_lo_u32 v6, v3, s12
	v_add_nc_u32_e32 v4, v3, v4
	s_delay_alu instid0(VALU_DEP_2) | instskip(NEXT) | instid1(VALU_DEP_2)
	v_sub_nc_u32_e32 v2, v2, v6
	v_lshrrev_b32_e32 v4, s17, v4
	s_delay_alu instid0(VALU_DEP_2) | instskip(SKIP_1) | instid1(VALU_DEP_3)
	v_mul_lo_u32 v6, v2, s36
	v_mul_lo_u32 v8, v2, s37
	v_mul_hi_u32 v5, s19, v4
	s_delay_alu instid0(VALU_DEP_1) | instskip(NEXT) | instid1(VALU_DEP_1)
	v_add_nc_u32_e32 v5, v4, v5
	v_lshrrev_b32_e32 v5, s20, v5
	s_delay_alu instid0(VALU_DEP_1) | instskip(SKIP_1) | instid1(VALU_DEP_2)
	v_mul_hi_u32 v7, s22, v5
	v_mul_lo_u32 v9, v5, s18
	v_add_nc_u32_e32 v2, v5, v7
	v_mul_lo_u32 v7, v4, s15
	s_delay_alu instid0(VALU_DEP_3) | instskip(NEXT) | instid1(VALU_DEP_3)
	v_sub_nc_u32_e32 v4, v4, v9
	v_lshrrev_b32_e32 v2, s23, v2
	s_delay_alu instid0(VALU_DEP_2) | instskip(SKIP_2) | instid1(VALU_DEP_4)
	v_mul_lo_u32 v9, v4, s40
	v_mul_lo_u32 v4, v4, s41
	v_sub_nc_u32_e32 v3, v3, v7
	v_mul_lo_u32 v10, v2, s21
	s_delay_alu instid0(VALU_DEP_2) | instskip(SKIP_1) | instid1(VALU_DEP_3)
	v_mul_lo_u32 v7, v3, s38
	v_mul_lo_u32 v3, v3, s39
	v_sub_nc_u32_e32 v5, v5, v10
	s_delay_alu instid0(VALU_DEP_3) | instskip(NEXT) | instid1(VALU_DEP_2)
	v_add3_u32 v0, v6, v0, v7
	v_mul_lo_u32 v10, v5, s42
	v_mul_lo_u32 v5, v5, s43
	v_add3_u32 v1, v8, v1, v3
	s_delay_alu instid0(VALU_DEP_3) | instskip(NEXT) | instid1(VALU_DEP_2)
	v_add3_u32 v0, v9, v0, v10
	v_add3_u32 v1, v4, v1, v5
	s_cbranch_scc1 .LBB22_12
; %bb.13:
	s_and_b32 s7, s7, 3
	s_delay_alu instid0(SALU_CYCLE_1)
	s_cmp_eq_u32 s7, 0
	s_cbranch_scc0 .LBB22_24
	s_branch .LBB22_26
.LBB22_14:
	s_or_b32 exec_lo, exec_lo, s35
	s_delay_alu instid0(SALU_CYCLE_1)
	s_mov_b32 s35, exec_lo
	v_cmpx_gt_i32_e64 s31, v12
	s_cbranch_execz .LBB22_147
.LBB22_15:
	s_and_not1_b32 vcc_lo, exec_lo, s28
	s_cbranch_vccnz .LBB22_22
; %bb.16:
	v_dual_mov_b32 v0, 0 :: v_dual_mov_b32 v1, 0
	s_and_not1_b32 vcc_lo, exec_lo, s34
	s_mov_b32 s36, 0
	s_cbranch_vccnz .LBB22_158
; %bb.17:
	v_mov_b32_e32 v0, 0
	s_add_i32 s38, s33, 1
	s_cmp_eq_u32 s27, 2
	s_mov_b32 s37, 0
	s_cbranch_scc1 .LBB22_154
; %bb.18:
	v_dual_mov_b32 v1, 0 :: v_dual_mov_b32 v0, 0
	v_mov_b32_e32 v2, v12
	s_and_b32 s37, s38, 28
	s_mov_b32 s39, 0
	s_mov_b64 s[22:23], s[20:21]
	s_mov_b64 s[24:25], s[0:1]
.LBB22_19:                              ; =>This Inner Loop Header: Depth=1
	s_clause 0x1
	s_load_b256 s[40:47], s[24:25], 0x4
	s_load_b128 s[56:59], s[24:25], 0x24
	s_load_b256 s[48:55], s[22:23], 0x0
	s_add_u32 s24, s24, 48
	s_addc_u32 s25, s25, 0
	s_add_i32 s39, s39, 4
	s_add_u32 s22, s22, 32
	s_addc_u32 s23, s23, 0
	s_cmp_eq_u32 s37, s39
	s_waitcnt lgkmcnt(0)
	v_mul_hi_u32 v3, s41, v2
	s_delay_alu instid0(VALU_DEP_1) | instskip(NEXT) | instid1(VALU_DEP_1)
	v_add_nc_u32_e32 v3, v2, v3
	v_lshrrev_b32_e32 v3, s42, v3
	s_delay_alu instid0(VALU_DEP_1) | instskip(SKIP_1) | instid1(VALU_DEP_2)
	v_mul_hi_u32 v4, s44, v3
	v_mul_lo_u32 v6, v3, s40
	v_add_nc_u32_e32 v4, v3, v4
	s_delay_alu instid0(VALU_DEP_2) | instskip(NEXT) | instid1(VALU_DEP_2)
	v_sub_nc_u32_e32 v2, v2, v6
	v_lshrrev_b32_e32 v4, s45, v4
	s_delay_alu instid0(VALU_DEP_2) | instskip(SKIP_1) | instid1(VALU_DEP_3)
	v_mul_lo_u32 v6, v2, s48
	v_mul_lo_u32 v8, v2, s49
	v_mul_hi_u32 v5, s47, v4
	s_delay_alu instid0(VALU_DEP_1) | instskip(NEXT) | instid1(VALU_DEP_1)
	v_add_nc_u32_e32 v5, v4, v5
	v_lshrrev_b32_e32 v5, s56, v5
	s_delay_alu instid0(VALU_DEP_1) | instskip(SKIP_1) | instid1(VALU_DEP_2)
	v_mul_hi_u32 v7, s58, v5
	v_mul_lo_u32 v9, v5, s46
	v_add_nc_u32_e32 v2, v5, v7
	v_mul_lo_u32 v7, v4, s43
	s_delay_alu instid0(VALU_DEP_3) | instskip(NEXT) | instid1(VALU_DEP_3)
	v_sub_nc_u32_e32 v4, v4, v9
	v_lshrrev_b32_e32 v2, s59, v2
	s_delay_alu instid0(VALU_DEP_2) | instskip(SKIP_2) | instid1(VALU_DEP_4)
	v_mul_lo_u32 v9, v4, s52
	v_mul_lo_u32 v4, v4, s53
	v_sub_nc_u32_e32 v3, v3, v7
	v_mul_lo_u32 v10, v2, s57
	s_delay_alu instid0(VALU_DEP_2) | instskip(SKIP_1) | instid1(VALU_DEP_3)
	v_mul_lo_u32 v7, v3, s50
	v_mul_lo_u32 v3, v3, s51
	v_sub_nc_u32_e32 v5, v5, v10
	s_delay_alu instid0(VALU_DEP_3) | instskip(NEXT) | instid1(VALU_DEP_2)
	v_add3_u32 v0, v6, v0, v7
	v_mul_lo_u32 v10, v5, s54
	v_mul_lo_u32 v5, v5, s55
	v_add3_u32 v1, v8, v1, v3
	s_delay_alu instid0(VALU_DEP_3) | instskip(NEXT) | instid1(VALU_DEP_2)
	v_add3_u32 v0, v9, v0, v10
	v_add3_u32 v1, v4, v1, v5
	s_cbranch_scc0 .LBB22_19
	s_branch .LBB22_155
.LBB22_20:
	s_mov_b32 s6, -1
                                        ; implicit-def: $vgpr0
                                        ; implicit-def: $vgpr1
	s_branch .LBB22_26
.LBB22_21:
	s_mov_b32 s36, -1
                                        ; implicit-def: $vgpr0
                                        ; implicit-def: $vgpr1
	s_branch .LBB22_141
.LBB22_22:
	s_mov_b32 s36, -1
                                        ; implicit-def: $vgpr0
                                        ; implicit-def: $vgpr1
	s_branch .LBB22_158
.LBB22_23:
	v_dual_mov_b32 v2, v12 :: v_dual_mov_b32 v1, 0
	s_and_b32 s7, s7, 3
	s_delay_alu instid0(SALU_CYCLE_1)
	s_cmp_eq_u32 s7, 0
	s_cbranch_scc1 .LBB22_26
.LBB22_24:
	s_lshl_b32 s2, s8, 3
	s_mul_i32 s4, s8, 12
	s_add_u32 s2, s2, s0
	s_addc_u32 s3, 0, s1
	s_add_u32 s2, s2, 0xc4
	s_addc_u32 s3, s3, 0
	;; [unrolled: 2-line block ×3, first 2 shown]
	.p2align	6
.LBB22_25:                              ; =>This Inner Loop Header: Depth=1
	s_clause 0x1
	s_load_b64 s[8:9], s[4:5], 0x4
	s_load_b32 s12, s[4:5], 0xc
	s_load_b64 s[10:11], s[2:3], 0x0
	s_add_u32 s4, s4, 12
	s_addc_u32 s5, s5, 0
	s_add_u32 s2, s2, 8
	s_addc_u32 s3, s3, 0
	s_add_i32 s7, s7, -1
	s_delay_alu instid0(SALU_CYCLE_1) | instskip(SKIP_2) | instid1(VALU_DEP_1)
	s_cmp_lg_u32 s7, 0
	s_waitcnt lgkmcnt(0)
	v_mul_hi_u32 v3, s9, v2
	v_add_nc_u32_e32 v3, v2, v3
	s_delay_alu instid0(VALU_DEP_1) | instskip(NEXT) | instid1(VALU_DEP_1)
	v_lshrrev_b32_e32 v6, s12, v3
	v_mul_lo_u32 v3, v6, s8
	s_delay_alu instid0(VALU_DEP_1) | instskip(NEXT) | instid1(VALU_DEP_1)
	v_sub_nc_u32_e32 v2, v2, v3
	v_mad_u64_u32 v[3:4], null, v2, s10, v[0:1]
	v_mad_u64_u32 v[4:5], null, v2, s11, v[1:2]
	v_mov_b32_e32 v2, v6
	s_delay_alu instid0(VALU_DEP_2)
	v_dual_mov_b32 v0, v3 :: v_dual_mov_b32 v1, v4
	s_cbranch_scc1 .LBB22_25
.LBB22_26:
	s_and_not1_b32 vcc_lo, exec_lo, s6
	s_cbranch_vccnz .LBB22_29
; %bb.27:
	s_clause 0x1
	s_load_b128 s[4:7], s[0:1], 0x4
	s_load_b64 s[2:3], s[0:1], 0xc4
	s_cmp_lt_u32 s26, 2
	s_waitcnt lgkmcnt(0)
	v_mul_hi_u32 v0, s5, v12
	s_delay_alu instid0(VALU_DEP_1) | instskip(NEXT) | instid1(VALU_DEP_1)
	v_add_nc_u32_e32 v0, v12, v0
	v_lshrrev_b32_e32 v2, s6, v0
	s_delay_alu instid0(VALU_DEP_1) | instskip(NEXT) | instid1(VALU_DEP_1)
	v_mul_lo_u32 v0, v2, s4
	v_sub_nc_u32_e32 v1, v12, v0
	s_delay_alu instid0(VALU_DEP_1)
	v_mul_lo_u32 v0, v1, s2
	v_mul_lo_u32 v1, v1, s3
	s_cbranch_scc1 .LBB22_29
; %bb.28:
	s_clause 0x1
	s_load_b128 s[4:7], s[0:1], 0x10
	s_load_b64 s[2:3], s[0:1], 0xcc
	s_waitcnt lgkmcnt(0)
	v_mul_hi_u32 v3, s5, v2
	s_delay_alu instid0(VALU_DEP_1) | instskip(NEXT) | instid1(VALU_DEP_1)
	v_add_nc_u32_e32 v3, v2, v3
	v_lshrrev_b32_e32 v3, s6, v3
	s_delay_alu instid0(VALU_DEP_1) | instskip(NEXT) | instid1(VALU_DEP_1)
	v_mul_lo_u32 v3, v3, s4
	v_sub_nc_u32_e32 v5, v2, v3
	s_delay_alu instid0(VALU_DEP_1) | instskip(NEXT) | instid1(VALU_DEP_1)
	v_mad_u64_u32 v[2:3], null, v5, s2, v[0:1]
	v_mad_u64_u32 v[3:4], null, v5, s3, v[1:2]
	s_delay_alu instid0(VALU_DEP_1)
	v_dual_mov_b32 v0, v2 :: v_dual_mov_b32 v1, v3
.LBB22_29:
	v_cmp_ne_u32_e32 vcc_lo, 1, v14
	v_add_nc_u32_e32 v4, 0x80, v12
	s_cbranch_vccnz .LBB22_35
; %bb.30:
	v_dual_mov_b32 v2, 0 :: v_dual_mov_b32 v3, 0
	s_cmp_lg_u32 s26, 0
	s_mov_b32 s6, 0
	s_cbranch_scc0 .LBB22_39
; %bb.31:
	s_min_u32 s7, s27, 15
	v_mov_b32_e32 v2, 0
	s_add_i32 s7, s7, 1
	s_cmp_eq_u32 s27, 2
	s_mov_b32 s8, 0
	s_cbranch_scc1 .LBB22_36
; %bb.32:
	v_dual_mov_b32 v3, 0 :: v_dual_mov_b32 v2, 0
	v_mov_b32_e32 v5, v4
	s_add_u32 s2, s0, 0xc4
	s_addc_u32 s3, s1, 0
	s_and_b32 s8, s7, 28
	s_mov_b32 s9, 0
	s_mov_b64 s[4:5], s[0:1]
.LBB22_33:                              ; =>This Inner Loop Header: Depth=1
	s_clause 0x1
	s_load_b256 s[12:19], s[4:5], 0x4
	s_load_b128 s[20:23], s[4:5], 0x24
	s_load_b256 s[36:43], s[2:3], 0x0
	s_add_u32 s4, s4, 48
	s_addc_u32 s5, s5, 0
	s_add_i32 s9, s9, 4
	s_add_u32 s2, s2, 32
	s_addc_u32 s3, s3, 0
	s_cmp_lg_u32 s8, s9
	s_waitcnt lgkmcnt(0)
	v_mul_hi_u32 v6, s13, v5
	s_delay_alu instid0(VALU_DEP_1) | instskip(NEXT) | instid1(VALU_DEP_1)
	v_add_nc_u32_e32 v6, v5, v6
	v_lshrrev_b32_e32 v6, s14, v6
	s_delay_alu instid0(VALU_DEP_1) | instskip(SKIP_1) | instid1(VALU_DEP_2)
	v_mul_hi_u32 v7, s16, v6
	v_mul_lo_u32 v9, v6, s12
	v_add_nc_u32_e32 v7, v6, v7
	s_delay_alu instid0(VALU_DEP_2) | instskip(NEXT) | instid1(VALU_DEP_2)
	v_sub_nc_u32_e32 v5, v5, v9
	v_lshrrev_b32_e32 v7, s17, v7
	s_delay_alu instid0(VALU_DEP_2) | instskip(SKIP_1) | instid1(VALU_DEP_3)
	v_mul_lo_u32 v9, v5, s36
	v_mul_lo_u32 v11, v5, s37
	v_mul_hi_u32 v8, s19, v7
	s_delay_alu instid0(VALU_DEP_1) | instskip(NEXT) | instid1(VALU_DEP_1)
	v_add_nc_u32_e32 v8, v7, v8
	v_lshrrev_b32_e32 v8, s20, v8
	s_delay_alu instid0(VALU_DEP_1) | instskip(SKIP_1) | instid1(VALU_DEP_2)
	v_mul_hi_u32 v10, s22, v8
	v_mul_lo_u32 v13, v8, s18
	v_add_nc_u32_e32 v5, v8, v10
	v_mul_lo_u32 v10, v7, s15
	s_delay_alu instid0(VALU_DEP_3) | instskip(NEXT) | instid1(VALU_DEP_3)
	v_sub_nc_u32_e32 v7, v7, v13
	v_lshrrev_b32_e32 v5, s23, v5
	s_delay_alu instid0(VALU_DEP_2) | instskip(SKIP_2) | instid1(VALU_DEP_4)
	v_mul_lo_u32 v13, v7, s40
	v_mul_lo_u32 v7, v7, s41
	v_sub_nc_u32_e32 v6, v6, v10
	v_mul_lo_u32 v15, v5, s21
	s_delay_alu instid0(VALU_DEP_2) | instskip(SKIP_1) | instid1(VALU_DEP_3)
	v_mul_lo_u32 v10, v6, s38
	v_mul_lo_u32 v6, v6, s39
	v_sub_nc_u32_e32 v8, v8, v15
	s_delay_alu instid0(VALU_DEP_3) | instskip(NEXT) | instid1(VALU_DEP_2)
	v_add3_u32 v2, v9, v2, v10
	v_mul_lo_u32 v15, v8, s42
	v_mul_lo_u32 v8, v8, s43
	v_add3_u32 v3, v11, v3, v6
	s_delay_alu instid0(VALU_DEP_3) | instskip(NEXT) | instid1(VALU_DEP_2)
	v_add3_u32 v2, v13, v2, v15
	v_add3_u32 v3, v7, v3, v8
	s_cbranch_scc1 .LBB22_33
; %bb.34:
	s_and_b32 s7, s7, 3
	s_delay_alu instid0(SALU_CYCLE_1)
	s_cmp_eq_u32 s7, 0
	s_cbranch_scc0 .LBB22_37
	s_branch .LBB22_39
.LBB22_35:
	s_mov_b32 s6, -1
                                        ; implicit-def: $vgpr2
                                        ; implicit-def: $vgpr3
	s_branch .LBB22_39
.LBB22_36:
	v_mov_b32_e32 v5, v4
	v_mov_b32_e32 v3, 0
	s_and_b32 s7, s7, 3
	s_delay_alu instid0(SALU_CYCLE_1)
	s_cmp_eq_u32 s7, 0
	s_cbranch_scc1 .LBB22_39
.LBB22_37:
	s_lshl_b32 s2, s8, 3
	s_mul_i32 s4, s8, 12
	s_add_u32 s2, s2, s0
	s_addc_u32 s3, 0, s1
	s_add_u32 s2, s2, 0xc4
	s_addc_u32 s3, s3, 0
	;; [unrolled: 2-line block ×3, first 2 shown]
	.p2align	6
.LBB22_38:                              ; =>This Inner Loop Header: Depth=1
	s_clause 0x1
	s_load_b64 s[8:9], s[4:5], 0x4
	s_load_b32 s12, s[4:5], 0xc
	s_load_b64 s[10:11], s[2:3], 0x0
	s_add_u32 s4, s4, 12
	s_addc_u32 s5, s5, 0
	s_add_u32 s2, s2, 8
	s_addc_u32 s3, s3, 0
	s_add_i32 s7, s7, -1
	s_delay_alu instid0(SALU_CYCLE_1) | instskip(SKIP_2) | instid1(VALU_DEP_1)
	s_cmp_lg_u32 s7, 0
	s_waitcnt lgkmcnt(0)
	v_mul_hi_u32 v6, s9, v5
	v_add_nc_u32_e32 v6, v5, v6
	s_delay_alu instid0(VALU_DEP_1) | instskip(NEXT) | instid1(VALU_DEP_1)
	v_lshrrev_b32_e32 v9, s12, v6
	v_mul_lo_u32 v6, v9, s8
	s_delay_alu instid0(VALU_DEP_1) | instskip(NEXT) | instid1(VALU_DEP_1)
	v_sub_nc_u32_e32 v5, v5, v6
	v_mad_u64_u32 v[6:7], null, v5, s10, v[2:3]
	v_mad_u64_u32 v[7:8], null, v5, s11, v[3:4]
	s_delay_alu instid0(VALU_DEP_2) | instskip(NEXT) | instid1(VALU_DEP_2)
	v_dual_mov_b32 v5, v9 :: v_dual_mov_b32 v2, v6
	v_mov_b32_e32 v3, v7
	s_cbranch_scc1 .LBB22_38
.LBB22_39:
	s_and_not1_b32 vcc_lo, exec_lo, s6
	s_cbranch_vccnz .LBB22_42
; %bb.40:
	s_clause 0x1
	s_load_b128 s[4:7], s[0:1], 0x4
	s_load_b64 s[2:3], s[0:1], 0xc4
	s_cmp_lt_u32 s26, 2
	s_waitcnt lgkmcnt(0)
	v_mul_hi_u32 v2, s5, v4
	s_delay_alu instid0(VALU_DEP_1) | instskip(NEXT) | instid1(VALU_DEP_1)
	v_add_nc_u32_e32 v2, v4, v2
	v_lshrrev_b32_e32 v5, s6, v2
	s_delay_alu instid0(VALU_DEP_1) | instskip(NEXT) | instid1(VALU_DEP_1)
	v_mul_lo_u32 v2, v5, s4
	v_sub_nc_u32_e32 v3, v4, v2
	s_delay_alu instid0(VALU_DEP_1)
	v_mul_lo_u32 v2, v3, s2
	v_mul_lo_u32 v3, v3, s3
	s_cbranch_scc1 .LBB22_42
; %bb.41:
	s_clause 0x1
	s_load_b128 s[4:7], s[0:1], 0x10
	s_load_b64 s[2:3], s[0:1], 0xcc
	s_waitcnt lgkmcnt(0)
	v_mul_hi_u32 v4, s5, v5
	s_delay_alu instid0(VALU_DEP_1) | instskip(NEXT) | instid1(VALU_DEP_1)
	v_add_nc_u32_e32 v4, v5, v4
	v_lshrrev_b32_e32 v4, s6, v4
	s_delay_alu instid0(VALU_DEP_1) | instskip(NEXT) | instid1(VALU_DEP_1)
	v_mul_lo_u32 v4, v4, s4
	v_sub_nc_u32_e32 v7, v5, v4
	s_delay_alu instid0(VALU_DEP_1) | instskip(NEXT) | instid1(VALU_DEP_1)
	v_mad_u64_u32 v[4:5], null, v7, s2, v[2:3]
	v_mad_u64_u32 v[5:6], null, v7, s3, v[3:4]
	s_delay_alu instid0(VALU_DEP_1)
	v_dual_mov_b32 v2, v4 :: v_dual_mov_b32 v3, v5
.LBB22_42:
	v_cmp_ne_u32_e32 vcc_lo, 1, v14
	v_add_nc_u32_e32 v6, 0x100, v12
	s_cbranch_vccnz .LBB22_48
; %bb.43:
	v_dual_mov_b32 v4, 0 :: v_dual_mov_b32 v5, 0
	s_cmp_lg_u32 s26, 0
	s_mov_b32 s6, 0
	s_cbranch_scc0 .LBB22_52
; %bb.44:
	s_min_u32 s7, s27, 15
	v_mov_b32_e32 v4, 0
	s_add_i32 s7, s7, 1
	s_cmp_eq_u32 s27, 2
	s_mov_b32 s8, 0
	s_cbranch_scc1 .LBB22_49
; %bb.45:
	v_dual_mov_b32 v5, 0 :: v_dual_mov_b32 v4, 0
	v_mov_b32_e32 v7, v6
	s_add_u32 s2, s0, 0xc4
	s_addc_u32 s3, s1, 0
	s_and_b32 s8, s7, 28
	s_mov_b32 s9, 0
	s_mov_b64 s[4:5], s[0:1]
.LBB22_46:                              ; =>This Inner Loop Header: Depth=1
	s_clause 0x1
	s_load_b256 s[12:19], s[4:5], 0x4
	s_load_b128 s[20:23], s[4:5], 0x24
	s_load_b256 s[36:43], s[2:3], 0x0
	s_add_u32 s4, s4, 48
	s_addc_u32 s5, s5, 0
	s_add_i32 s9, s9, 4
	s_add_u32 s2, s2, 32
	s_addc_u32 s3, s3, 0
	s_cmp_lg_u32 s8, s9
	s_waitcnt lgkmcnt(0)
	v_mul_hi_u32 v8, s13, v7
	s_delay_alu instid0(VALU_DEP_1) | instskip(NEXT) | instid1(VALU_DEP_1)
	v_add_nc_u32_e32 v8, v7, v8
	v_lshrrev_b32_e32 v8, s14, v8
	s_delay_alu instid0(VALU_DEP_1) | instskip(SKIP_1) | instid1(VALU_DEP_2)
	v_mul_hi_u32 v9, s16, v8
	v_mul_lo_u32 v11, v8, s12
	v_add_nc_u32_e32 v9, v8, v9
	s_delay_alu instid0(VALU_DEP_2) | instskip(NEXT) | instid1(VALU_DEP_2)
	v_sub_nc_u32_e32 v7, v7, v11
	v_lshrrev_b32_e32 v9, s17, v9
	s_delay_alu instid0(VALU_DEP_2) | instskip(SKIP_1) | instid1(VALU_DEP_3)
	v_mul_lo_u32 v11, v7, s36
	v_mul_lo_u32 v15, v7, s37
	v_mul_hi_u32 v10, s19, v9
	s_delay_alu instid0(VALU_DEP_1) | instskip(NEXT) | instid1(VALU_DEP_1)
	v_add_nc_u32_e32 v10, v9, v10
	v_lshrrev_b32_e32 v10, s20, v10
	s_delay_alu instid0(VALU_DEP_1) | instskip(SKIP_1) | instid1(VALU_DEP_2)
	v_mul_hi_u32 v13, s22, v10
	v_mul_lo_u32 v17, v10, s18
	v_add_nc_u32_e32 v7, v10, v13
	v_mul_lo_u32 v13, v9, s15
	s_delay_alu instid0(VALU_DEP_3) | instskip(NEXT) | instid1(VALU_DEP_3)
	v_sub_nc_u32_e32 v9, v9, v17
	v_lshrrev_b32_e32 v7, s23, v7
	s_delay_alu instid0(VALU_DEP_2) | instskip(SKIP_2) | instid1(VALU_DEP_4)
	v_mul_lo_u32 v17, v9, s40
	v_mul_lo_u32 v9, v9, s41
	v_sub_nc_u32_e32 v8, v8, v13
	v_mul_lo_u32 v18, v7, s21
	s_delay_alu instid0(VALU_DEP_2) | instskip(SKIP_1) | instid1(VALU_DEP_3)
	v_mul_lo_u32 v13, v8, s38
	v_mul_lo_u32 v8, v8, s39
	v_sub_nc_u32_e32 v10, v10, v18
	s_delay_alu instid0(VALU_DEP_3) | instskip(NEXT) | instid1(VALU_DEP_2)
	v_add3_u32 v4, v11, v4, v13
	v_mul_lo_u32 v18, v10, s42
	v_mul_lo_u32 v10, v10, s43
	v_add3_u32 v5, v15, v5, v8
	s_delay_alu instid0(VALU_DEP_3) | instskip(NEXT) | instid1(VALU_DEP_2)
	v_add3_u32 v4, v17, v4, v18
	v_add3_u32 v5, v9, v5, v10
	s_cbranch_scc1 .LBB22_46
; %bb.47:
	s_and_b32 s7, s7, 3
	s_delay_alu instid0(SALU_CYCLE_1)
	s_cmp_eq_u32 s7, 0
	s_cbranch_scc0 .LBB22_50
	s_branch .LBB22_52
.LBB22_48:
	s_mov_b32 s6, -1
                                        ; implicit-def: $vgpr4
                                        ; implicit-def: $vgpr5
	s_branch .LBB22_52
.LBB22_49:
	v_mov_b32_e32 v7, v6
	v_mov_b32_e32 v5, 0
	s_and_b32 s7, s7, 3
	s_delay_alu instid0(SALU_CYCLE_1)
	s_cmp_eq_u32 s7, 0
	s_cbranch_scc1 .LBB22_52
.LBB22_50:
	s_lshl_b32 s2, s8, 3
	s_mul_i32 s4, s8, 12
	s_add_u32 s2, s2, s0
	s_addc_u32 s3, 0, s1
	s_add_u32 s2, s2, 0xc4
	s_addc_u32 s3, s3, 0
	;; [unrolled: 2-line block ×3, first 2 shown]
	.p2align	6
.LBB22_51:                              ; =>This Inner Loop Header: Depth=1
	s_clause 0x1
	s_load_b64 s[8:9], s[4:5], 0x4
	s_load_b32 s12, s[4:5], 0xc
	s_load_b64 s[10:11], s[2:3], 0x0
	s_add_u32 s4, s4, 12
	s_addc_u32 s5, s5, 0
	s_add_u32 s2, s2, 8
	s_addc_u32 s3, s3, 0
	s_add_i32 s7, s7, -1
	s_delay_alu instid0(SALU_CYCLE_1) | instskip(SKIP_2) | instid1(VALU_DEP_1)
	s_cmp_lg_u32 s7, 0
	s_waitcnt lgkmcnt(0)
	v_mul_hi_u32 v8, s9, v7
	v_add_nc_u32_e32 v8, v7, v8
	s_delay_alu instid0(VALU_DEP_1) | instskip(NEXT) | instid1(VALU_DEP_1)
	v_lshrrev_b32_e32 v11, s12, v8
	v_mul_lo_u32 v8, v11, s8
	s_delay_alu instid0(VALU_DEP_1) | instskip(NEXT) | instid1(VALU_DEP_1)
	v_sub_nc_u32_e32 v7, v7, v8
	v_mad_u64_u32 v[8:9], null, v7, s10, v[4:5]
	v_mad_u64_u32 v[9:10], null, v7, s11, v[5:6]
	s_delay_alu instid0(VALU_DEP_2) | instskip(NEXT) | instid1(VALU_DEP_2)
	v_dual_mov_b32 v7, v11 :: v_dual_mov_b32 v4, v8
	v_mov_b32_e32 v5, v9
	s_cbranch_scc1 .LBB22_51
.LBB22_52:
	s_and_not1_b32 vcc_lo, exec_lo, s6
	s_cbranch_vccnz .LBB22_55
; %bb.53:
	s_clause 0x1
	s_load_b128 s[4:7], s[0:1], 0x4
	s_load_b64 s[2:3], s[0:1], 0xc4
	s_cmp_lt_u32 s26, 2
	s_waitcnt lgkmcnt(0)
	v_mul_hi_u32 v4, s5, v6
	s_delay_alu instid0(VALU_DEP_1) | instskip(NEXT) | instid1(VALU_DEP_1)
	v_add_nc_u32_e32 v4, v6, v4
	v_lshrrev_b32_e32 v7, s6, v4
	s_delay_alu instid0(VALU_DEP_1) | instskip(NEXT) | instid1(VALU_DEP_1)
	v_mul_lo_u32 v4, v7, s4
	v_sub_nc_u32_e32 v5, v6, v4
	s_delay_alu instid0(VALU_DEP_1)
	v_mul_lo_u32 v4, v5, s2
	v_mul_lo_u32 v5, v5, s3
	s_cbranch_scc1 .LBB22_55
; %bb.54:
	s_clause 0x1
	s_load_b128 s[4:7], s[0:1], 0x10
	s_load_b64 s[2:3], s[0:1], 0xcc
	s_waitcnt lgkmcnt(0)
	v_mul_hi_u32 v6, s5, v7
	s_delay_alu instid0(VALU_DEP_1) | instskip(NEXT) | instid1(VALU_DEP_1)
	v_add_nc_u32_e32 v6, v7, v6
	v_lshrrev_b32_e32 v6, s6, v6
	s_delay_alu instid0(VALU_DEP_1) | instskip(NEXT) | instid1(VALU_DEP_1)
	v_mul_lo_u32 v6, v6, s4
	v_sub_nc_u32_e32 v9, v7, v6
	s_delay_alu instid0(VALU_DEP_1) | instskip(NEXT) | instid1(VALU_DEP_1)
	v_mad_u64_u32 v[6:7], null, v9, s2, v[4:5]
	v_mad_u64_u32 v[7:8], null, v9, s3, v[5:6]
	s_delay_alu instid0(VALU_DEP_1)
	v_dual_mov_b32 v4, v6 :: v_dual_mov_b32 v5, v7
.LBB22_55:
	v_cmp_ne_u32_e32 vcc_lo, 1, v14
	v_add_nc_u32_e32 v8, 0x180, v12
	s_cbranch_vccnz .LBB22_61
; %bb.56:
	v_dual_mov_b32 v6, 0 :: v_dual_mov_b32 v7, 0
	s_cmp_lg_u32 s26, 0
	s_mov_b32 s6, 0
	s_cbranch_scc0 .LBB22_65
; %bb.57:
	s_min_u32 s7, s27, 15
	v_mov_b32_e32 v6, 0
	s_add_i32 s7, s7, 1
	s_cmp_eq_u32 s27, 2
	s_mov_b32 s8, 0
	s_cbranch_scc1 .LBB22_62
; %bb.58:
	v_dual_mov_b32 v7, 0 :: v_dual_mov_b32 v6, 0
	v_mov_b32_e32 v9, v8
	s_add_u32 s2, s0, 0xc4
	s_addc_u32 s3, s1, 0
	s_and_b32 s8, s7, 28
	s_mov_b32 s9, 0
	s_mov_b64 s[4:5], s[0:1]
.LBB22_59:                              ; =>This Inner Loop Header: Depth=1
	s_clause 0x1
	s_load_b256 s[12:19], s[4:5], 0x4
	s_load_b128 s[20:23], s[4:5], 0x24
	s_load_b256 s[36:43], s[2:3], 0x0
	s_add_u32 s4, s4, 48
	s_addc_u32 s5, s5, 0
	s_add_i32 s9, s9, 4
	s_add_u32 s2, s2, 32
	s_addc_u32 s3, s3, 0
	s_cmp_lg_u32 s8, s9
	s_waitcnt lgkmcnt(0)
	v_mul_hi_u32 v10, s13, v9
	s_delay_alu instid0(VALU_DEP_1) | instskip(NEXT) | instid1(VALU_DEP_1)
	v_add_nc_u32_e32 v10, v9, v10
	v_lshrrev_b32_e32 v10, s14, v10
	s_delay_alu instid0(VALU_DEP_1) | instskip(SKIP_1) | instid1(VALU_DEP_2)
	v_mul_hi_u32 v11, s16, v10
	v_mul_lo_u32 v15, v10, s12
	v_add_nc_u32_e32 v11, v10, v11
	s_delay_alu instid0(VALU_DEP_2) | instskip(NEXT) | instid1(VALU_DEP_2)
	v_sub_nc_u32_e32 v9, v9, v15
	v_lshrrev_b32_e32 v11, s17, v11
	s_delay_alu instid0(VALU_DEP_2) | instskip(SKIP_1) | instid1(VALU_DEP_3)
	v_mul_lo_u32 v15, v9, s36
	v_mul_lo_u32 v18, v9, s37
	v_mul_hi_u32 v13, s19, v11
	s_delay_alu instid0(VALU_DEP_1) | instskip(NEXT) | instid1(VALU_DEP_1)
	v_add_nc_u32_e32 v13, v11, v13
	v_lshrrev_b32_e32 v13, s20, v13
	s_delay_alu instid0(VALU_DEP_1) | instskip(SKIP_1) | instid1(VALU_DEP_2)
	v_mul_hi_u32 v17, s22, v13
	v_mul_lo_u32 v19, v13, s18
	v_add_nc_u32_e32 v9, v13, v17
	v_mul_lo_u32 v17, v11, s15
	s_delay_alu instid0(VALU_DEP_3) | instskip(NEXT) | instid1(VALU_DEP_3)
	v_sub_nc_u32_e32 v11, v11, v19
	v_lshrrev_b32_e32 v9, s23, v9
	s_delay_alu instid0(VALU_DEP_2) | instskip(SKIP_2) | instid1(VALU_DEP_4)
	v_mul_lo_u32 v19, v11, s40
	v_mul_lo_u32 v11, v11, s41
	v_sub_nc_u32_e32 v10, v10, v17
	v_mul_lo_u32 v20, v9, s21
	s_delay_alu instid0(VALU_DEP_2) | instskip(SKIP_1) | instid1(VALU_DEP_3)
	v_mul_lo_u32 v17, v10, s38
	v_mul_lo_u32 v10, v10, s39
	v_sub_nc_u32_e32 v13, v13, v20
	s_delay_alu instid0(VALU_DEP_3) | instskip(NEXT) | instid1(VALU_DEP_2)
	v_add3_u32 v6, v15, v6, v17
	v_mul_lo_u32 v20, v13, s42
	v_mul_lo_u32 v13, v13, s43
	v_add3_u32 v7, v18, v7, v10
	s_delay_alu instid0(VALU_DEP_3) | instskip(NEXT) | instid1(VALU_DEP_2)
	v_add3_u32 v6, v19, v6, v20
	v_add3_u32 v7, v11, v7, v13
	s_cbranch_scc1 .LBB22_59
; %bb.60:
	s_and_b32 s7, s7, 3
	s_delay_alu instid0(SALU_CYCLE_1)
	s_cmp_eq_u32 s7, 0
	s_cbranch_scc0 .LBB22_63
	s_branch .LBB22_65
.LBB22_61:
	s_mov_b32 s6, -1
                                        ; implicit-def: $vgpr6
                                        ; implicit-def: $vgpr7
	s_branch .LBB22_65
.LBB22_62:
	v_mov_b32_e32 v9, v8
	v_mov_b32_e32 v7, 0
	s_and_b32 s7, s7, 3
	s_delay_alu instid0(SALU_CYCLE_1)
	s_cmp_eq_u32 s7, 0
	s_cbranch_scc1 .LBB22_65
.LBB22_63:
	s_lshl_b32 s2, s8, 3
	s_mul_i32 s4, s8, 12
	s_add_u32 s2, s2, s0
	s_addc_u32 s3, 0, s1
	s_add_u32 s2, s2, 0xc4
	s_addc_u32 s3, s3, 0
	;; [unrolled: 2-line block ×3, first 2 shown]
	.p2align	6
.LBB22_64:                              ; =>This Inner Loop Header: Depth=1
	s_clause 0x1
	s_load_b64 s[8:9], s[4:5], 0x4
	s_load_b32 s12, s[4:5], 0xc
	s_load_b64 s[10:11], s[2:3], 0x0
	s_add_u32 s4, s4, 12
	s_addc_u32 s5, s5, 0
	s_add_u32 s2, s2, 8
	s_addc_u32 s3, s3, 0
	s_add_i32 s7, s7, -1
	s_delay_alu instid0(SALU_CYCLE_1) | instskip(SKIP_2) | instid1(VALU_DEP_1)
	s_cmp_lg_u32 s7, 0
	s_waitcnt lgkmcnt(0)
	v_mul_hi_u32 v10, s9, v9
	v_add_nc_u32_e32 v10, v9, v10
	s_delay_alu instid0(VALU_DEP_1) | instskip(NEXT) | instid1(VALU_DEP_1)
	v_lshrrev_b32_e32 v13, s12, v10
	v_mul_lo_u32 v10, v13, s8
	s_delay_alu instid0(VALU_DEP_1) | instskip(NEXT) | instid1(VALU_DEP_1)
	v_sub_nc_u32_e32 v9, v9, v10
	v_mad_u64_u32 v[10:11], null, v9, s10, v[6:7]
	v_mad_u64_u32 v[17:18], null, v9, s11, v[7:8]
	s_delay_alu instid0(VALU_DEP_2) | instskip(NEXT) | instid1(VALU_DEP_2)
	v_dual_mov_b32 v9, v13 :: v_dual_mov_b32 v6, v10
	v_mov_b32_e32 v7, v17
	s_cbranch_scc1 .LBB22_64
.LBB22_65:
	s_and_not1_b32 vcc_lo, exec_lo, s6
	s_cbranch_vccnz .LBB22_68
; %bb.66:
	s_clause 0x1
	s_load_b128 s[4:7], s[0:1], 0x4
	s_load_b64 s[2:3], s[0:1], 0xc4
	s_cmp_lt_u32 s26, 2
	s_waitcnt lgkmcnt(0)
	v_mul_hi_u32 v6, s5, v8
	s_delay_alu instid0(VALU_DEP_1) | instskip(NEXT) | instid1(VALU_DEP_1)
	v_add_nc_u32_e32 v6, v8, v6
	v_lshrrev_b32_e32 v9, s6, v6
	s_delay_alu instid0(VALU_DEP_1) | instskip(NEXT) | instid1(VALU_DEP_1)
	v_mul_lo_u32 v6, v9, s4
	v_sub_nc_u32_e32 v7, v8, v6
	s_delay_alu instid0(VALU_DEP_1)
	v_mul_lo_u32 v6, v7, s2
	v_mul_lo_u32 v7, v7, s3
	s_cbranch_scc1 .LBB22_68
; %bb.67:
	s_clause 0x1
	s_load_b128 s[4:7], s[0:1], 0x10
	s_load_b64 s[2:3], s[0:1], 0xcc
	s_waitcnt lgkmcnt(0)
	v_mul_hi_u32 v8, s5, v9
	s_delay_alu instid0(VALU_DEP_1) | instskip(NEXT) | instid1(VALU_DEP_1)
	v_add_nc_u32_e32 v8, v9, v8
	v_lshrrev_b32_e32 v8, s6, v8
	s_delay_alu instid0(VALU_DEP_1) | instskip(NEXT) | instid1(VALU_DEP_1)
	v_mul_lo_u32 v8, v8, s4
	v_sub_nc_u32_e32 v11, v9, v8
	s_delay_alu instid0(VALU_DEP_1) | instskip(NEXT) | instid1(VALU_DEP_1)
	v_mad_u64_u32 v[8:9], null, v11, s2, v[6:7]
	v_mad_u64_u32 v[9:10], null, v11, s3, v[7:8]
	s_delay_alu instid0(VALU_DEP_1)
	v_dual_mov_b32 v6, v8 :: v_dual_mov_b32 v7, v9
.LBB22_68:
	v_cmp_ne_u32_e32 vcc_lo, 1, v14
	v_add_nc_u32_e32 v10, 0x200, v12
	s_cbranch_vccnz .LBB22_74
; %bb.69:
	v_dual_mov_b32 v8, 0 :: v_dual_mov_b32 v9, 0
	s_cmp_lg_u32 s26, 0
	s_mov_b32 s6, 0
	s_cbranch_scc0 .LBB22_78
; %bb.70:
	s_min_u32 s7, s27, 15
	v_mov_b32_e32 v8, 0
	s_add_i32 s7, s7, 1
	s_cmp_eq_u32 s27, 2
	s_mov_b32 s8, 0
	s_cbranch_scc1 .LBB22_75
; %bb.71:
	v_dual_mov_b32 v9, 0 :: v_dual_mov_b32 v8, 0
	v_mov_b32_e32 v11, v10
	s_add_u32 s2, s0, 0xc4
	s_addc_u32 s3, s1, 0
	s_and_b32 s8, s7, 28
	s_mov_b32 s9, 0
	s_mov_b64 s[4:5], s[0:1]
.LBB22_72:                              ; =>This Inner Loop Header: Depth=1
	s_clause 0x1
	s_load_b256 s[12:19], s[4:5], 0x4
	s_load_b128 s[20:23], s[4:5], 0x24
	s_load_b256 s[36:43], s[2:3], 0x0
	s_add_u32 s4, s4, 48
	s_addc_u32 s5, s5, 0
	s_add_i32 s9, s9, 4
	s_add_u32 s2, s2, 32
	s_addc_u32 s3, s3, 0
	s_cmp_lg_u32 s8, s9
	s_waitcnt lgkmcnt(0)
	v_mul_hi_u32 v13, s13, v11
	s_delay_alu instid0(VALU_DEP_1) | instskip(NEXT) | instid1(VALU_DEP_1)
	v_add_nc_u32_e32 v13, v11, v13
	v_lshrrev_b32_e32 v13, s14, v13
	s_delay_alu instid0(VALU_DEP_1) | instskip(SKIP_1) | instid1(VALU_DEP_2)
	v_mul_hi_u32 v15, s16, v13
	v_mul_lo_u32 v18, v13, s12
	v_add_nc_u32_e32 v15, v13, v15
	s_delay_alu instid0(VALU_DEP_2) | instskip(NEXT) | instid1(VALU_DEP_2)
	v_sub_nc_u32_e32 v11, v11, v18
	v_lshrrev_b32_e32 v15, s17, v15
	s_delay_alu instid0(VALU_DEP_2) | instskip(SKIP_1) | instid1(VALU_DEP_3)
	v_mul_lo_u32 v18, v11, s36
	v_mul_lo_u32 v20, v11, s37
	v_mul_hi_u32 v17, s19, v15
	s_delay_alu instid0(VALU_DEP_1) | instskip(NEXT) | instid1(VALU_DEP_1)
	v_add_nc_u32_e32 v17, v15, v17
	v_lshrrev_b32_e32 v17, s20, v17
	s_delay_alu instid0(VALU_DEP_1) | instskip(SKIP_1) | instid1(VALU_DEP_2)
	v_mul_hi_u32 v19, s22, v17
	v_mul_lo_u32 v21, v17, s18
	v_add_nc_u32_e32 v11, v17, v19
	v_mul_lo_u32 v19, v15, s15
	s_delay_alu instid0(VALU_DEP_3) | instskip(NEXT) | instid1(VALU_DEP_3)
	v_sub_nc_u32_e32 v15, v15, v21
	v_lshrrev_b32_e32 v11, s23, v11
	s_delay_alu instid0(VALU_DEP_2) | instskip(SKIP_2) | instid1(VALU_DEP_4)
	v_mul_lo_u32 v21, v15, s40
	v_mul_lo_u32 v15, v15, s41
	v_sub_nc_u32_e32 v13, v13, v19
	v_mul_lo_u32 v22, v11, s21
	s_delay_alu instid0(VALU_DEP_2) | instskip(SKIP_1) | instid1(VALU_DEP_3)
	v_mul_lo_u32 v19, v13, s38
	v_mul_lo_u32 v13, v13, s39
	v_sub_nc_u32_e32 v17, v17, v22
	s_delay_alu instid0(VALU_DEP_3) | instskip(NEXT) | instid1(VALU_DEP_2)
	v_add3_u32 v8, v18, v8, v19
	v_mul_lo_u32 v22, v17, s42
	v_mul_lo_u32 v17, v17, s43
	v_add3_u32 v9, v20, v9, v13
	s_delay_alu instid0(VALU_DEP_3) | instskip(NEXT) | instid1(VALU_DEP_2)
	v_add3_u32 v8, v21, v8, v22
	v_add3_u32 v9, v15, v9, v17
	s_cbranch_scc1 .LBB22_72
; %bb.73:
	s_and_b32 s7, s7, 3
	s_delay_alu instid0(SALU_CYCLE_1)
	s_cmp_eq_u32 s7, 0
	s_cbranch_scc0 .LBB22_76
	s_branch .LBB22_78
.LBB22_74:
	s_mov_b32 s6, -1
                                        ; implicit-def: $vgpr8
                                        ; implicit-def: $vgpr9
	s_branch .LBB22_78
.LBB22_75:
	v_mov_b32_e32 v11, v10
	v_mov_b32_e32 v9, 0
	s_and_b32 s7, s7, 3
	s_delay_alu instid0(SALU_CYCLE_1)
	s_cmp_eq_u32 s7, 0
	s_cbranch_scc1 .LBB22_78
.LBB22_76:
	s_lshl_b32 s2, s8, 3
	s_mul_i32 s4, s8, 12
	s_add_u32 s2, s2, s0
	s_addc_u32 s3, 0, s1
	s_add_u32 s2, s2, 0xc4
	s_addc_u32 s3, s3, 0
	;; [unrolled: 2-line block ×3, first 2 shown]
	.p2align	6
.LBB22_77:                              ; =>This Inner Loop Header: Depth=1
	s_clause 0x1
	s_load_b64 s[8:9], s[4:5], 0x4
	s_load_b32 s12, s[4:5], 0xc
	s_load_b64 s[10:11], s[2:3], 0x0
	s_add_u32 s4, s4, 12
	s_addc_u32 s5, s5, 0
	s_add_u32 s2, s2, 8
	s_addc_u32 s3, s3, 0
	s_add_i32 s7, s7, -1
	s_delay_alu instid0(SALU_CYCLE_1) | instskip(SKIP_2) | instid1(VALU_DEP_1)
	s_cmp_lg_u32 s7, 0
	s_waitcnt lgkmcnt(0)
	v_mul_hi_u32 v13, s9, v11
	v_add_nc_u32_e32 v13, v11, v13
	s_delay_alu instid0(VALU_DEP_1) | instskip(NEXT) | instid1(VALU_DEP_1)
	v_lshrrev_b32_e32 v13, s12, v13
	v_mul_lo_u32 v15, v13, s8
	s_delay_alu instid0(VALU_DEP_1) | instskip(NEXT) | instid1(VALU_DEP_1)
	v_sub_nc_u32_e32 v11, v11, v15
	v_mad_u64_u32 v[17:18], null, v11, s10, v[8:9]
	v_mad_u64_u32 v[18:19], null, v11, s11, v[9:10]
	v_mov_b32_e32 v11, v13
	s_delay_alu instid0(VALU_DEP_2)
	v_dual_mov_b32 v8, v17 :: v_dual_mov_b32 v9, v18
	s_cbranch_scc1 .LBB22_77
.LBB22_78:
	s_and_not1_b32 vcc_lo, exec_lo, s6
	s_cbranch_vccnz .LBB22_81
; %bb.79:
	s_clause 0x1
	s_load_b128 s[4:7], s[0:1], 0x4
	s_load_b64 s[2:3], s[0:1], 0xc4
	s_cmp_lt_u32 s26, 2
	s_waitcnt lgkmcnt(0)
	v_mul_hi_u32 v8, s5, v10
	s_delay_alu instid0(VALU_DEP_1) | instskip(NEXT) | instid1(VALU_DEP_1)
	v_add_nc_u32_e32 v8, v10, v8
	v_lshrrev_b32_e32 v11, s6, v8
	s_delay_alu instid0(VALU_DEP_1) | instskip(NEXT) | instid1(VALU_DEP_1)
	v_mul_lo_u32 v8, v11, s4
	v_sub_nc_u32_e32 v9, v10, v8
	s_delay_alu instid0(VALU_DEP_1)
	v_mul_lo_u32 v8, v9, s2
	v_mul_lo_u32 v9, v9, s3
	s_cbranch_scc1 .LBB22_81
; %bb.80:
	s_clause 0x1
	s_load_b128 s[4:7], s[0:1], 0x10
	s_load_b64 s[2:3], s[0:1], 0xcc
	s_waitcnt lgkmcnt(0)
	v_mul_hi_u32 v10, s5, v11
	s_delay_alu instid0(VALU_DEP_1) | instskip(NEXT) | instid1(VALU_DEP_1)
	v_add_nc_u32_e32 v10, v11, v10
	v_lshrrev_b32_e32 v10, s6, v10
	s_delay_alu instid0(VALU_DEP_1) | instskip(NEXT) | instid1(VALU_DEP_1)
	v_mul_lo_u32 v10, v10, s4
	v_sub_nc_u32_e32 v13, v11, v10
	s_delay_alu instid0(VALU_DEP_1) | instskip(NEXT) | instid1(VALU_DEP_1)
	v_mad_u64_u32 v[10:11], null, v13, s2, v[8:9]
	v_mad_u64_u32 v[17:18], null, v13, s3, v[9:10]
	s_delay_alu instid0(VALU_DEP_1)
	v_dual_mov_b32 v8, v10 :: v_dual_mov_b32 v9, v17
.LBB22_81:
	v_cmp_ne_u32_e32 vcc_lo, 1, v14
	v_add_nc_u32_e32 v13, 0x280, v12
	s_cbranch_vccnz .LBB22_87
; %bb.82:
	v_dual_mov_b32 v10, 0 :: v_dual_mov_b32 v11, 0
	s_cmp_lg_u32 s26, 0
	s_mov_b32 s6, 0
	s_cbranch_scc0 .LBB22_91
; %bb.83:
	s_min_u32 s7, s27, 15
	v_mov_b32_e32 v10, 0
	s_add_i32 s7, s7, 1
	s_cmp_eq_u32 s27, 2
	s_mov_b32 s8, 0
	s_cbranch_scc1 .LBB22_88
; %bb.84:
	v_dual_mov_b32 v11, 0 :: v_dual_mov_b32 v10, 0
	v_mov_b32_e32 v15, v13
	s_add_u32 s2, s0, 0xc4
	s_addc_u32 s3, s1, 0
	s_and_b32 s8, s7, 28
	s_mov_b32 s9, 0
	s_mov_b64 s[4:5], s[0:1]
.LBB22_85:                              ; =>This Inner Loop Header: Depth=1
	s_clause 0x1
	s_load_b256 s[12:19], s[4:5], 0x4
	s_load_b128 s[20:23], s[4:5], 0x24
	s_load_b256 s[36:43], s[2:3], 0x0
	s_add_u32 s4, s4, 48
	s_addc_u32 s5, s5, 0
	s_add_i32 s9, s9, 4
	s_add_u32 s2, s2, 32
	s_addc_u32 s3, s3, 0
	s_cmp_lg_u32 s8, s9
	s_waitcnt lgkmcnt(0)
	v_mul_hi_u32 v17, s13, v15
	s_delay_alu instid0(VALU_DEP_1) | instskip(NEXT) | instid1(VALU_DEP_1)
	v_add_nc_u32_e32 v17, v15, v17
	v_lshrrev_b32_e32 v17, s14, v17
	s_delay_alu instid0(VALU_DEP_1) | instskip(SKIP_1) | instid1(VALU_DEP_2)
	v_mul_hi_u32 v18, s16, v17
	v_mul_lo_u32 v20, v17, s12
	v_add_nc_u32_e32 v18, v17, v18
	s_delay_alu instid0(VALU_DEP_2) | instskip(NEXT) | instid1(VALU_DEP_2)
	v_sub_nc_u32_e32 v15, v15, v20
	v_lshrrev_b32_e32 v18, s17, v18
	s_delay_alu instid0(VALU_DEP_2) | instskip(SKIP_1) | instid1(VALU_DEP_3)
	v_mul_lo_u32 v20, v15, s36
	v_mul_lo_u32 v22, v15, s37
	v_mul_hi_u32 v19, s19, v18
	s_delay_alu instid0(VALU_DEP_1) | instskip(NEXT) | instid1(VALU_DEP_1)
	v_add_nc_u32_e32 v19, v18, v19
	v_lshrrev_b32_e32 v19, s20, v19
	s_delay_alu instid0(VALU_DEP_1) | instskip(SKIP_1) | instid1(VALU_DEP_2)
	v_mul_hi_u32 v21, s22, v19
	v_mul_lo_u32 v23, v19, s18
	v_add_nc_u32_e32 v15, v19, v21
	v_mul_lo_u32 v21, v18, s15
	s_delay_alu instid0(VALU_DEP_3) | instskip(NEXT) | instid1(VALU_DEP_3)
	v_sub_nc_u32_e32 v18, v18, v23
	v_lshrrev_b32_e32 v15, s23, v15
	s_delay_alu instid0(VALU_DEP_2) | instskip(SKIP_2) | instid1(VALU_DEP_4)
	v_mul_lo_u32 v23, v18, s40
	v_mul_lo_u32 v18, v18, s41
	v_sub_nc_u32_e32 v17, v17, v21
	v_mul_lo_u32 v24, v15, s21
	s_delay_alu instid0(VALU_DEP_2) | instskip(SKIP_1) | instid1(VALU_DEP_3)
	v_mul_lo_u32 v21, v17, s38
	v_mul_lo_u32 v17, v17, s39
	v_sub_nc_u32_e32 v19, v19, v24
	s_delay_alu instid0(VALU_DEP_3) | instskip(NEXT) | instid1(VALU_DEP_2)
	v_add3_u32 v10, v20, v10, v21
	v_mul_lo_u32 v24, v19, s42
	v_mul_lo_u32 v19, v19, s43
	v_add3_u32 v11, v22, v11, v17
	s_delay_alu instid0(VALU_DEP_3) | instskip(NEXT) | instid1(VALU_DEP_2)
	v_add3_u32 v10, v23, v10, v24
	v_add3_u32 v11, v18, v11, v19
	s_cbranch_scc1 .LBB22_85
; %bb.86:
	s_and_b32 s7, s7, 3
	s_delay_alu instid0(SALU_CYCLE_1)
	s_cmp_eq_u32 s7, 0
	s_cbranch_scc0 .LBB22_89
	s_branch .LBB22_91
.LBB22_87:
	s_mov_b32 s6, -1
                                        ; implicit-def: $vgpr10
                                        ; implicit-def: $vgpr11
	s_branch .LBB22_91
.LBB22_88:
	v_mov_b32_e32 v15, v13
	v_mov_b32_e32 v11, 0
	s_and_b32 s7, s7, 3
	s_delay_alu instid0(SALU_CYCLE_1)
	s_cmp_eq_u32 s7, 0
	s_cbranch_scc1 .LBB22_91
.LBB22_89:
	s_lshl_b32 s2, s8, 3
	s_mul_i32 s4, s8, 12
	s_add_u32 s2, s2, s0
	s_addc_u32 s3, 0, s1
	s_add_u32 s2, s2, 0xc4
	s_addc_u32 s3, s3, 0
	s_add_u32 s4, s0, s4
	s_addc_u32 s5, 0, s1
	.p2align	6
.LBB22_90:                              ; =>This Inner Loop Header: Depth=1
	s_clause 0x1
	s_load_b64 s[8:9], s[4:5], 0x4
	s_load_b32 s12, s[4:5], 0xc
	s_load_b64 s[10:11], s[2:3], 0x0
	s_add_u32 s4, s4, 12
	s_addc_u32 s5, s5, 0
	s_add_u32 s2, s2, 8
	s_addc_u32 s3, s3, 0
	s_add_i32 s7, s7, -1
	s_delay_alu instid0(SALU_CYCLE_1) | instskip(SKIP_2) | instid1(VALU_DEP_1)
	s_cmp_lg_u32 s7, 0
	s_waitcnt lgkmcnt(0)
	v_mul_hi_u32 v17, s9, v15
	v_add_nc_u32_e32 v17, v15, v17
	s_delay_alu instid0(VALU_DEP_1) | instskip(NEXT) | instid1(VALU_DEP_1)
	v_lshrrev_b32_e32 v20, s12, v17
	v_mul_lo_u32 v17, v20, s8
	s_delay_alu instid0(VALU_DEP_1) | instskip(NEXT) | instid1(VALU_DEP_1)
	v_sub_nc_u32_e32 v15, v15, v17
	v_mad_u64_u32 v[17:18], null, v15, s10, v[10:11]
	v_mad_u64_u32 v[18:19], null, v15, s11, v[11:12]
	s_delay_alu instid0(VALU_DEP_2) | instskip(NEXT) | instid1(VALU_DEP_2)
	v_dual_mov_b32 v15, v20 :: v_dual_mov_b32 v10, v17
	v_mov_b32_e32 v11, v18
	s_cbranch_scc1 .LBB22_90
.LBB22_91:
	s_and_not1_b32 vcc_lo, exec_lo, s6
	s_cbranch_vccnz .LBB22_94
; %bb.92:
	s_clause 0x1
	s_load_b128 s[4:7], s[0:1], 0x4
	s_load_b64 s[2:3], s[0:1], 0xc4
	s_cmp_lt_u32 s26, 2
	s_waitcnt lgkmcnt(0)
	v_mul_hi_u32 v10, s5, v13
	s_delay_alu instid0(VALU_DEP_1) | instskip(NEXT) | instid1(VALU_DEP_1)
	v_add_nc_u32_e32 v10, v13, v10
	v_lshrrev_b32_e32 v15, s6, v10
	s_delay_alu instid0(VALU_DEP_1) | instskip(NEXT) | instid1(VALU_DEP_1)
	v_mul_lo_u32 v10, v15, s4
	v_sub_nc_u32_e32 v11, v13, v10
	s_delay_alu instid0(VALU_DEP_1)
	v_mul_lo_u32 v10, v11, s2
	v_mul_lo_u32 v11, v11, s3
	s_cbranch_scc1 .LBB22_94
; %bb.93:
	s_clause 0x1
	s_load_b128 s[4:7], s[0:1], 0x10
	s_load_b64 s[2:3], s[0:1], 0xcc
	s_waitcnt lgkmcnt(0)
	v_mul_hi_u32 v13, s5, v15
	s_delay_alu instid0(VALU_DEP_1) | instskip(NEXT) | instid1(VALU_DEP_1)
	v_add_nc_u32_e32 v13, v15, v13
	v_lshrrev_b32_e32 v13, s6, v13
	s_delay_alu instid0(VALU_DEP_1) | instskip(NEXT) | instid1(VALU_DEP_1)
	v_mul_lo_u32 v13, v13, s4
	v_sub_nc_u32_e32 v13, v15, v13
	s_delay_alu instid0(VALU_DEP_1) | instskip(SKIP_1) | instid1(VALU_DEP_1)
	v_mad_u64_u32 v[17:18], null, v13, s2, v[10:11]
	v_mad_u64_u32 v[18:19], null, v13, s3, v[11:12]
	v_dual_mov_b32 v10, v17 :: v_dual_mov_b32 v11, v18
.LBB22_94:
	v_cmp_ne_u32_e32 vcc_lo, 1, v14
	v_add_nc_u32_e32 v15, 0x300, v12
	s_cbranch_vccnz .LBB22_100
; %bb.95:
	v_dual_mov_b32 v12, 0 :: v_dual_mov_b32 v13, 0
	s_cmp_lg_u32 s26, 0
	s_mov_b32 s6, 0
	s_cbranch_scc0 .LBB22_104
; %bb.96:
	s_min_u32 s7, s27, 15
	v_mov_b32_e32 v12, 0
	s_add_i32 s7, s7, 1
	s_cmp_eq_u32 s27, 2
	s_mov_b32 s8, 0
	s_cbranch_scc1 .LBB22_101
; %bb.97:
	v_dual_mov_b32 v13, 0 :: v_dual_mov_b32 v12, 0
	v_mov_b32_e32 v17, v15
	s_add_u32 s2, s0, 0xc4
	s_addc_u32 s3, s1, 0
	s_and_b32 s8, s7, 28
	s_mov_b32 s9, 0
	s_mov_b64 s[4:5], s[0:1]
.LBB22_98:                              ; =>This Inner Loop Header: Depth=1
	s_clause 0x1
	s_load_b256 s[12:19], s[4:5], 0x4
	s_load_b128 s[20:23], s[4:5], 0x24
	s_load_b256 s[36:43], s[2:3], 0x0
	s_add_u32 s4, s4, 48
	s_addc_u32 s5, s5, 0
	s_add_i32 s9, s9, 4
	s_add_u32 s2, s2, 32
	s_addc_u32 s3, s3, 0
	s_cmp_lg_u32 s8, s9
	s_waitcnt lgkmcnt(0)
	v_mul_hi_u32 v18, s13, v17
	s_delay_alu instid0(VALU_DEP_1) | instskip(NEXT) | instid1(VALU_DEP_1)
	v_add_nc_u32_e32 v18, v17, v18
	v_lshrrev_b32_e32 v18, s14, v18
	s_delay_alu instid0(VALU_DEP_1) | instskip(SKIP_1) | instid1(VALU_DEP_2)
	v_mul_hi_u32 v19, s16, v18
	v_mul_lo_u32 v21, v18, s12
	v_add_nc_u32_e32 v19, v18, v19
	s_delay_alu instid0(VALU_DEP_2) | instskip(NEXT) | instid1(VALU_DEP_2)
	v_sub_nc_u32_e32 v17, v17, v21
	v_lshrrev_b32_e32 v19, s17, v19
	s_delay_alu instid0(VALU_DEP_2) | instskip(SKIP_1) | instid1(VALU_DEP_3)
	v_mul_lo_u32 v21, v17, s36
	v_mul_lo_u32 v23, v17, s37
	v_mul_hi_u32 v20, s19, v19
	s_delay_alu instid0(VALU_DEP_1) | instskip(NEXT) | instid1(VALU_DEP_1)
	v_add_nc_u32_e32 v20, v19, v20
	v_lshrrev_b32_e32 v20, s20, v20
	s_delay_alu instid0(VALU_DEP_1) | instskip(SKIP_1) | instid1(VALU_DEP_2)
	v_mul_hi_u32 v22, s22, v20
	v_mul_lo_u32 v24, v20, s18
	v_add_nc_u32_e32 v17, v20, v22
	v_mul_lo_u32 v22, v19, s15
	s_delay_alu instid0(VALU_DEP_3) | instskip(NEXT) | instid1(VALU_DEP_3)
	v_sub_nc_u32_e32 v19, v19, v24
	v_lshrrev_b32_e32 v17, s23, v17
	s_delay_alu instid0(VALU_DEP_2) | instskip(SKIP_2) | instid1(VALU_DEP_4)
	v_mul_lo_u32 v24, v19, s40
	v_mul_lo_u32 v19, v19, s41
	v_sub_nc_u32_e32 v18, v18, v22
	v_mul_lo_u32 v25, v17, s21
	s_delay_alu instid0(VALU_DEP_2) | instskip(SKIP_1) | instid1(VALU_DEP_3)
	v_mul_lo_u32 v22, v18, s38
	v_mul_lo_u32 v18, v18, s39
	v_sub_nc_u32_e32 v20, v20, v25
	s_delay_alu instid0(VALU_DEP_3) | instskip(NEXT) | instid1(VALU_DEP_2)
	v_add3_u32 v12, v21, v12, v22
	v_mul_lo_u32 v25, v20, s42
	v_mul_lo_u32 v20, v20, s43
	v_add3_u32 v13, v23, v13, v18
	s_delay_alu instid0(VALU_DEP_3) | instskip(NEXT) | instid1(VALU_DEP_2)
	v_add3_u32 v12, v24, v12, v25
	v_add3_u32 v13, v19, v13, v20
	s_cbranch_scc1 .LBB22_98
; %bb.99:
	s_and_b32 s7, s7, 3
	s_delay_alu instid0(SALU_CYCLE_1)
	s_cmp_eq_u32 s7, 0
	s_cbranch_scc0 .LBB22_102
	s_branch .LBB22_104
.LBB22_100:
	s_mov_b32 s6, -1
                                        ; implicit-def: $vgpr12
                                        ; implicit-def: $vgpr13
	s_branch .LBB22_104
.LBB22_101:
	v_mov_b32_e32 v17, v15
	v_mov_b32_e32 v13, 0
	s_and_b32 s7, s7, 3
	s_delay_alu instid0(SALU_CYCLE_1)
	s_cmp_eq_u32 s7, 0
	s_cbranch_scc1 .LBB22_104
.LBB22_102:
	s_lshl_b32 s2, s8, 3
	s_mul_i32 s4, s8, 12
	s_add_u32 s2, s2, s0
	s_addc_u32 s3, 0, s1
	s_add_u32 s2, s2, 0xc4
	s_addc_u32 s3, s3, 0
	;; [unrolled: 2-line block ×3, first 2 shown]
	.p2align	6
.LBB22_103:                             ; =>This Inner Loop Header: Depth=1
	s_clause 0x1
	s_load_b64 s[8:9], s[4:5], 0x4
	s_load_b32 s12, s[4:5], 0xc
	s_load_b64 s[10:11], s[2:3], 0x0
	s_add_u32 s4, s4, 12
	s_addc_u32 s5, s5, 0
	s_add_u32 s2, s2, 8
	s_addc_u32 s3, s3, 0
	s_add_i32 s7, s7, -1
	s_delay_alu instid0(SALU_CYCLE_1) | instskip(SKIP_2) | instid1(VALU_DEP_1)
	s_cmp_lg_u32 s7, 0
	s_waitcnt lgkmcnt(0)
	v_mul_hi_u32 v18, s9, v17
	v_add_nc_u32_e32 v18, v17, v18
	s_delay_alu instid0(VALU_DEP_1) | instskip(NEXT) | instid1(VALU_DEP_1)
	v_lshrrev_b32_e32 v21, s12, v18
	v_mul_lo_u32 v18, v21, s8
	s_delay_alu instid0(VALU_DEP_1) | instskip(NEXT) | instid1(VALU_DEP_1)
	v_sub_nc_u32_e32 v17, v17, v18
	v_mad_u64_u32 v[18:19], null, v17, s10, v[12:13]
	v_mad_u64_u32 v[19:20], null, v17, s11, v[13:14]
	s_delay_alu instid0(VALU_DEP_2) | instskip(NEXT) | instid1(VALU_DEP_2)
	v_dual_mov_b32 v17, v21 :: v_dual_mov_b32 v12, v18
	v_mov_b32_e32 v13, v19
	s_cbranch_scc1 .LBB22_103
.LBB22_104:
	s_and_not1_b32 vcc_lo, exec_lo, s6
	s_cbranch_vccnz .LBB22_107
; %bb.105:
	s_clause 0x1
	s_load_b128 s[4:7], s[0:1], 0x4
	s_load_b64 s[2:3], s[0:1], 0xc4
	s_cmp_lt_u32 s26, 2
	s_waitcnt lgkmcnt(0)
	v_mul_hi_u32 v12, s5, v15
	s_delay_alu instid0(VALU_DEP_1) | instskip(NEXT) | instid1(VALU_DEP_1)
	v_add_nc_u32_e32 v12, v15, v12
	v_lshrrev_b32_e32 v17, s6, v12
	s_delay_alu instid0(VALU_DEP_1) | instskip(NEXT) | instid1(VALU_DEP_1)
	v_mul_lo_u32 v12, v17, s4
	v_sub_nc_u32_e32 v13, v15, v12
	s_delay_alu instid0(VALU_DEP_1)
	v_mul_lo_u32 v12, v13, s2
	v_mul_lo_u32 v13, v13, s3
	s_cbranch_scc1 .LBB22_107
; %bb.106:
	s_clause 0x1
	s_load_b128 s[4:7], s[0:1], 0x10
	s_load_b64 s[2:3], s[0:1], 0xcc
	s_waitcnt lgkmcnt(0)
	v_mul_hi_u32 v15, s5, v17
	s_delay_alu instid0(VALU_DEP_1) | instskip(NEXT) | instid1(VALU_DEP_1)
	v_add_nc_u32_e32 v15, v17, v15
	v_lshrrev_b32_e32 v15, s6, v15
	s_delay_alu instid0(VALU_DEP_1) | instskip(NEXT) | instid1(VALU_DEP_1)
	v_mul_lo_u32 v15, v15, s4
	v_sub_nc_u32_e32 v15, v17, v15
	s_delay_alu instid0(VALU_DEP_1) | instskip(SKIP_1) | instid1(VALU_DEP_1)
	v_mad_u64_u32 v[17:18], null, v15, s2, v[12:13]
	v_mad_u64_u32 v[18:19], null, v15, s3, v[13:14]
	v_dual_mov_b32 v12, v17 :: v_dual_mov_b32 v13, v18
.LBB22_107:
	v_cmp_ne_u32_e32 vcc_lo, 1, v14
	s_cbranch_vccnz .LBB22_113
; %bb.108:
	v_dual_mov_b32 v14, 0 :: v_dual_mov_b32 v15, 0
	s_cmp_lg_u32 s26, 0
	s_mov_b32 s6, 0
	s_cbranch_scc0 .LBB22_117
; %bb.109:
	s_min_u32 s7, s27, 15
	v_mov_b32_e32 v14, 0
	s_add_i32 s7, s7, 1
	s_cmp_eq_u32 s27, 2
	s_mov_b32 s8, 0
	s_cbranch_scc1 .LBB22_114
; %bb.110:
	v_dual_mov_b32 v15, 0 :: v_dual_mov_b32 v14, 0
	v_mov_b32_e32 v17, v16
	s_add_u32 s2, s0, 0xc4
	s_addc_u32 s3, s1, 0
	s_and_b32 s8, s7, 28
	s_mov_b32 s9, 0
	s_mov_b64 s[4:5], s[0:1]
.LBB22_111:                             ; =>This Inner Loop Header: Depth=1
	s_clause 0x1
	s_load_b256 s[12:19], s[4:5], 0x4
	s_load_b128 s[20:23], s[4:5], 0x24
	s_load_b256 s[36:43], s[2:3], 0x0
	s_add_u32 s4, s4, 48
	s_addc_u32 s5, s5, 0
	s_add_i32 s9, s9, 4
	s_add_u32 s2, s2, 32
	s_addc_u32 s3, s3, 0
	s_cmp_lg_u32 s8, s9
	s_waitcnt lgkmcnt(0)
	v_mul_hi_u32 v18, s13, v17
	s_delay_alu instid0(VALU_DEP_1) | instskip(NEXT) | instid1(VALU_DEP_1)
	v_add_nc_u32_e32 v18, v17, v18
	v_lshrrev_b32_e32 v18, s14, v18
	s_delay_alu instid0(VALU_DEP_1) | instskip(SKIP_1) | instid1(VALU_DEP_2)
	v_mul_hi_u32 v19, s16, v18
	v_mul_lo_u32 v21, v18, s12
	v_add_nc_u32_e32 v19, v18, v19
	s_delay_alu instid0(VALU_DEP_2) | instskip(NEXT) | instid1(VALU_DEP_2)
	v_sub_nc_u32_e32 v17, v17, v21
	v_lshrrev_b32_e32 v19, s17, v19
	s_delay_alu instid0(VALU_DEP_2) | instskip(SKIP_1) | instid1(VALU_DEP_3)
	v_mul_lo_u32 v21, v17, s36
	v_mul_lo_u32 v23, v17, s37
	v_mul_hi_u32 v20, s19, v19
	s_delay_alu instid0(VALU_DEP_1) | instskip(NEXT) | instid1(VALU_DEP_1)
	v_add_nc_u32_e32 v20, v19, v20
	v_lshrrev_b32_e32 v20, s20, v20
	s_delay_alu instid0(VALU_DEP_1) | instskip(SKIP_1) | instid1(VALU_DEP_2)
	v_mul_hi_u32 v22, s22, v20
	v_mul_lo_u32 v24, v20, s18
	v_add_nc_u32_e32 v17, v20, v22
	v_mul_lo_u32 v22, v19, s15
	s_delay_alu instid0(VALU_DEP_3) | instskip(NEXT) | instid1(VALU_DEP_3)
	v_sub_nc_u32_e32 v19, v19, v24
	v_lshrrev_b32_e32 v17, s23, v17
	s_delay_alu instid0(VALU_DEP_2) | instskip(SKIP_2) | instid1(VALU_DEP_4)
	v_mul_lo_u32 v24, v19, s40
	v_mul_lo_u32 v19, v19, s41
	v_sub_nc_u32_e32 v18, v18, v22
	v_mul_lo_u32 v25, v17, s21
	s_delay_alu instid0(VALU_DEP_2) | instskip(SKIP_1) | instid1(VALU_DEP_3)
	v_mul_lo_u32 v22, v18, s38
	v_mul_lo_u32 v18, v18, s39
	v_sub_nc_u32_e32 v20, v20, v25
	s_delay_alu instid0(VALU_DEP_3) | instskip(NEXT) | instid1(VALU_DEP_2)
	v_add3_u32 v14, v21, v14, v22
	v_mul_lo_u32 v25, v20, s42
	v_mul_lo_u32 v20, v20, s43
	v_add3_u32 v15, v23, v15, v18
	s_delay_alu instid0(VALU_DEP_3) | instskip(NEXT) | instid1(VALU_DEP_2)
	v_add3_u32 v14, v24, v14, v25
	v_add3_u32 v15, v19, v15, v20
	s_cbranch_scc1 .LBB22_111
; %bb.112:
	s_and_b32 s7, s7, 3
	s_delay_alu instid0(SALU_CYCLE_1)
	s_cmp_eq_u32 s7, 0
	s_cbranch_scc0 .LBB22_115
	s_branch .LBB22_117
.LBB22_113:
	s_mov_b32 s6, -1
                                        ; implicit-def: $vgpr14
                                        ; implicit-def: $vgpr15
	s_branch .LBB22_117
.LBB22_114:
	v_mov_b32_e32 v17, v16
	v_mov_b32_e32 v15, 0
	s_and_b32 s7, s7, 3
	s_delay_alu instid0(SALU_CYCLE_1)
	s_cmp_eq_u32 s7, 0
	s_cbranch_scc1 .LBB22_117
.LBB22_115:
	s_lshl_b32 s2, s8, 3
	s_mul_i32 s4, s8, 12
	s_add_u32 s2, s2, s0
	s_addc_u32 s3, 0, s1
	s_add_u32 s2, s2, 0xc4
	s_addc_u32 s3, s3, 0
	;; [unrolled: 2-line block ×3, first 2 shown]
	.p2align	6
.LBB22_116:                             ; =>This Inner Loop Header: Depth=1
	s_clause 0x1
	s_load_b64 s[8:9], s[4:5], 0x4
	s_load_b32 s12, s[4:5], 0xc
	s_load_b64 s[10:11], s[2:3], 0x0
	s_add_u32 s4, s4, 12
	s_addc_u32 s5, s5, 0
	s_add_u32 s2, s2, 8
	s_addc_u32 s3, s3, 0
	s_add_i32 s7, s7, -1
	s_delay_alu instid0(SALU_CYCLE_1) | instskip(SKIP_2) | instid1(VALU_DEP_1)
	s_cmp_lg_u32 s7, 0
	s_waitcnt lgkmcnt(0)
	v_mul_hi_u32 v18, s9, v17
	v_add_nc_u32_e32 v18, v17, v18
	s_delay_alu instid0(VALU_DEP_1) | instskip(NEXT) | instid1(VALU_DEP_1)
	v_lshrrev_b32_e32 v21, s12, v18
	v_mul_lo_u32 v18, v21, s8
	s_delay_alu instid0(VALU_DEP_1) | instskip(NEXT) | instid1(VALU_DEP_1)
	v_sub_nc_u32_e32 v17, v17, v18
	v_mad_u64_u32 v[18:19], null, v17, s10, v[14:15]
	v_mad_u64_u32 v[19:20], null, v17, s11, v[15:16]
	s_delay_alu instid0(VALU_DEP_2) | instskip(NEXT) | instid1(VALU_DEP_2)
	v_dual_mov_b32 v17, v21 :: v_dual_mov_b32 v14, v18
	v_mov_b32_e32 v15, v19
	s_cbranch_scc1 .LBB22_116
.LBB22_117:
	s_and_not1_b32 vcc_lo, exec_lo, s6
	s_cbranch_vccnz .LBB22_120
; %bb.118:
	s_clause 0x1
	s_load_b128 s[4:7], s[0:1], 0x4
	s_load_b64 s[2:3], s[0:1], 0xc4
	s_cmp_lt_u32 s26, 2
	s_waitcnt lgkmcnt(0)
	v_mul_hi_u32 v14, s5, v16
	s_delay_alu instid0(VALU_DEP_1) | instskip(NEXT) | instid1(VALU_DEP_1)
	v_add_nc_u32_e32 v14, v16, v14
	v_lshrrev_b32_e32 v17, s6, v14
	s_delay_alu instid0(VALU_DEP_1) | instskip(NEXT) | instid1(VALU_DEP_1)
	v_mul_lo_u32 v14, v17, s4
	v_sub_nc_u32_e32 v15, v16, v14
	s_delay_alu instid0(VALU_DEP_1)
	v_mul_lo_u32 v14, v15, s2
	v_mul_lo_u32 v15, v15, s3
	s_cbranch_scc1 .LBB22_120
; %bb.119:
	s_clause 0x1
	s_load_b128 s[4:7], s[0:1], 0x10
	s_load_b64 s[2:3], s[0:1], 0xcc
	s_waitcnt lgkmcnt(0)
	v_mul_hi_u32 v16, s5, v17
	s_delay_alu instid0(VALU_DEP_1) | instskip(NEXT) | instid1(VALU_DEP_1)
	v_add_nc_u32_e32 v16, v17, v16
	v_lshrrev_b32_e32 v16, s6, v16
	s_delay_alu instid0(VALU_DEP_1) | instskip(NEXT) | instid1(VALU_DEP_1)
	v_mul_lo_u32 v16, v16, s4
	v_sub_nc_u32_e32 v19, v17, v16
	s_delay_alu instid0(VALU_DEP_1) | instskip(NEXT) | instid1(VALU_DEP_1)
	v_mad_u64_u32 v[16:17], null, v19, s2, v[14:15]
	v_mad_u64_u32 v[17:18], null, v19, s3, v[15:16]
	s_delay_alu instid0(VALU_DEP_1)
	v_dual_mov_b32 v14, v16 :: v_dual_mov_b32 v15, v17
.LBB22_120:
	s_clause 0x1
	s_load_b128 s[4:7], s[0:1], 0x148
	s_load_b64 s[2:3], s[0:1], 0x160
	s_mov_b32 s8, exec_lo
	s_waitcnt lgkmcnt(0)
	global_load_u16 v1, v1, s[6:7]
	s_waitcnt vmcnt(0)
	v_cvt_f32_f16_e32 v16, v1
	s_delay_alu instid0(VALU_DEP_1)
	v_cmpx_nlg_f32_e64 0x7f800000, |v16|
	s_cbranch_execz .LBB22_122
; %bb.121:
	s_load_b64 s[10:11], s[0:1], 0x158
	v_dual_mov_b32 v17, 0 :: v_dual_mov_b32 v18, 1.0
	s_waitcnt lgkmcnt(0)
	global_store_b32 v17, v18, s[10:11]
.LBB22_122:
	s_or_b32 exec_lo, exec_lo, s8
	v_mov_b32_e32 v20, 0
	global_load_u16 v17, v3, s[6:7]
	s_mov_b32 s8, exec_lo
	global_load_b32 v3, v20, s[2:3]
	s_waitcnt vmcnt(1)
	v_cvt_f32_f16_e32 v19, v17
	s_waitcnt vmcnt(0)
	v_mov_b32_e32 v18, v3
	s_delay_alu instid0(VALU_DEP_2)
	v_cmpx_nlg_f32_e64 0x7f800000, |v19|
	s_cbranch_execz .LBB22_124
; %bb.123:
	s_load_b64 s[10:11], s[0:1], 0x158
	v_mov_b32_e32 v18, 1.0
	s_waitcnt lgkmcnt(0)
	global_store_b32 v20, v18, s[10:11]
	global_load_b32 v18, v20, s[2:3]
.LBB22_124:
	s_or_b32 exec_lo, exec_lo, s8
	global_load_u16 v5, v5, s[6:7]
	s_waitcnt vmcnt(1)
	v_mov_b32_e32 v20, v18
	s_mov_b32 s8, exec_lo
	s_waitcnt vmcnt(0)
	v_cvt_f32_f16_e32 v21, v5
	s_delay_alu instid0(VALU_DEP_1)
	v_cmpx_nlg_f32_e64 0x7f800000, |v21|
	s_cbranch_execz .LBB22_126
; %bb.125:
	s_load_b64 s[10:11], s[0:1], 0x158
	v_mov_b32_e32 v20, 0
	v_mov_b32_e32 v22, 1.0
	s_waitcnt lgkmcnt(0)
	global_store_b32 v20, v22, s[10:11]
	global_load_b32 v20, v20, s[2:3]
.LBB22_126:
	s_or_b32 exec_lo, exec_lo, s8
	global_load_u16 v7, v7, s[6:7]
	s_waitcnt vmcnt(1)
	v_mov_b32_e32 v22, v20
	s_mov_b32 s8, exec_lo
	s_waitcnt vmcnt(0)
	v_cvt_f32_f16_e32 v23, v7
	s_delay_alu instid0(VALU_DEP_1)
	v_cmpx_nlg_f32_e64 0x7f800000, |v23|
	s_cbranch_execz .LBB22_128
; %bb.127:
	s_load_b64 s[10:11], s[0:1], 0x158
	v_mov_b32_e32 v22, 0
	v_mov_b32_e32 v24, 1.0
	s_waitcnt lgkmcnt(0)
	global_store_b32 v22, v24, s[10:11]
	global_load_b32 v22, v22, s[2:3]
.LBB22_128:
	s_or_b32 exec_lo, exec_lo, s8
	global_load_u16 v9, v9, s[6:7]
	s_waitcnt vmcnt(1)
	v_mov_b32_e32 v25, v22
	s_mov_b32 s8, exec_lo
	s_waitcnt vmcnt(0)
	v_cvt_f32_f16_e32 v24, v9
	s_delay_alu instid0(VALU_DEP_1)
	v_cmpx_nlg_f32_e64 0x7f800000, |v24|
	s_cbranch_execz .LBB22_130
; %bb.129:
	s_load_b64 s[10:11], s[0:1], 0x158
	v_dual_mov_b32 v25, 0 :: v_dual_mov_b32 v26, 1.0
	s_waitcnt lgkmcnt(0)
	global_store_b32 v25, v26, s[10:11]
	global_load_b32 v25, v25, s[2:3]
.LBB22_130:
	s_or_b32 exec_lo, exec_lo, s8
	global_load_u16 v11, v11, s[6:7]
	s_waitcnt vmcnt(1)
	v_mov_b32_e32 v27, v25
	s_mov_b32 s8, exec_lo
	s_waitcnt vmcnt(0)
	v_cvt_f32_f16_e32 v26, v11
	s_delay_alu instid0(VALU_DEP_1)
	v_cmpx_nlg_f32_e64 0x7f800000, |v26|
	s_cbranch_execz .LBB22_132
; %bb.131:
	s_load_b64 s[10:11], s[0:1], 0x158
	v_dual_mov_b32 v27, 0 :: v_dual_mov_b32 v28, 1.0
	s_waitcnt lgkmcnt(0)
	global_store_b32 v27, v28, s[10:11]
	global_load_b32 v27, v27, s[2:3]
.LBB22_132:
	;; [unrolled: 17-line block ×3, first 2 shown]
	s_or_b32 exec_lo, exec_lo, s8
	global_load_u16 v13, v15, s[6:7]
	s_waitcnt vmcnt(1)
	v_mov_b32_e32 v28, v31
	s_mov_b32 s6, exec_lo
	s_waitcnt vmcnt(0)
	v_cvt_f32_f16_e32 v15, v13
	s_delay_alu instid0(VALU_DEP_1)
	v_cmpx_nlg_f32_e64 0x7f800000, |v15|
	s_cbranch_execz .LBB22_136
; %bb.135:
	s_load_b64 s[0:1], s[0:1], 0x158
	v_mov_b32_e32 v28, 0
	v_mov_b32_e32 v32, 1.0
	s_waitcnt lgkmcnt(0)
	global_store_b32 v28, v32, s[0:1]
	global_load_b32 v28, v28, s[2:3]
.LBB22_136:
	s_or_b32 exec_lo, exec_lo, s6
	v_fma_mixlo_f16 v30, v31, v30, 0
	v_cmp_eq_f32_e32 vcc_lo, 1.0, v31
	v_fma_mixlo_f16 v26, v27, v26, 0
	v_fma_mixlo_f16 v24, v25, v24, 0
	;; [unrolled: 1-line block ×4, first 2 shown]
	v_cndmask_b32_e32 v29, v30, v29, vcc_lo
	v_cmp_eq_f32_e32 vcc_lo, 1.0, v27
	v_fma_mixlo_f16 v16, v3, v16, 0
	v_fma_mixlo_f16 v21, v20, v21, 0
	s_waitcnt vmcnt(0)
	v_fma_mixlo_f16 v15, v28, v15, 0
	v_cndmask_b32_e32 v11, v26, v11, vcc_lo
	v_cmp_eq_f32_e32 vcc_lo, 1.0, v25
	v_cndmask_b32_e32 v9, v24, v9, vcc_lo
	v_cmp_eq_f32_e32 vcc_lo, 1.0, v22
	v_cndmask_b32_e32 v7, v23, v7, vcc_lo
	v_cmp_eq_f32_e32 vcc_lo, 1.0, v18
	v_cndmask_b32_e32 v17, v19, v17, vcc_lo
	v_cmp_eq_f32_e32 vcc_lo, 1.0, v3
	v_cndmask_b32_e32 v1, v16, v1, vcc_lo
	v_cmp_eq_f32_e32 vcc_lo, 1.0, v20
	v_cndmask_b32_e32 v3, v21, v5, vcc_lo
	v_cmp_eq_f32_e32 vcc_lo, 1.0, v28
	v_cndmask_b32_e32 v5, v15, v13, vcc_lo
	s_clause 0x7
	global_store_b16 v0, v1, s[4:5]
	global_store_b16 v2, v17, s[4:5]
	;; [unrolled: 1-line block ×8, first 2 shown]
	s_nop 0
	s_sendmsg sendmsg(MSG_DEALLOC_VGPRS)
	s_endpgm
.LBB22_137:
	v_dual_mov_b32 v2, v12 :: v_dual_mov_b32 v1, 0
.LBB22_138:
	s_and_b32 s38, s38, 3
	s_delay_alu instid0(SALU_CYCLE_1)
	s_cmp_eq_u32 s38, 0
	s_cbranch_scc1 .LBB22_141
; %bb.139:
	s_lshl_b32 s22, s37, 3
	s_mul_i32 s24, s37, 12
	s_add_u32 s22, s22, s0
	s_addc_u32 s23, s1, 0
	s_add_u32 s22, s22, 0xc4
	s_addc_u32 s23, s23, 0
	;; [unrolled: 2-line block ×3, first 2 shown]
	.p2align	6
.LBB22_140:                             ; =>This Inner Loop Header: Depth=1
	s_clause 0x1
	s_load_b64 s[40:41], s[24:25], 0x4
	s_load_b32 s37, s[24:25], 0xc
	s_load_b64 s[42:43], s[22:23], 0x0
	s_add_u32 s24, s24, 12
	s_addc_u32 s25, s25, 0
	s_add_u32 s22, s22, 8
	s_addc_u32 s23, s23, 0
	s_add_i32 s38, s38, -1
	s_delay_alu instid0(SALU_CYCLE_1) | instskip(SKIP_2) | instid1(VALU_DEP_1)
	s_cmp_lg_u32 s38, 0
	s_waitcnt lgkmcnt(0)
	v_mul_hi_u32 v3, s41, v2
	v_add_nc_u32_e32 v3, v2, v3
	s_delay_alu instid0(VALU_DEP_1) | instskip(NEXT) | instid1(VALU_DEP_1)
	v_lshrrev_b32_e32 v6, s37, v3
	v_mul_lo_u32 v3, v6, s40
	s_delay_alu instid0(VALU_DEP_1) | instskip(NEXT) | instid1(VALU_DEP_1)
	v_sub_nc_u32_e32 v2, v2, v3
	v_mad_u64_u32 v[3:4], null, v2, s42, v[0:1]
	v_mad_u64_u32 v[4:5], null, v2, s43, v[1:2]
	v_mov_b32_e32 v2, v6
	s_delay_alu instid0(VALU_DEP_2)
	v_dual_mov_b32 v0, v3 :: v_dual_mov_b32 v1, v4
	s_cbranch_scc1 .LBB22_140
.LBB22_141:
	s_and_not1_b32 vcc_lo, exec_lo, s36
	s_cbranch_vccnz .LBB22_144
; %bb.142:
	s_waitcnt lgkmcnt(0)
	v_mul_hi_u32 v0, s17, v12
	s_and_not1_b32 vcc_lo, exec_lo, s30
	s_delay_alu instid0(VALU_DEP_1) | instskip(NEXT) | instid1(VALU_DEP_1)
	v_add_nc_u32_e32 v0, v12, v0
	v_lshrrev_b32_e32 v2, s18, v0
	s_delay_alu instid0(VALU_DEP_1) | instskip(NEXT) | instid1(VALU_DEP_1)
	v_mul_lo_u32 v0, v2, s16
	v_sub_nc_u32_e32 v1, v12, v0
	s_delay_alu instid0(VALU_DEP_1)
	v_mul_lo_u32 v0, v1, s12
	v_mul_lo_u32 v1, v1, s13
	s_cbranch_vccnz .LBB22_144
; %bb.143:
	v_mul_hi_u32 v3, s2, v2
	s_delay_alu instid0(VALU_DEP_1) | instskip(NEXT) | instid1(VALU_DEP_1)
	v_add_nc_u32_e32 v3, v2, v3
	v_lshrrev_b32_e32 v3, s3, v3
	s_delay_alu instid0(VALU_DEP_1) | instskip(NEXT) | instid1(VALU_DEP_1)
	v_mul_lo_u32 v3, v3, s19
	v_sub_nc_u32_e32 v5, v2, v3
	s_delay_alu instid0(VALU_DEP_1) | instskip(NEXT) | instid1(VALU_DEP_1)
	v_mad_u64_u32 v[2:3], null, v5, s14, v[0:1]
	v_mad_u64_u32 v[3:4], null, v5, s15, v[1:2]
	s_delay_alu instid0(VALU_DEP_1)
	v_dual_mov_b32 v0, v2 :: v_dual_mov_b32 v1, v3
.LBB22_144:
	s_waitcnt lgkmcnt(0)
	global_load_u16 v1, v1, s[6:7]
	s_mov_b32 s22, exec_lo
	s_waitcnt vmcnt(0)
	v_cvt_f32_f16_e32 v2, v1
	s_delay_alu instid0(VALU_DEP_1)
	v_cmpx_nlg_f32_e64 0x7f800000, |v2|
	s_cbranch_execz .LBB22_146
; %bb.145:
	v_dual_mov_b32 v3, 0 :: v_dual_mov_b32 v4, 1.0
	global_store_b32 v3, v4, s[8:9]
.LBB22_146:
	s_or_b32 exec_lo, exec_lo, s22
	v_dual_mov_b32 v3, 0 :: v_dual_add_nc_u32 v12, 0x80, v12
	global_load_b32 v3, v3, s[10:11]
	s_waitcnt vmcnt(0)
	v_fma_mixlo_f16 v2, v3, v2, 0
	v_cmp_eq_f32_e32 vcc_lo, 1.0, v3
	s_delay_alu instid0(VALU_DEP_2) | instskip(SKIP_2) | instid1(SALU_CYCLE_1)
	v_cndmask_b32_e32 v1, v2, v1, vcc_lo
	global_store_b16 v0, v1, s[4:5]
	s_or_b32 exec_lo, exec_lo, s35
	s_mov_b32 s35, exec_lo
	v_cmpx_gt_i32_e64 s31, v12
	s_cbranch_execnz .LBB22_15
.LBB22_147:
	s_or_b32 exec_lo, exec_lo, s35
	s_delay_alu instid0(SALU_CYCLE_1)
	s_mov_b32 s35, exec_lo
	v_cmpx_gt_i32_e64 s31, v12
	s_cbranch_execz .LBB22_164
.LBB22_148:
	s_and_not1_b32 vcc_lo, exec_lo, s28
	s_cbranch_vccnz .LBB22_153
; %bb.149:
	v_dual_mov_b32 v0, 0 :: v_dual_mov_b32 v1, 0
	s_and_not1_b32 vcc_lo, exec_lo, s34
	s_mov_b32 s36, 0
	s_cbranch_vccnz .LBB22_175
; %bb.150:
	v_mov_b32_e32 v0, 0
	s_add_i32 s38, s33, 1
	s_cmp_eq_u32 s27, 2
	s_mov_b32 s37, 0
	s_cbranch_scc1 .LBB22_171
; %bb.151:
	v_dual_mov_b32 v1, 0 :: v_dual_mov_b32 v0, 0
	v_mov_b32_e32 v2, v12
	s_and_b32 s37, s38, 28
	s_mov_b32 s39, 0
	s_mov_b64 s[22:23], s[20:21]
	s_mov_b64 s[24:25], s[0:1]
.LBB22_152:                             ; =>This Inner Loop Header: Depth=1
	s_clause 0x1
	s_load_b256 s[40:47], s[24:25], 0x4
	s_load_b128 s[56:59], s[24:25], 0x24
	s_load_b256 s[48:55], s[22:23], 0x0
	s_add_u32 s24, s24, 48
	s_addc_u32 s25, s25, 0
	s_add_i32 s39, s39, 4
	s_add_u32 s22, s22, 32
	s_addc_u32 s23, s23, 0
	s_cmp_eq_u32 s37, s39
	s_waitcnt lgkmcnt(0)
	v_mul_hi_u32 v3, s41, v2
	s_delay_alu instid0(VALU_DEP_1) | instskip(NEXT) | instid1(VALU_DEP_1)
	v_add_nc_u32_e32 v3, v2, v3
	v_lshrrev_b32_e32 v3, s42, v3
	s_delay_alu instid0(VALU_DEP_1) | instskip(SKIP_1) | instid1(VALU_DEP_2)
	v_mul_hi_u32 v4, s44, v3
	v_mul_lo_u32 v6, v3, s40
	v_add_nc_u32_e32 v4, v3, v4
	s_delay_alu instid0(VALU_DEP_2) | instskip(NEXT) | instid1(VALU_DEP_2)
	v_sub_nc_u32_e32 v2, v2, v6
	v_lshrrev_b32_e32 v4, s45, v4
	s_delay_alu instid0(VALU_DEP_2) | instskip(SKIP_1) | instid1(VALU_DEP_3)
	v_mul_lo_u32 v6, v2, s48
	v_mul_lo_u32 v8, v2, s49
	v_mul_hi_u32 v5, s47, v4
	s_delay_alu instid0(VALU_DEP_1) | instskip(NEXT) | instid1(VALU_DEP_1)
	v_add_nc_u32_e32 v5, v4, v5
	v_lshrrev_b32_e32 v5, s56, v5
	s_delay_alu instid0(VALU_DEP_1) | instskip(SKIP_1) | instid1(VALU_DEP_2)
	v_mul_hi_u32 v7, s58, v5
	v_mul_lo_u32 v9, v5, s46
	v_add_nc_u32_e32 v2, v5, v7
	v_mul_lo_u32 v7, v4, s43
	s_delay_alu instid0(VALU_DEP_3) | instskip(NEXT) | instid1(VALU_DEP_3)
	v_sub_nc_u32_e32 v4, v4, v9
	v_lshrrev_b32_e32 v2, s59, v2
	s_delay_alu instid0(VALU_DEP_2) | instskip(SKIP_2) | instid1(VALU_DEP_4)
	v_mul_lo_u32 v9, v4, s52
	v_mul_lo_u32 v4, v4, s53
	v_sub_nc_u32_e32 v3, v3, v7
	v_mul_lo_u32 v10, v2, s57
	s_delay_alu instid0(VALU_DEP_2) | instskip(SKIP_1) | instid1(VALU_DEP_3)
	v_mul_lo_u32 v7, v3, s50
	v_mul_lo_u32 v3, v3, s51
	v_sub_nc_u32_e32 v5, v5, v10
	s_delay_alu instid0(VALU_DEP_3) | instskip(NEXT) | instid1(VALU_DEP_2)
	v_add3_u32 v0, v6, v0, v7
	v_mul_lo_u32 v10, v5, s54
	v_mul_lo_u32 v5, v5, s55
	v_add3_u32 v1, v8, v1, v3
	s_delay_alu instid0(VALU_DEP_3) | instskip(NEXT) | instid1(VALU_DEP_2)
	v_add3_u32 v0, v9, v0, v10
	v_add3_u32 v1, v4, v1, v5
	s_cbranch_scc0 .LBB22_152
	s_branch .LBB22_172
.LBB22_153:
	s_mov_b32 s36, -1
                                        ; implicit-def: $vgpr0
                                        ; implicit-def: $vgpr1
	s_branch .LBB22_175
.LBB22_154:
	v_dual_mov_b32 v2, v12 :: v_dual_mov_b32 v1, 0
.LBB22_155:
	s_and_b32 s38, s38, 3
	s_delay_alu instid0(SALU_CYCLE_1)
	s_cmp_eq_u32 s38, 0
	s_cbranch_scc1 .LBB22_158
; %bb.156:
	s_lshl_b32 s22, s37, 3
	s_mul_i32 s24, s37, 12
	s_add_u32 s22, s22, s0
	s_addc_u32 s23, s1, 0
	s_add_u32 s22, s22, 0xc4
	s_addc_u32 s23, s23, 0
	;; [unrolled: 2-line block ×3, first 2 shown]
	.p2align	6
.LBB22_157:                             ; =>This Inner Loop Header: Depth=1
	s_clause 0x1
	s_load_b64 s[40:41], s[24:25], 0x4
	s_load_b32 s37, s[24:25], 0xc
	s_load_b64 s[42:43], s[22:23], 0x0
	s_add_u32 s24, s24, 12
	s_addc_u32 s25, s25, 0
	s_add_u32 s22, s22, 8
	s_addc_u32 s23, s23, 0
	s_add_i32 s38, s38, -1
	s_delay_alu instid0(SALU_CYCLE_1) | instskip(SKIP_2) | instid1(VALU_DEP_1)
	s_cmp_lg_u32 s38, 0
	s_waitcnt lgkmcnt(0)
	v_mul_hi_u32 v3, s41, v2
	v_add_nc_u32_e32 v3, v2, v3
	s_delay_alu instid0(VALU_DEP_1) | instskip(NEXT) | instid1(VALU_DEP_1)
	v_lshrrev_b32_e32 v6, s37, v3
	v_mul_lo_u32 v3, v6, s40
	s_delay_alu instid0(VALU_DEP_1) | instskip(NEXT) | instid1(VALU_DEP_1)
	v_sub_nc_u32_e32 v2, v2, v3
	v_mad_u64_u32 v[3:4], null, v2, s42, v[0:1]
	v_mad_u64_u32 v[4:5], null, v2, s43, v[1:2]
	v_mov_b32_e32 v2, v6
	s_delay_alu instid0(VALU_DEP_2)
	v_dual_mov_b32 v0, v3 :: v_dual_mov_b32 v1, v4
	s_cbranch_scc1 .LBB22_157
.LBB22_158:
	s_and_not1_b32 vcc_lo, exec_lo, s36
	s_cbranch_vccnz .LBB22_161
; %bb.159:
	s_waitcnt lgkmcnt(0)
	v_mul_hi_u32 v0, s17, v12
	s_and_not1_b32 vcc_lo, exec_lo, s30
	s_delay_alu instid0(VALU_DEP_1) | instskip(NEXT) | instid1(VALU_DEP_1)
	v_add_nc_u32_e32 v0, v12, v0
	v_lshrrev_b32_e32 v2, s18, v0
	s_delay_alu instid0(VALU_DEP_1) | instskip(NEXT) | instid1(VALU_DEP_1)
	v_mul_lo_u32 v0, v2, s16
	v_sub_nc_u32_e32 v1, v12, v0
	s_delay_alu instid0(VALU_DEP_1)
	v_mul_lo_u32 v0, v1, s12
	v_mul_lo_u32 v1, v1, s13
	s_cbranch_vccnz .LBB22_161
; %bb.160:
	v_mul_hi_u32 v3, s2, v2
	s_delay_alu instid0(VALU_DEP_1) | instskip(NEXT) | instid1(VALU_DEP_1)
	v_add_nc_u32_e32 v3, v2, v3
	v_lshrrev_b32_e32 v3, s3, v3
	s_delay_alu instid0(VALU_DEP_1) | instskip(NEXT) | instid1(VALU_DEP_1)
	v_mul_lo_u32 v3, v3, s19
	v_sub_nc_u32_e32 v5, v2, v3
	s_delay_alu instid0(VALU_DEP_1) | instskip(NEXT) | instid1(VALU_DEP_1)
	v_mad_u64_u32 v[2:3], null, v5, s14, v[0:1]
	v_mad_u64_u32 v[3:4], null, v5, s15, v[1:2]
	s_delay_alu instid0(VALU_DEP_1)
	v_dual_mov_b32 v0, v2 :: v_dual_mov_b32 v1, v3
.LBB22_161:
	s_waitcnt lgkmcnt(0)
	global_load_u16 v1, v1, s[6:7]
	s_mov_b32 s22, exec_lo
	s_waitcnt vmcnt(0)
	v_cvt_f32_f16_e32 v2, v1
	s_delay_alu instid0(VALU_DEP_1)
	v_cmpx_nlg_f32_e64 0x7f800000, |v2|
	s_cbranch_execz .LBB22_163
; %bb.162:
	v_dual_mov_b32 v3, 0 :: v_dual_mov_b32 v4, 1.0
	global_store_b32 v3, v4, s[8:9]
.LBB22_163:
	s_or_b32 exec_lo, exec_lo, s22
	v_dual_mov_b32 v3, 0 :: v_dual_add_nc_u32 v12, 0x80, v12
	global_load_b32 v3, v3, s[10:11]
	s_waitcnt vmcnt(0)
	v_fma_mixlo_f16 v2, v3, v2, 0
	v_cmp_eq_f32_e32 vcc_lo, 1.0, v3
	s_delay_alu instid0(VALU_DEP_2) | instskip(SKIP_2) | instid1(SALU_CYCLE_1)
	v_cndmask_b32_e32 v1, v2, v1, vcc_lo
	global_store_b16 v0, v1, s[4:5]
	s_or_b32 exec_lo, exec_lo, s35
	s_mov_b32 s35, exec_lo
	v_cmpx_gt_i32_e64 s31, v12
	s_cbranch_execnz .LBB22_148
.LBB22_164:
	s_or_b32 exec_lo, exec_lo, s35
	s_delay_alu instid0(SALU_CYCLE_1)
	s_mov_b32 s35, exec_lo
	v_cmpx_gt_i32_e64 s31, v12
	s_cbranch_execz .LBB22_181
.LBB22_165:
	s_and_not1_b32 vcc_lo, exec_lo, s28
	s_cbranch_vccnz .LBB22_170
; %bb.166:
	v_dual_mov_b32 v0, 0 :: v_dual_mov_b32 v1, 0
	s_and_not1_b32 vcc_lo, exec_lo, s34
	s_mov_b32 s36, 0
	s_cbranch_vccnz .LBB22_192
; %bb.167:
	v_mov_b32_e32 v0, 0
	s_add_i32 s38, s33, 1
	s_cmp_eq_u32 s27, 2
	s_mov_b32 s37, 0
	s_cbranch_scc1 .LBB22_188
; %bb.168:
	v_dual_mov_b32 v1, 0 :: v_dual_mov_b32 v0, 0
	v_mov_b32_e32 v2, v12
	s_and_b32 s37, s38, 28
	s_mov_b32 s39, 0
	s_mov_b64 s[22:23], s[20:21]
	s_mov_b64 s[24:25], s[0:1]
.LBB22_169:                             ; =>This Inner Loop Header: Depth=1
	s_clause 0x1
	s_load_b256 s[40:47], s[24:25], 0x4
	s_load_b128 s[56:59], s[24:25], 0x24
	s_load_b256 s[48:55], s[22:23], 0x0
	s_add_u32 s24, s24, 48
	s_addc_u32 s25, s25, 0
	s_add_i32 s39, s39, 4
	s_add_u32 s22, s22, 32
	s_addc_u32 s23, s23, 0
	s_cmp_eq_u32 s37, s39
	s_waitcnt lgkmcnt(0)
	v_mul_hi_u32 v3, s41, v2
	s_delay_alu instid0(VALU_DEP_1) | instskip(NEXT) | instid1(VALU_DEP_1)
	v_add_nc_u32_e32 v3, v2, v3
	v_lshrrev_b32_e32 v3, s42, v3
	s_delay_alu instid0(VALU_DEP_1) | instskip(SKIP_1) | instid1(VALU_DEP_2)
	v_mul_hi_u32 v4, s44, v3
	v_mul_lo_u32 v6, v3, s40
	v_add_nc_u32_e32 v4, v3, v4
	s_delay_alu instid0(VALU_DEP_2) | instskip(NEXT) | instid1(VALU_DEP_2)
	v_sub_nc_u32_e32 v2, v2, v6
	v_lshrrev_b32_e32 v4, s45, v4
	s_delay_alu instid0(VALU_DEP_2) | instskip(SKIP_1) | instid1(VALU_DEP_3)
	v_mul_lo_u32 v6, v2, s48
	v_mul_lo_u32 v8, v2, s49
	v_mul_hi_u32 v5, s47, v4
	s_delay_alu instid0(VALU_DEP_1) | instskip(NEXT) | instid1(VALU_DEP_1)
	v_add_nc_u32_e32 v5, v4, v5
	v_lshrrev_b32_e32 v5, s56, v5
	s_delay_alu instid0(VALU_DEP_1) | instskip(SKIP_1) | instid1(VALU_DEP_2)
	v_mul_hi_u32 v7, s58, v5
	v_mul_lo_u32 v9, v5, s46
	v_add_nc_u32_e32 v2, v5, v7
	v_mul_lo_u32 v7, v4, s43
	s_delay_alu instid0(VALU_DEP_3) | instskip(NEXT) | instid1(VALU_DEP_3)
	v_sub_nc_u32_e32 v4, v4, v9
	v_lshrrev_b32_e32 v2, s59, v2
	s_delay_alu instid0(VALU_DEP_2) | instskip(SKIP_2) | instid1(VALU_DEP_4)
	v_mul_lo_u32 v9, v4, s52
	v_mul_lo_u32 v4, v4, s53
	v_sub_nc_u32_e32 v3, v3, v7
	v_mul_lo_u32 v10, v2, s57
	s_delay_alu instid0(VALU_DEP_2) | instskip(SKIP_1) | instid1(VALU_DEP_3)
	v_mul_lo_u32 v7, v3, s50
	v_mul_lo_u32 v3, v3, s51
	v_sub_nc_u32_e32 v5, v5, v10
	s_delay_alu instid0(VALU_DEP_3) | instskip(NEXT) | instid1(VALU_DEP_2)
	v_add3_u32 v0, v6, v0, v7
	v_mul_lo_u32 v10, v5, s54
	v_mul_lo_u32 v5, v5, s55
	v_add3_u32 v1, v8, v1, v3
	s_delay_alu instid0(VALU_DEP_3) | instskip(NEXT) | instid1(VALU_DEP_2)
	v_add3_u32 v0, v9, v0, v10
	v_add3_u32 v1, v4, v1, v5
	s_cbranch_scc0 .LBB22_169
	s_branch .LBB22_189
.LBB22_170:
	s_mov_b32 s36, -1
                                        ; implicit-def: $vgpr0
                                        ; implicit-def: $vgpr1
	s_branch .LBB22_192
.LBB22_171:
	v_dual_mov_b32 v2, v12 :: v_dual_mov_b32 v1, 0
.LBB22_172:
	s_and_b32 s38, s38, 3
	s_delay_alu instid0(SALU_CYCLE_1)
	s_cmp_eq_u32 s38, 0
	s_cbranch_scc1 .LBB22_175
; %bb.173:
	s_lshl_b32 s22, s37, 3
	s_mul_i32 s24, s37, 12
	s_add_u32 s22, s22, s0
	s_addc_u32 s23, s1, 0
	s_add_u32 s22, s22, 0xc4
	s_addc_u32 s23, s23, 0
	;; [unrolled: 2-line block ×3, first 2 shown]
	.p2align	6
.LBB22_174:                             ; =>This Inner Loop Header: Depth=1
	s_clause 0x1
	s_load_b64 s[40:41], s[24:25], 0x4
	s_load_b32 s37, s[24:25], 0xc
	s_load_b64 s[42:43], s[22:23], 0x0
	s_add_u32 s24, s24, 12
	s_addc_u32 s25, s25, 0
	s_add_u32 s22, s22, 8
	s_addc_u32 s23, s23, 0
	s_add_i32 s38, s38, -1
	s_delay_alu instid0(SALU_CYCLE_1) | instskip(SKIP_2) | instid1(VALU_DEP_1)
	s_cmp_lg_u32 s38, 0
	s_waitcnt lgkmcnt(0)
	v_mul_hi_u32 v3, s41, v2
	v_add_nc_u32_e32 v3, v2, v3
	s_delay_alu instid0(VALU_DEP_1) | instskip(NEXT) | instid1(VALU_DEP_1)
	v_lshrrev_b32_e32 v6, s37, v3
	v_mul_lo_u32 v3, v6, s40
	s_delay_alu instid0(VALU_DEP_1) | instskip(NEXT) | instid1(VALU_DEP_1)
	v_sub_nc_u32_e32 v2, v2, v3
	v_mad_u64_u32 v[3:4], null, v2, s42, v[0:1]
	v_mad_u64_u32 v[4:5], null, v2, s43, v[1:2]
	v_mov_b32_e32 v2, v6
	s_delay_alu instid0(VALU_DEP_2)
	v_dual_mov_b32 v0, v3 :: v_dual_mov_b32 v1, v4
	s_cbranch_scc1 .LBB22_174
.LBB22_175:
	s_and_not1_b32 vcc_lo, exec_lo, s36
	s_cbranch_vccnz .LBB22_178
; %bb.176:
	s_waitcnt lgkmcnt(0)
	v_mul_hi_u32 v0, s17, v12
	s_and_not1_b32 vcc_lo, exec_lo, s30
	s_delay_alu instid0(VALU_DEP_1) | instskip(NEXT) | instid1(VALU_DEP_1)
	v_add_nc_u32_e32 v0, v12, v0
	v_lshrrev_b32_e32 v2, s18, v0
	s_delay_alu instid0(VALU_DEP_1) | instskip(NEXT) | instid1(VALU_DEP_1)
	v_mul_lo_u32 v0, v2, s16
	v_sub_nc_u32_e32 v1, v12, v0
	s_delay_alu instid0(VALU_DEP_1)
	v_mul_lo_u32 v0, v1, s12
	v_mul_lo_u32 v1, v1, s13
	s_cbranch_vccnz .LBB22_178
; %bb.177:
	v_mul_hi_u32 v3, s2, v2
	s_delay_alu instid0(VALU_DEP_1) | instskip(NEXT) | instid1(VALU_DEP_1)
	v_add_nc_u32_e32 v3, v2, v3
	v_lshrrev_b32_e32 v3, s3, v3
	s_delay_alu instid0(VALU_DEP_1) | instskip(NEXT) | instid1(VALU_DEP_1)
	v_mul_lo_u32 v3, v3, s19
	v_sub_nc_u32_e32 v5, v2, v3
	s_delay_alu instid0(VALU_DEP_1) | instskip(NEXT) | instid1(VALU_DEP_1)
	v_mad_u64_u32 v[2:3], null, v5, s14, v[0:1]
	v_mad_u64_u32 v[3:4], null, v5, s15, v[1:2]
	s_delay_alu instid0(VALU_DEP_1)
	v_dual_mov_b32 v0, v2 :: v_dual_mov_b32 v1, v3
.LBB22_178:
	s_waitcnt lgkmcnt(0)
	global_load_u16 v1, v1, s[6:7]
	s_mov_b32 s22, exec_lo
	s_waitcnt vmcnt(0)
	v_cvt_f32_f16_e32 v2, v1
	s_delay_alu instid0(VALU_DEP_1)
	v_cmpx_nlg_f32_e64 0x7f800000, |v2|
	s_cbranch_execz .LBB22_180
; %bb.179:
	v_dual_mov_b32 v3, 0 :: v_dual_mov_b32 v4, 1.0
	global_store_b32 v3, v4, s[8:9]
.LBB22_180:
	s_or_b32 exec_lo, exec_lo, s22
	v_dual_mov_b32 v3, 0 :: v_dual_add_nc_u32 v12, 0x80, v12
	global_load_b32 v3, v3, s[10:11]
	s_waitcnt vmcnt(0)
	v_fma_mixlo_f16 v2, v3, v2, 0
	v_cmp_eq_f32_e32 vcc_lo, 1.0, v3
	s_delay_alu instid0(VALU_DEP_2) | instskip(SKIP_2) | instid1(SALU_CYCLE_1)
	v_cndmask_b32_e32 v1, v2, v1, vcc_lo
	global_store_b16 v0, v1, s[4:5]
	s_or_b32 exec_lo, exec_lo, s35
	s_mov_b32 s35, exec_lo
	v_cmpx_gt_i32_e64 s31, v12
	s_cbranch_execnz .LBB22_165
.LBB22_181:
	s_or_b32 exec_lo, exec_lo, s35
	s_delay_alu instid0(SALU_CYCLE_1)
	s_mov_b32 s35, exec_lo
	v_cmpx_gt_i32_e64 s31, v12
	s_cbranch_execz .LBB22_198
.LBB22_182:
	s_and_not1_b32 vcc_lo, exec_lo, s28
	s_cbranch_vccnz .LBB22_187
; %bb.183:
	v_dual_mov_b32 v0, 0 :: v_dual_mov_b32 v1, 0
	s_and_not1_b32 vcc_lo, exec_lo, s34
	s_mov_b32 s36, 0
	s_cbranch_vccnz .LBB22_209
; %bb.184:
	v_mov_b32_e32 v0, 0
	s_add_i32 s38, s33, 1
	s_cmp_eq_u32 s27, 2
	s_mov_b32 s37, 0
	s_cbranch_scc1 .LBB22_205
; %bb.185:
	v_dual_mov_b32 v1, 0 :: v_dual_mov_b32 v0, 0
	v_mov_b32_e32 v2, v12
	s_and_b32 s37, s38, 28
	s_mov_b32 s39, 0
	s_mov_b64 s[22:23], s[20:21]
	s_mov_b64 s[24:25], s[0:1]
.LBB22_186:                             ; =>This Inner Loop Header: Depth=1
	s_clause 0x1
	s_load_b256 s[40:47], s[24:25], 0x4
	s_load_b128 s[56:59], s[24:25], 0x24
	s_load_b256 s[48:55], s[22:23], 0x0
	s_add_u32 s24, s24, 48
	s_addc_u32 s25, s25, 0
	s_add_i32 s39, s39, 4
	s_add_u32 s22, s22, 32
	s_addc_u32 s23, s23, 0
	s_cmp_eq_u32 s37, s39
	s_waitcnt lgkmcnt(0)
	v_mul_hi_u32 v3, s41, v2
	s_delay_alu instid0(VALU_DEP_1) | instskip(NEXT) | instid1(VALU_DEP_1)
	v_add_nc_u32_e32 v3, v2, v3
	v_lshrrev_b32_e32 v3, s42, v3
	s_delay_alu instid0(VALU_DEP_1) | instskip(SKIP_1) | instid1(VALU_DEP_2)
	v_mul_hi_u32 v4, s44, v3
	v_mul_lo_u32 v6, v3, s40
	v_add_nc_u32_e32 v4, v3, v4
	s_delay_alu instid0(VALU_DEP_2) | instskip(NEXT) | instid1(VALU_DEP_2)
	v_sub_nc_u32_e32 v2, v2, v6
	v_lshrrev_b32_e32 v4, s45, v4
	s_delay_alu instid0(VALU_DEP_2) | instskip(SKIP_1) | instid1(VALU_DEP_3)
	v_mul_lo_u32 v6, v2, s48
	v_mul_lo_u32 v8, v2, s49
	v_mul_hi_u32 v5, s47, v4
	s_delay_alu instid0(VALU_DEP_1) | instskip(NEXT) | instid1(VALU_DEP_1)
	v_add_nc_u32_e32 v5, v4, v5
	v_lshrrev_b32_e32 v5, s56, v5
	s_delay_alu instid0(VALU_DEP_1) | instskip(SKIP_1) | instid1(VALU_DEP_2)
	v_mul_hi_u32 v7, s58, v5
	v_mul_lo_u32 v9, v5, s46
	v_add_nc_u32_e32 v2, v5, v7
	v_mul_lo_u32 v7, v4, s43
	s_delay_alu instid0(VALU_DEP_3) | instskip(NEXT) | instid1(VALU_DEP_3)
	v_sub_nc_u32_e32 v4, v4, v9
	v_lshrrev_b32_e32 v2, s59, v2
	s_delay_alu instid0(VALU_DEP_2) | instskip(SKIP_2) | instid1(VALU_DEP_4)
	v_mul_lo_u32 v9, v4, s52
	v_mul_lo_u32 v4, v4, s53
	v_sub_nc_u32_e32 v3, v3, v7
	v_mul_lo_u32 v10, v2, s57
	s_delay_alu instid0(VALU_DEP_2) | instskip(SKIP_1) | instid1(VALU_DEP_3)
	v_mul_lo_u32 v7, v3, s50
	v_mul_lo_u32 v3, v3, s51
	v_sub_nc_u32_e32 v5, v5, v10
	s_delay_alu instid0(VALU_DEP_3) | instskip(NEXT) | instid1(VALU_DEP_2)
	v_add3_u32 v0, v6, v0, v7
	v_mul_lo_u32 v10, v5, s54
	v_mul_lo_u32 v5, v5, s55
	v_add3_u32 v1, v8, v1, v3
	s_delay_alu instid0(VALU_DEP_3) | instskip(NEXT) | instid1(VALU_DEP_2)
	v_add3_u32 v0, v9, v0, v10
	v_add3_u32 v1, v4, v1, v5
	s_cbranch_scc0 .LBB22_186
	s_branch .LBB22_206
.LBB22_187:
	s_mov_b32 s36, -1
                                        ; implicit-def: $vgpr0
                                        ; implicit-def: $vgpr1
	s_branch .LBB22_209
.LBB22_188:
	v_dual_mov_b32 v2, v12 :: v_dual_mov_b32 v1, 0
.LBB22_189:
	s_and_b32 s38, s38, 3
	s_delay_alu instid0(SALU_CYCLE_1)
	s_cmp_eq_u32 s38, 0
	s_cbranch_scc1 .LBB22_192
; %bb.190:
	s_lshl_b32 s22, s37, 3
	s_mul_i32 s24, s37, 12
	s_add_u32 s22, s22, s0
	s_addc_u32 s23, s1, 0
	s_add_u32 s22, s22, 0xc4
	s_addc_u32 s23, s23, 0
	;; [unrolled: 2-line block ×3, first 2 shown]
	.p2align	6
.LBB22_191:                             ; =>This Inner Loop Header: Depth=1
	s_clause 0x1
	s_load_b64 s[40:41], s[24:25], 0x4
	s_load_b32 s37, s[24:25], 0xc
	s_load_b64 s[42:43], s[22:23], 0x0
	s_add_u32 s24, s24, 12
	s_addc_u32 s25, s25, 0
	s_add_u32 s22, s22, 8
	s_addc_u32 s23, s23, 0
	s_add_i32 s38, s38, -1
	s_delay_alu instid0(SALU_CYCLE_1) | instskip(SKIP_2) | instid1(VALU_DEP_1)
	s_cmp_lg_u32 s38, 0
	s_waitcnt lgkmcnt(0)
	v_mul_hi_u32 v3, s41, v2
	v_add_nc_u32_e32 v3, v2, v3
	s_delay_alu instid0(VALU_DEP_1) | instskip(NEXT) | instid1(VALU_DEP_1)
	v_lshrrev_b32_e32 v6, s37, v3
	v_mul_lo_u32 v3, v6, s40
	s_delay_alu instid0(VALU_DEP_1) | instskip(NEXT) | instid1(VALU_DEP_1)
	v_sub_nc_u32_e32 v2, v2, v3
	v_mad_u64_u32 v[3:4], null, v2, s42, v[0:1]
	v_mad_u64_u32 v[4:5], null, v2, s43, v[1:2]
	v_mov_b32_e32 v2, v6
	s_delay_alu instid0(VALU_DEP_2)
	v_dual_mov_b32 v0, v3 :: v_dual_mov_b32 v1, v4
	s_cbranch_scc1 .LBB22_191
.LBB22_192:
	s_and_not1_b32 vcc_lo, exec_lo, s36
	s_cbranch_vccnz .LBB22_195
; %bb.193:
	s_waitcnt lgkmcnt(0)
	v_mul_hi_u32 v0, s17, v12
	s_and_not1_b32 vcc_lo, exec_lo, s30
	s_delay_alu instid0(VALU_DEP_1) | instskip(NEXT) | instid1(VALU_DEP_1)
	v_add_nc_u32_e32 v0, v12, v0
	v_lshrrev_b32_e32 v2, s18, v0
	s_delay_alu instid0(VALU_DEP_1) | instskip(NEXT) | instid1(VALU_DEP_1)
	v_mul_lo_u32 v0, v2, s16
	v_sub_nc_u32_e32 v1, v12, v0
	s_delay_alu instid0(VALU_DEP_1)
	v_mul_lo_u32 v0, v1, s12
	v_mul_lo_u32 v1, v1, s13
	s_cbranch_vccnz .LBB22_195
; %bb.194:
	v_mul_hi_u32 v3, s2, v2
	s_delay_alu instid0(VALU_DEP_1) | instskip(NEXT) | instid1(VALU_DEP_1)
	v_add_nc_u32_e32 v3, v2, v3
	v_lshrrev_b32_e32 v3, s3, v3
	s_delay_alu instid0(VALU_DEP_1) | instskip(NEXT) | instid1(VALU_DEP_1)
	v_mul_lo_u32 v3, v3, s19
	v_sub_nc_u32_e32 v5, v2, v3
	s_delay_alu instid0(VALU_DEP_1) | instskip(NEXT) | instid1(VALU_DEP_1)
	v_mad_u64_u32 v[2:3], null, v5, s14, v[0:1]
	v_mad_u64_u32 v[3:4], null, v5, s15, v[1:2]
	s_delay_alu instid0(VALU_DEP_1)
	v_dual_mov_b32 v0, v2 :: v_dual_mov_b32 v1, v3
.LBB22_195:
	s_waitcnt lgkmcnt(0)
	global_load_u16 v1, v1, s[6:7]
	s_mov_b32 s22, exec_lo
	s_waitcnt vmcnt(0)
	v_cvt_f32_f16_e32 v2, v1
	s_delay_alu instid0(VALU_DEP_1)
	v_cmpx_nlg_f32_e64 0x7f800000, |v2|
	s_cbranch_execz .LBB22_197
; %bb.196:
	v_dual_mov_b32 v3, 0 :: v_dual_mov_b32 v4, 1.0
	global_store_b32 v3, v4, s[8:9]
.LBB22_197:
	s_or_b32 exec_lo, exec_lo, s22
	v_dual_mov_b32 v3, 0 :: v_dual_add_nc_u32 v12, 0x80, v12
	global_load_b32 v3, v3, s[10:11]
	s_waitcnt vmcnt(0)
	v_fma_mixlo_f16 v2, v3, v2, 0
	v_cmp_eq_f32_e32 vcc_lo, 1.0, v3
	s_delay_alu instid0(VALU_DEP_2) | instskip(SKIP_2) | instid1(SALU_CYCLE_1)
	v_cndmask_b32_e32 v1, v2, v1, vcc_lo
	global_store_b16 v0, v1, s[4:5]
	s_or_b32 exec_lo, exec_lo, s35
	s_mov_b32 s35, exec_lo
	v_cmpx_gt_i32_e64 s31, v12
	s_cbranch_execnz .LBB22_182
.LBB22_198:
	s_or_b32 exec_lo, exec_lo, s35
	s_delay_alu instid0(SALU_CYCLE_1)
	s_mov_b32 s35, exec_lo
	v_cmpx_gt_i32_e64 s31, v12
	s_cbranch_execz .LBB22_215
.LBB22_199:
	s_and_not1_b32 vcc_lo, exec_lo, s28
	s_cbranch_vccnz .LBB22_204
; %bb.200:
	v_dual_mov_b32 v0, 0 :: v_dual_mov_b32 v1, 0
	s_and_not1_b32 vcc_lo, exec_lo, s34
	s_mov_b32 s36, 0
	s_cbranch_vccnz .LBB22_226
; %bb.201:
	v_mov_b32_e32 v0, 0
	s_add_i32 s38, s33, 1
	s_cmp_eq_u32 s27, 2
	s_mov_b32 s37, 0
	s_cbranch_scc1 .LBB22_222
; %bb.202:
	v_dual_mov_b32 v1, 0 :: v_dual_mov_b32 v0, 0
	v_mov_b32_e32 v2, v12
	s_and_b32 s37, s38, 28
	s_mov_b32 s39, 0
	s_mov_b64 s[22:23], s[20:21]
	s_mov_b64 s[24:25], s[0:1]
.LBB22_203:                             ; =>This Inner Loop Header: Depth=1
	s_clause 0x1
	s_load_b256 s[40:47], s[24:25], 0x4
	s_load_b128 s[56:59], s[24:25], 0x24
	s_load_b256 s[48:55], s[22:23], 0x0
	s_add_u32 s24, s24, 48
	s_addc_u32 s25, s25, 0
	s_add_i32 s39, s39, 4
	s_add_u32 s22, s22, 32
	s_addc_u32 s23, s23, 0
	s_cmp_eq_u32 s37, s39
	s_waitcnt lgkmcnt(0)
	v_mul_hi_u32 v3, s41, v2
	s_delay_alu instid0(VALU_DEP_1) | instskip(NEXT) | instid1(VALU_DEP_1)
	v_add_nc_u32_e32 v3, v2, v3
	v_lshrrev_b32_e32 v3, s42, v3
	s_delay_alu instid0(VALU_DEP_1) | instskip(SKIP_1) | instid1(VALU_DEP_2)
	v_mul_hi_u32 v4, s44, v3
	v_mul_lo_u32 v6, v3, s40
	v_add_nc_u32_e32 v4, v3, v4
	s_delay_alu instid0(VALU_DEP_2) | instskip(NEXT) | instid1(VALU_DEP_2)
	v_sub_nc_u32_e32 v2, v2, v6
	v_lshrrev_b32_e32 v4, s45, v4
	s_delay_alu instid0(VALU_DEP_2) | instskip(SKIP_1) | instid1(VALU_DEP_3)
	v_mul_lo_u32 v6, v2, s48
	v_mul_lo_u32 v8, v2, s49
	v_mul_hi_u32 v5, s47, v4
	s_delay_alu instid0(VALU_DEP_1) | instskip(NEXT) | instid1(VALU_DEP_1)
	v_add_nc_u32_e32 v5, v4, v5
	v_lshrrev_b32_e32 v5, s56, v5
	s_delay_alu instid0(VALU_DEP_1) | instskip(SKIP_1) | instid1(VALU_DEP_2)
	v_mul_hi_u32 v7, s58, v5
	v_mul_lo_u32 v9, v5, s46
	v_add_nc_u32_e32 v2, v5, v7
	v_mul_lo_u32 v7, v4, s43
	s_delay_alu instid0(VALU_DEP_3) | instskip(NEXT) | instid1(VALU_DEP_3)
	v_sub_nc_u32_e32 v4, v4, v9
	v_lshrrev_b32_e32 v2, s59, v2
	s_delay_alu instid0(VALU_DEP_2) | instskip(SKIP_2) | instid1(VALU_DEP_4)
	v_mul_lo_u32 v9, v4, s52
	v_mul_lo_u32 v4, v4, s53
	v_sub_nc_u32_e32 v3, v3, v7
	v_mul_lo_u32 v10, v2, s57
	s_delay_alu instid0(VALU_DEP_2) | instskip(SKIP_1) | instid1(VALU_DEP_3)
	v_mul_lo_u32 v7, v3, s50
	v_mul_lo_u32 v3, v3, s51
	v_sub_nc_u32_e32 v5, v5, v10
	s_delay_alu instid0(VALU_DEP_3) | instskip(NEXT) | instid1(VALU_DEP_2)
	v_add3_u32 v0, v6, v0, v7
	v_mul_lo_u32 v10, v5, s54
	v_mul_lo_u32 v5, v5, s55
	v_add3_u32 v1, v8, v1, v3
	s_delay_alu instid0(VALU_DEP_3) | instskip(NEXT) | instid1(VALU_DEP_2)
	v_add3_u32 v0, v9, v0, v10
	v_add3_u32 v1, v4, v1, v5
	s_cbranch_scc0 .LBB22_203
	s_branch .LBB22_223
.LBB22_204:
	s_mov_b32 s36, -1
                                        ; implicit-def: $vgpr0
                                        ; implicit-def: $vgpr1
	s_branch .LBB22_226
.LBB22_205:
	v_dual_mov_b32 v2, v12 :: v_dual_mov_b32 v1, 0
.LBB22_206:
	s_and_b32 s38, s38, 3
	s_delay_alu instid0(SALU_CYCLE_1)
	s_cmp_eq_u32 s38, 0
	s_cbranch_scc1 .LBB22_209
; %bb.207:
	s_lshl_b32 s22, s37, 3
	s_mul_i32 s24, s37, 12
	s_add_u32 s22, s22, s0
	s_addc_u32 s23, s1, 0
	s_add_u32 s22, s22, 0xc4
	s_addc_u32 s23, s23, 0
	;; [unrolled: 2-line block ×3, first 2 shown]
	.p2align	6
.LBB22_208:                             ; =>This Inner Loop Header: Depth=1
	s_clause 0x1
	s_load_b64 s[40:41], s[24:25], 0x4
	s_load_b32 s37, s[24:25], 0xc
	s_load_b64 s[42:43], s[22:23], 0x0
	s_add_u32 s24, s24, 12
	s_addc_u32 s25, s25, 0
	s_add_u32 s22, s22, 8
	s_addc_u32 s23, s23, 0
	s_add_i32 s38, s38, -1
	s_delay_alu instid0(SALU_CYCLE_1) | instskip(SKIP_2) | instid1(VALU_DEP_1)
	s_cmp_lg_u32 s38, 0
	s_waitcnt lgkmcnt(0)
	v_mul_hi_u32 v3, s41, v2
	v_add_nc_u32_e32 v3, v2, v3
	s_delay_alu instid0(VALU_DEP_1) | instskip(NEXT) | instid1(VALU_DEP_1)
	v_lshrrev_b32_e32 v6, s37, v3
	v_mul_lo_u32 v3, v6, s40
	s_delay_alu instid0(VALU_DEP_1) | instskip(NEXT) | instid1(VALU_DEP_1)
	v_sub_nc_u32_e32 v2, v2, v3
	v_mad_u64_u32 v[3:4], null, v2, s42, v[0:1]
	v_mad_u64_u32 v[4:5], null, v2, s43, v[1:2]
	v_mov_b32_e32 v2, v6
	s_delay_alu instid0(VALU_DEP_2)
	v_dual_mov_b32 v0, v3 :: v_dual_mov_b32 v1, v4
	s_cbranch_scc1 .LBB22_208
.LBB22_209:
	s_and_not1_b32 vcc_lo, exec_lo, s36
	s_cbranch_vccnz .LBB22_212
; %bb.210:
	s_waitcnt lgkmcnt(0)
	v_mul_hi_u32 v0, s17, v12
	s_and_not1_b32 vcc_lo, exec_lo, s30
	s_delay_alu instid0(VALU_DEP_1) | instskip(NEXT) | instid1(VALU_DEP_1)
	v_add_nc_u32_e32 v0, v12, v0
	v_lshrrev_b32_e32 v2, s18, v0
	s_delay_alu instid0(VALU_DEP_1) | instskip(NEXT) | instid1(VALU_DEP_1)
	v_mul_lo_u32 v0, v2, s16
	v_sub_nc_u32_e32 v1, v12, v0
	s_delay_alu instid0(VALU_DEP_1)
	v_mul_lo_u32 v0, v1, s12
	v_mul_lo_u32 v1, v1, s13
	s_cbranch_vccnz .LBB22_212
; %bb.211:
	v_mul_hi_u32 v3, s2, v2
	s_delay_alu instid0(VALU_DEP_1) | instskip(NEXT) | instid1(VALU_DEP_1)
	v_add_nc_u32_e32 v3, v2, v3
	v_lshrrev_b32_e32 v3, s3, v3
	s_delay_alu instid0(VALU_DEP_1) | instskip(NEXT) | instid1(VALU_DEP_1)
	v_mul_lo_u32 v3, v3, s19
	v_sub_nc_u32_e32 v5, v2, v3
	s_delay_alu instid0(VALU_DEP_1) | instskip(NEXT) | instid1(VALU_DEP_1)
	v_mad_u64_u32 v[2:3], null, v5, s14, v[0:1]
	v_mad_u64_u32 v[3:4], null, v5, s15, v[1:2]
	s_delay_alu instid0(VALU_DEP_1)
	v_dual_mov_b32 v0, v2 :: v_dual_mov_b32 v1, v3
.LBB22_212:
	s_waitcnt lgkmcnt(0)
	global_load_u16 v1, v1, s[6:7]
	s_mov_b32 s22, exec_lo
	s_waitcnt vmcnt(0)
	v_cvt_f32_f16_e32 v2, v1
	s_delay_alu instid0(VALU_DEP_1)
	v_cmpx_nlg_f32_e64 0x7f800000, |v2|
	s_cbranch_execz .LBB22_214
; %bb.213:
	v_dual_mov_b32 v3, 0 :: v_dual_mov_b32 v4, 1.0
	global_store_b32 v3, v4, s[8:9]
.LBB22_214:
	s_or_b32 exec_lo, exec_lo, s22
	v_dual_mov_b32 v3, 0 :: v_dual_add_nc_u32 v12, 0x80, v12
	global_load_b32 v3, v3, s[10:11]
	s_waitcnt vmcnt(0)
	v_fma_mixlo_f16 v2, v3, v2, 0
	v_cmp_eq_f32_e32 vcc_lo, 1.0, v3
	s_delay_alu instid0(VALU_DEP_2) | instskip(SKIP_2) | instid1(SALU_CYCLE_1)
	v_cndmask_b32_e32 v1, v2, v1, vcc_lo
	global_store_b16 v0, v1, s[4:5]
	s_or_b32 exec_lo, exec_lo, s35
	s_mov_b32 s35, exec_lo
	v_cmpx_gt_i32_e64 s31, v12
	s_cbranch_execnz .LBB22_199
.LBB22_215:
	s_or_b32 exec_lo, exec_lo, s35
	s_delay_alu instid0(SALU_CYCLE_1)
	s_mov_b32 s35, exec_lo
	v_cmpx_gt_i32_e64 s31, v12
	s_cbranch_execz .LBB22_232
.LBB22_216:
	s_and_not1_b32 vcc_lo, exec_lo, s28
	s_cbranch_vccnz .LBB22_221
; %bb.217:
	v_dual_mov_b32 v0, 0 :: v_dual_mov_b32 v1, 0
	s_and_not1_b32 vcc_lo, exec_lo, s34
	s_mov_b32 s36, 0
	s_cbranch_vccnz .LBB22_239
; %bb.218:
	v_mov_b32_e32 v0, 0
	s_add_i32 s38, s33, 1
	s_cmp_eq_u32 s27, 2
	s_mov_b32 s37, 0
	s_cbranch_scc1 .LBB22_235
; %bb.219:
	v_dual_mov_b32 v1, 0 :: v_dual_mov_b32 v0, 0
	v_mov_b32_e32 v2, v12
	s_and_b32 s37, s38, 28
	s_mov_b32 s39, 0
	s_mov_b64 s[22:23], s[20:21]
	s_mov_b64 s[24:25], s[0:1]
.LBB22_220:                             ; =>This Inner Loop Header: Depth=1
	s_clause 0x1
	s_load_b256 s[40:47], s[24:25], 0x4
	s_load_b128 s[56:59], s[24:25], 0x24
	s_load_b256 s[48:55], s[22:23], 0x0
	s_add_u32 s24, s24, 48
	s_addc_u32 s25, s25, 0
	s_add_i32 s39, s39, 4
	s_add_u32 s22, s22, 32
	s_addc_u32 s23, s23, 0
	s_cmp_eq_u32 s37, s39
	s_waitcnt lgkmcnt(0)
	v_mul_hi_u32 v3, s41, v2
	s_delay_alu instid0(VALU_DEP_1) | instskip(NEXT) | instid1(VALU_DEP_1)
	v_add_nc_u32_e32 v3, v2, v3
	v_lshrrev_b32_e32 v3, s42, v3
	s_delay_alu instid0(VALU_DEP_1) | instskip(SKIP_1) | instid1(VALU_DEP_2)
	v_mul_hi_u32 v4, s44, v3
	v_mul_lo_u32 v6, v3, s40
	v_add_nc_u32_e32 v4, v3, v4
	s_delay_alu instid0(VALU_DEP_2) | instskip(NEXT) | instid1(VALU_DEP_2)
	v_sub_nc_u32_e32 v2, v2, v6
	v_lshrrev_b32_e32 v4, s45, v4
	s_delay_alu instid0(VALU_DEP_2) | instskip(SKIP_1) | instid1(VALU_DEP_3)
	v_mul_lo_u32 v6, v2, s48
	v_mul_lo_u32 v8, v2, s49
	v_mul_hi_u32 v5, s47, v4
	s_delay_alu instid0(VALU_DEP_1) | instskip(NEXT) | instid1(VALU_DEP_1)
	v_add_nc_u32_e32 v5, v4, v5
	v_lshrrev_b32_e32 v5, s56, v5
	s_delay_alu instid0(VALU_DEP_1) | instskip(SKIP_1) | instid1(VALU_DEP_2)
	v_mul_hi_u32 v7, s58, v5
	v_mul_lo_u32 v9, v5, s46
	v_add_nc_u32_e32 v2, v5, v7
	v_mul_lo_u32 v7, v4, s43
	s_delay_alu instid0(VALU_DEP_3) | instskip(NEXT) | instid1(VALU_DEP_3)
	v_sub_nc_u32_e32 v4, v4, v9
	v_lshrrev_b32_e32 v2, s59, v2
	s_delay_alu instid0(VALU_DEP_2) | instskip(SKIP_2) | instid1(VALU_DEP_4)
	v_mul_lo_u32 v9, v4, s52
	v_mul_lo_u32 v4, v4, s53
	v_sub_nc_u32_e32 v3, v3, v7
	v_mul_lo_u32 v10, v2, s57
	s_delay_alu instid0(VALU_DEP_2) | instskip(SKIP_1) | instid1(VALU_DEP_3)
	v_mul_lo_u32 v7, v3, s50
	v_mul_lo_u32 v3, v3, s51
	v_sub_nc_u32_e32 v5, v5, v10
	s_delay_alu instid0(VALU_DEP_3) | instskip(NEXT) | instid1(VALU_DEP_2)
	v_add3_u32 v0, v6, v0, v7
	v_mul_lo_u32 v10, v5, s54
	v_mul_lo_u32 v5, v5, s55
	v_add3_u32 v1, v8, v1, v3
	s_delay_alu instid0(VALU_DEP_3) | instskip(NEXT) | instid1(VALU_DEP_2)
	v_add3_u32 v0, v9, v0, v10
	v_add3_u32 v1, v4, v1, v5
	s_cbranch_scc0 .LBB22_220
	s_branch .LBB22_236
.LBB22_221:
	s_mov_b32 s36, -1
                                        ; implicit-def: $vgpr0
                                        ; implicit-def: $vgpr1
	s_branch .LBB22_239
.LBB22_222:
	v_dual_mov_b32 v2, v12 :: v_dual_mov_b32 v1, 0
.LBB22_223:
	s_and_b32 s38, s38, 3
	s_delay_alu instid0(SALU_CYCLE_1)
	s_cmp_eq_u32 s38, 0
	s_cbranch_scc1 .LBB22_226
; %bb.224:
	s_lshl_b32 s22, s37, 3
	s_mul_i32 s24, s37, 12
	s_add_u32 s22, s22, s0
	s_addc_u32 s23, s1, 0
	s_add_u32 s22, s22, 0xc4
	s_addc_u32 s23, s23, 0
	;; [unrolled: 2-line block ×3, first 2 shown]
	.p2align	6
.LBB22_225:                             ; =>This Inner Loop Header: Depth=1
	s_clause 0x1
	s_load_b64 s[40:41], s[24:25], 0x4
	s_load_b32 s37, s[24:25], 0xc
	s_load_b64 s[42:43], s[22:23], 0x0
	s_add_u32 s24, s24, 12
	s_addc_u32 s25, s25, 0
	s_add_u32 s22, s22, 8
	s_addc_u32 s23, s23, 0
	s_add_i32 s38, s38, -1
	s_delay_alu instid0(SALU_CYCLE_1) | instskip(SKIP_2) | instid1(VALU_DEP_1)
	s_cmp_lg_u32 s38, 0
	s_waitcnt lgkmcnt(0)
	v_mul_hi_u32 v3, s41, v2
	v_add_nc_u32_e32 v3, v2, v3
	s_delay_alu instid0(VALU_DEP_1) | instskip(NEXT) | instid1(VALU_DEP_1)
	v_lshrrev_b32_e32 v6, s37, v3
	v_mul_lo_u32 v3, v6, s40
	s_delay_alu instid0(VALU_DEP_1) | instskip(NEXT) | instid1(VALU_DEP_1)
	v_sub_nc_u32_e32 v2, v2, v3
	v_mad_u64_u32 v[3:4], null, v2, s42, v[0:1]
	v_mad_u64_u32 v[4:5], null, v2, s43, v[1:2]
	v_mov_b32_e32 v2, v6
	s_delay_alu instid0(VALU_DEP_2)
	v_dual_mov_b32 v0, v3 :: v_dual_mov_b32 v1, v4
	s_cbranch_scc1 .LBB22_225
.LBB22_226:
	s_and_not1_b32 vcc_lo, exec_lo, s36
	s_cbranch_vccnz .LBB22_229
; %bb.227:
	s_waitcnt lgkmcnt(0)
	v_mul_hi_u32 v0, s17, v12
	s_and_not1_b32 vcc_lo, exec_lo, s30
	s_delay_alu instid0(VALU_DEP_1) | instskip(NEXT) | instid1(VALU_DEP_1)
	v_add_nc_u32_e32 v0, v12, v0
	v_lshrrev_b32_e32 v2, s18, v0
	s_delay_alu instid0(VALU_DEP_1) | instskip(NEXT) | instid1(VALU_DEP_1)
	v_mul_lo_u32 v0, v2, s16
	v_sub_nc_u32_e32 v1, v12, v0
	s_delay_alu instid0(VALU_DEP_1)
	v_mul_lo_u32 v0, v1, s12
	v_mul_lo_u32 v1, v1, s13
	s_cbranch_vccnz .LBB22_229
; %bb.228:
	v_mul_hi_u32 v3, s2, v2
	s_delay_alu instid0(VALU_DEP_1) | instskip(NEXT) | instid1(VALU_DEP_1)
	v_add_nc_u32_e32 v3, v2, v3
	v_lshrrev_b32_e32 v3, s3, v3
	s_delay_alu instid0(VALU_DEP_1) | instskip(NEXT) | instid1(VALU_DEP_1)
	v_mul_lo_u32 v3, v3, s19
	v_sub_nc_u32_e32 v5, v2, v3
	s_delay_alu instid0(VALU_DEP_1) | instskip(NEXT) | instid1(VALU_DEP_1)
	v_mad_u64_u32 v[2:3], null, v5, s14, v[0:1]
	v_mad_u64_u32 v[3:4], null, v5, s15, v[1:2]
	s_delay_alu instid0(VALU_DEP_1)
	v_dual_mov_b32 v0, v2 :: v_dual_mov_b32 v1, v3
.LBB22_229:
	s_waitcnt lgkmcnt(0)
	global_load_u16 v1, v1, s[6:7]
	s_mov_b32 s22, exec_lo
	s_waitcnt vmcnt(0)
	v_cvt_f32_f16_e32 v2, v1
	s_delay_alu instid0(VALU_DEP_1)
	v_cmpx_nlg_f32_e64 0x7f800000, |v2|
	s_cbranch_execz .LBB22_231
; %bb.230:
	v_dual_mov_b32 v3, 0 :: v_dual_mov_b32 v4, 1.0
	global_store_b32 v3, v4, s[8:9]
.LBB22_231:
	s_or_b32 exec_lo, exec_lo, s22
	v_dual_mov_b32 v3, 0 :: v_dual_add_nc_u32 v12, 0x80, v12
	global_load_b32 v3, v3, s[10:11]
	s_waitcnt vmcnt(0)
	v_fma_mixlo_f16 v2, v3, v2, 0
	v_cmp_eq_f32_e32 vcc_lo, 1.0, v3
	s_delay_alu instid0(VALU_DEP_2) | instskip(SKIP_2) | instid1(SALU_CYCLE_1)
	v_cndmask_b32_e32 v1, v2, v1, vcc_lo
	global_store_b16 v0, v1, s[4:5]
	s_or_b32 exec_lo, exec_lo, s35
	s_mov_b32 s35, exec_lo
	v_cmpx_gt_i32_e64 s31, v12
	s_cbranch_execnz .LBB22_216
.LBB22_232:
	s_or_b32 exec_lo, exec_lo, s35
	s_delay_alu instid0(SALU_CYCLE_1)
	s_mov_b32 s24, exec_lo
	v_cmpx_gt_i32_e64 s31, v12
	s_cbranch_execnz .LBB22_245
.LBB22_233:
	s_or_b32 exec_lo, exec_lo, s24
                                        ; implicit-def: $vgpr16
                                        ; implicit-def: $vgpr12
	s_waitcnt lgkmcnt(0)
	s_and_not1_saveexec_b32 s2, s29
	s_cbranch_execnz .LBB22_8
.LBB22_234:
	s_nop 0
	s_sendmsg sendmsg(MSG_DEALLOC_VGPRS)
	s_endpgm
.LBB22_235:
	v_dual_mov_b32 v2, v12 :: v_dual_mov_b32 v1, 0
.LBB22_236:
	s_and_b32 s38, s38, 3
	s_delay_alu instid0(SALU_CYCLE_1)
	s_cmp_eq_u32 s38, 0
	s_cbranch_scc1 .LBB22_239
; %bb.237:
	s_lshl_b32 s22, s37, 3
	s_mul_i32 s24, s37, 12
	s_add_u32 s22, s22, s0
	s_addc_u32 s23, s1, 0
	s_add_u32 s22, s22, 0xc4
	s_addc_u32 s23, s23, 0
	;; [unrolled: 2-line block ×3, first 2 shown]
	.p2align	6
.LBB22_238:                             ; =>This Inner Loop Header: Depth=1
	s_clause 0x1
	s_load_b64 s[40:41], s[24:25], 0x4
	s_load_b32 s37, s[24:25], 0xc
	s_load_b64 s[42:43], s[22:23], 0x0
	s_add_u32 s24, s24, 12
	s_addc_u32 s25, s25, 0
	s_add_u32 s22, s22, 8
	s_addc_u32 s23, s23, 0
	s_add_i32 s38, s38, -1
	s_delay_alu instid0(SALU_CYCLE_1) | instskip(SKIP_2) | instid1(VALU_DEP_1)
	s_cmp_lg_u32 s38, 0
	s_waitcnt lgkmcnt(0)
	v_mul_hi_u32 v3, s41, v2
	v_add_nc_u32_e32 v3, v2, v3
	s_delay_alu instid0(VALU_DEP_1) | instskip(NEXT) | instid1(VALU_DEP_1)
	v_lshrrev_b32_e32 v6, s37, v3
	v_mul_lo_u32 v3, v6, s40
	s_delay_alu instid0(VALU_DEP_1) | instskip(NEXT) | instid1(VALU_DEP_1)
	v_sub_nc_u32_e32 v2, v2, v3
	v_mad_u64_u32 v[3:4], null, v2, s42, v[0:1]
	v_mad_u64_u32 v[4:5], null, v2, s43, v[1:2]
	v_mov_b32_e32 v2, v6
	s_delay_alu instid0(VALU_DEP_2)
	v_dual_mov_b32 v0, v3 :: v_dual_mov_b32 v1, v4
	s_cbranch_scc1 .LBB22_238
.LBB22_239:
	s_and_not1_b32 vcc_lo, exec_lo, s36
	s_cbranch_vccnz .LBB22_242
; %bb.240:
	s_waitcnt lgkmcnt(0)
	v_mul_hi_u32 v0, s17, v12
	s_and_not1_b32 vcc_lo, exec_lo, s30
	s_delay_alu instid0(VALU_DEP_1) | instskip(NEXT) | instid1(VALU_DEP_1)
	v_add_nc_u32_e32 v0, v12, v0
	v_lshrrev_b32_e32 v2, s18, v0
	s_delay_alu instid0(VALU_DEP_1) | instskip(NEXT) | instid1(VALU_DEP_1)
	v_mul_lo_u32 v0, v2, s16
	v_sub_nc_u32_e32 v1, v12, v0
	s_delay_alu instid0(VALU_DEP_1)
	v_mul_lo_u32 v0, v1, s12
	v_mul_lo_u32 v1, v1, s13
	s_cbranch_vccnz .LBB22_242
; %bb.241:
	v_mul_hi_u32 v3, s2, v2
	s_delay_alu instid0(VALU_DEP_1) | instskip(NEXT) | instid1(VALU_DEP_1)
	v_add_nc_u32_e32 v3, v2, v3
	v_lshrrev_b32_e32 v3, s3, v3
	s_delay_alu instid0(VALU_DEP_1) | instskip(NEXT) | instid1(VALU_DEP_1)
	v_mul_lo_u32 v3, v3, s19
	v_sub_nc_u32_e32 v5, v2, v3
	s_delay_alu instid0(VALU_DEP_1) | instskip(NEXT) | instid1(VALU_DEP_1)
	v_mad_u64_u32 v[2:3], null, v5, s14, v[0:1]
	v_mad_u64_u32 v[3:4], null, v5, s15, v[1:2]
	s_delay_alu instid0(VALU_DEP_1)
	v_dual_mov_b32 v0, v2 :: v_dual_mov_b32 v1, v3
.LBB22_242:
	s_waitcnt lgkmcnt(0)
	global_load_u16 v1, v1, s[6:7]
	s_mov_b32 s22, exec_lo
	s_waitcnt vmcnt(0)
	v_cvt_f32_f16_e32 v2, v1
	s_delay_alu instid0(VALU_DEP_1)
	v_cmpx_nlg_f32_e64 0x7f800000, |v2|
	s_cbranch_execz .LBB22_244
; %bb.243:
	v_dual_mov_b32 v3, 0 :: v_dual_mov_b32 v4, 1.0
	global_store_b32 v3, v4, s[8:9]
.LBB22_244:
	s_or_b32 exec_lo, exec_lo, s22
	v_dual_mov_b32 v3, 0 :: v_dual_add_nc_u32 v12, 0x80, v12
	global_load_b32 v3, v3, s[10:11]
	s_waitcnt vmcnt(0)
	v_fma_mixlo_f16 v2, v3, v2, 0
	v_cmp_eq_f32_e32 vcc_lo, 1.0, v3
	s_delay_alu instid0(VALU_DEP_2) | instskip(SKIP_2) | instid1(SALU_CYCLE_1)
	v_cndmask_b32_e32 v1, v2, v1, vcc_lo
	global_store_b16 v0, v1, s[4:5]
	s_or_b32 exec_lo, exec_lo, s35
	s_mov_b32 s24, exec_lo
	v_cmpx_gt_i32_e64 s31, v12
	s_cbranch_execz .LBB22_233
.LBB22_245:
	s_and_not1_b32 vcc_lo, exec_lo, s28
	s_cbranch_vccnz .LBB22_250
; %bb.246:
	v_dual_mov_b32 v0, 0 :: v_dual_mov_b32 v1, 0
	s_and_not1_b32 vcc_lo, exec_lo, s34
	s_mov_b32 s25, 0
	s_cbranch_vccnz .LBB22_255
; %bb.247:
	v_mov_b32_e32 v0, 0
	s_add_i32 s33, s33, 1
	s_cmp_eq_u32 s27, 2
	s_mov_b32 s31, 0
	s_cbranch_scc1 .LBB22_251
; %bb.248:
	v_dual_mov_b32 v1, 0 :: v_dual_mov_b32 v0, 0
	v_mov_b32_e32 v2, v12
	s_and_b32 s31, s33, 28
	s_mov_b32 s34, 0
	s_mov_b64 s[22:23], s[0:1]
.LBB22_249:                             ; =>This Inner Loop Header: Depth=1
	s_clause 0x1
	s_load_b256 s[36:43], s[22:23], 0x4
	s_load_b128 s[52:55], s[22:23], 0x24
	s_load_b256 s[44:51], s[20:21], 0x0
	s_add_u32 s22, s22, 48
	s_addc_u32 s23, s23, 0
	s_add_i32 s34, s34, 4
	s_add_u32 s20, s20, 32
	s_addc_u32 s21, s21, 0
	s_cmp_eq_u32 s31, s34
	s_waitcnt lgkmcnt(0)
	v_mul_hi_u32 v3, s37, v2
	s_delay_alu instid0(VALU_DEP_1) | instskip(NEXT) | instid1(VALU_DEP_1)
	v_add_nc_u32_e32 v3, v2, v3
	v_lshrrev_b32_e32 v3, s38, v3
	s_delay_alu instid0(VALU_DEP_1) | instskip(SKIP_1) | instid1(VALU_DEP_2)
	v_mul_hi_u32 v4, s40, v3
	v_mul_lo_u32 v6, v3, s36
	v_add_nc_u32_e32 v4, v3, v4
	s_delay_alu instid0(VALU_DEP_2) | instskip(NEXT) | instid1(VALU_DEP_2)
	v_sub_nc_u32_e32 v2, v2, v6
	v_lshrrev_b32_e32 v4, s41, v4
	s_delay_alu instid0(VALU_DEP_2) | instskip(SKIP_1) | instid1(VALU_DEP_3)
	v_mul_lo_u32 v6, v2, s44
	v_mul_lo_u32 v8, v2, s45
	v_mul_hi_u32 v5, s43, v4
	s_delay_alu instid0(VALU_DEP_1) | instskip(NEXT) | instid1(VALU_DEP_1)
	v_add_nc_u32_e32 v5, v4, v5
	v_lshrrev_b32_e32 v5, s52, v5
	s_delay_alu instid0(VALU_DEP_1) | instskip(SKIP_1) | instid1(VALU_DEP_2)
	v_mul_hi_u32 v7, s54, v5
	v_mul_lo_u32 v9, v5, s42
	v_add_nc_u32_e32 v2, v5, v7
	v_mul_lo_u32 v7, v4, s39
	s_delay_alu instid0(VALU_DEP_3) | instskip(NEXT) | instid1(VALU_DEP_3)
	v_sub_nc_u32_e32 v4, v4, v9
	v_lshrrev_b32_e32 v2, s55, v2
	s_delay_alu instid0(VALU_DEP_2) | instskip(SKIP_2) | instid1(VALU_DEP_4)
	v_mul_lo_u32 v9, v4, s48
	v_mul_lo_u32 v4, v4, s49
	v_sub_nc_u32_e32 v3, v3, v7
	v_mul_lo_u32 v10, v2, s53
	s_delay_alu instid0(VALU_DEP_2) | instskip(SKIP_1) | instid1(VALU_DEP_3)
	v_mul_lo_u32 v7, v3, s46
	v_mul_lo_u32 v3, v3, s47
	v_sub_nc_u32_e32 v5, v5, v10
	s_delay_alu instid0(VALU_DEP_3) | instskip(NEXT) | instid1(VALU_DEP_2)
	v_add3_u32 v0, v6, v0, v7
	v_mul_lo_u32 v10, v5, s50
	v_mul_lo_u32 v5, v5, s51
	v_add3_u32 v1, v8, v1, v3
	s_delay_alu instid0(VALU_DEP_3) | instskip(NEXT) | instid1(VALU_DEP_2)
	v_add3_u32 v0, v9, v0, v10
	v_add3_u32 v1, v4, v1, v5
	s_cbranch_scc0 .LBB22_249
	s_branch .LBB22_252
.LBB22_250:
	s_mov_b32 s25, -1
                                        ; implicit-def: $vgpr0
                                        ; implicit-def: $vgpr1
	s_branch .LBB22_255
.LBB22_251:
	v_dual_mov_b32 v2, v12 :: v_dual_mov_b32 v1, 0
.LBB22_252:
	s_and_b32 s33, s33, 3
	s_delay_alu instid0(SALU_CYCLE_1)
	s_cmp_eq_u32 s33, 0
	s_cbranch_scc1 .LBB22_255
; %bb.253:
	s_lshl_b32 s20, s31, 3
	s_mul_i32 s22, s31, 12
	s_add_u32 s20, s20, s0
	s_addc_u32 s21, s1, 0
	s_add_u32 s20, s20, 0xc4
	s_addc_u32 s21, s21, 0
	;; [unrolled: 2-line block ×3, first 2 shown]
	.p2align	6
.LBB22_254:                             ; =>This Inner Loop Header: Depth=1
	s_clause 0x1
	s_load_b64 s[34:35], s[22:23], 0x4
	s_load_b32 s31, s[22:23], 0xc
	s_load_b64 s[36:37], s[20:21], 0x0
	s_add_u32 s22, s22, 12
	s_addc_u32 s23, s23, 0
	s_add_u32 s20, s20, 8
	s_addc_u32 s21, s21, 0
	s_add_i32 s33, s33, -1
	s_delay_alu instid0(SALU_CYCLE_1) | instskip(SKIP_2) | instid1(VALU_DEP_1)
	s_cmp_lg_u32 s33, 0
	s_waitcnt lgkmcnt(0)
	v_mul_hi_u32 v3, s35, v2
	v_add_nc_u32_e32 v3, v2, v3
	s_delay_alu instid0(VALU_DEP_1) | instskip(NEXT) | instid1(VALU_DEP_1)
	v_lshrrev_b32_e32 v6, s31, v3
	v_mul_lo_u32 v3, v6, s34
	s_delay_alu instid0(VALU_DEP_1) | instskip(NEXT) | instid1(VALU_DEP_1)
	v_sub_nc_u32_e32 v2, v2, v3
	v_mad_u64_u32 v[3:4], null, v2, s36, v[0:1]
	v_mad_u64_u32 v[4:5], null, v2, s37, v[1:2]
	v_mov_b32_e32 v2, v6
	s_delay_alu instid0(VALU_DEP_2)
	v_dual_mov_b32 v0, v3 :: v_dual_mov_b32 v1, v4
	s_cbranch_scc1 .LBB22_254
.LBB22_255:
	s_and_not1_b32 vcc_lo, exec_lo, s25
	s_cbranch_vccnz .LBB22_258
; %bb.256:
	s_waitcnt lgkmcnt(0)
	v_mul_hi_u32 v0, s17, v12
	s_and_not1_b32 vcc_lo, exec_lo, s30
	s_delay_alu instid0(VALU_DEP_1) | instskip(NEXT) | instid1(VALU_DEP_1)
	v_add_nc_u32_e32 v0, v12, v0
	v_lshrrev_b32_e32 v2, s18, v0
	s_delay_alu instid0(VALU_DEP_1) | instskip(NEXT) | instid1(VALU_DEP_1)
	v_mul_lo_u32 v0, v2, s16
	v_sub_nc_u32_e32 v1, v12, v0
	s_delay_alu instid0(VALU_DEP_1)
	v_mul_lo_u32 v0, v1, s12
	v_mul_lo_u32 v1, v1, s13
	s_cbranch_vccnz .LBB22_258
; %bb.257:
	v_mul_hi_u32 v3, s2, v2
	s_delay_alu instid0(VALU_DEP_1) | instskip(NEXT) | instid1(VALU_DEP_1)
	v_add_nc_u32_e32 v3, v2, v3
	v_lshrrev_b32_e32 v3, s3, v3
	s_delay_alu instid0(VALU_DEP_1) | instskip(NEXT) | instid1(VALU_DEP_1)
	v_mul_lo_u32 v3, v3, s19
	v_sub_nc_u32_e32 v5, v2, v3
	s_delay_alu instid0(VALU_DEP_1) | instskip(NEXT) | instid1(VALU_DEP_1)
	v_mad_u64_u32 v[2:3], null, v5, s14, v[0:1]
	v_mad_u64_u32 v[3:4], null, v5, s15, v[1:2]
	s_delay_alu instid0(VALU_DEP_1)
	v_dual_mov_b32 v0, v2 :: v_dual_mov_b32 v1, v3
.LBB22_258:
	s_waitcnt lgkmcnt(0)
	global_load_u16 v1, v1, s[6:7]
	s_mov_b32 s2, exec_lo
	s_waitcnt vmcnt(0)
	v_cvt_f32_f16_e32 v2, v1
	s_delay_alu instid0(VALU_DEP_1)
	v_cmpx_nlg_f32_e64 0x7f800000, |v2|
	s_cbranch_execz .LBB22_260
; %bb.259:
	v_dual_mov_b32 v3, 0 :: v_dual_mov_b32 v4, 1.0
	global_store_b32 v3, v4, s[8:9]
.LBB22_260:
	s_or_b32 exec_lo, exec_lo, s2
	v_mov_b32_e32 v3, 0
	global_load_b32 v3, v3, s[10:11]
	s_waitcnt vmcnt(0)
	v_fma_mixlo_f16 v2, v3, v2, 0
	v_cmp_eq_f32_e32 vcc_lo, 1.0, v3
	s_delay_alu instid0(VALU_DEP_2)
	v_cndmask_b32_e32 v1, v2, v1, vcc_lo
	global_store_b16 v0, v1, s[4:5]
	s_or_b32 exec_lo, exec_lo, s24
                                        ; implicit-def: $vgpr16
                                        ; implicit-def: $vgpr12
	s_and_not1_saveexec_b32 s2, s29
	s_cbranch_execz .LBB22_234
	s_branch .LBB22_8
	.section	.rodata,"a",@progbits
	.p2align	6, 0x0
	.amdhsa_kernel _ZN2at6native32elementwise_kernel_manual_unrollILi128ELi8EZNS0_22gpu_kernel_impl_nocastIZZZNS0_12_GLOBAL__N_139_amp_non_finite_check_and_unscale_cuda_ERNS_6TensorES5_RKS4_ENKUlvE_clEvENKUlvE1_clEvEUlN3c104HalfEE_EEvRNS_18TensorIteratorBaseERKT_EUlibE_EEviT1_
		.amdhsa_group_segment_fixed_size 0
		.amdhsa_private_segment_fixed_size 0
		.amdhsa_kernarg_size 368
		.amdhsa_user_sgpr_count 15
		.amdhsa_user_sgpr_dispatch_ptr 0
		.amdhsa_user_sgpr_queue_ptr 0
		.amdhsa_user_sgpr_kernarg_segment_ptr 1
		.amdhsa_user_sgpr_dispatch_id 0
		.amdhsa_user_sgpr_private_segment_size 0
		.amdhsa_wavefront_size32 1
		.amdhsa_uses_dynamic_stack 0
		.amdhsa_enable_private_segment 0
		.amdhsa_system_sgpr_workgroup_id_x 1
		.amdhsa_system_sgpr_workgroup_id_y 0
		.amdhsa_system_sgpr_workgroup_id_z 0
		.amdhsa_system_sgpr_workgroup_info 0
		.amdhsa_system_vgpr_workitem_id 0
		.amdhsa_next_free_vgpr 33
		.amdhsa_next_free_sgpr 60
		.amdhsa_reserve_vcc 1
		.amdhsa_float_round_mode_32 0
		.amdhsa_float_round_mode_16_64 0
		.amdhsa_float_denorm_mode_32 3
		.amdhsa_float_denorm_mode_16_64 3
		.amdhsa_dx10_clamp 1
		.amdhsa_ieee_mode 1
		.amdhsa_fp16_overflow 0
		.amdhsa_workgroup_processor_mode 1
		.amdhsa_memory_ordered 1
		.amdhsa_forward_progress 0
		.amdhsa_shared_vgpr_count 0
		.amdhsa_exception_fp_ieee_invalid_op 0
		.amdhsa_exception_fp_denorm_src 0
		.amdhsa_exception_fp_ieee_div_zero 0
		.amdhsa_exception_fp_ieee_overflow 0
		.amdhsa_exception_fp_ieee_underflow 0
		.amdhsa_exception_fp_ieee_inexact 0
		.amdhsa_exception_int_div_zero 0
	.end_amdhsa_kernel
	.section	.text._ZN2at6native32elementwise_kernel_manual_unrollILi128ELi8EZNS0_22gpu_kernel_impl_nocastIZZZNS0_12_GLOBAL__N_139_amp_non_finite_check_and_unscale_cuda_ERNS_6TensorES5_RKS4_ENKUlvE_clEvENKUlvE1_clEvEUlN3c104HalfEE_EEvRNS_18TensorIteratorBaseERKT_EUlibE_EEviT1_,"axG",@progbits,_ZN2at6native32elementwise_kernel_manual_unrollILi128ELi8EZNS0_22gpu_kernel_impl_nocastIZZZNS0_12_GLOBAL__N_139_amp_non_finite_check_and_unscale_cuda_ERNS_6TensorES5_RKS4_ENKUlvE_clEvENKUlvE1_clEvEUlN3c104HalfEE_EEvRNS_18TensorIteratorBaseERKT_EUlibE_EEviT1_,comdat
.Lfunc_end22:
	.size	_ZN2at6native32elementwise_kernel_manual_unrollILi128ELi8EZNS0_22gpu_kernel_impl_nocastIZZZNS0_12_GLOBAL__N_139_amp_non_finite_check_and_unscale_cuda_ERNS_6TensorES5_RKS4_ENKUlvE_clEvENKUlvE1_clEvEUlN3c104HalfEE_EEvRNS_18TensorIteratorBaseERKT_EUlibE_EEviT1_, .Lfunc_end22-_ZN2at6native32elementwise_kernel_manual_unrollILi128ELi8EZNS0_22gpu_kernel_impl_nocastIZZZNS0_12_GLOBAL__N_139_amp_non_finite_check_and_unscale_cuda_ERNS_6TensorES5_RKS4_ENKUlvE_clEvENKUlvE1_clEvEUlN3c104HalfEE_EEvRNS_18TensorIteratorBaseERKT_EUlibE_EEviT1_
                                        ; -- End function
	.section	.AMDGPU.csdata,"",@progbits
; Kernel info:
; codeLenInByte = 14772
; NumSgprs: 62
; NumVgprs: 33
; ScratchSize: 0
; MemoryBound: 0
; FloatMode: 240
; IeeeMode: 1
; LDSByteSize: 0 bytes/workgroup (compile time only)
; SGPRBlocks: 7
; VGPRBlocks: 4
; NumSGPRsForWavesPerEU: 62
; NumVGPRsForWavesPerEU: 33
; Occupancy: 16
; WaveLimiterHint : 1
; COMPUTE_PGM_RSRC2:SCRATCH_EN: 0
; COMPUTE_PGM_RSRC2:USER_SGPR: 15
; COMPUTE_PGM_RSRC2:TRAP_HANDLER: 0
; COMPUTE_PGM_RSRC2:TGID_X_EN: 1
; COMPUTE_PGM_RSRC2:TGID_Y_EN: 0
; COMPUTE_PGM_RSRC2:TGID_Z_EN: 0
; COMPUTE_PGM_RSRC2:TIDIG_COMP_CNT: 0
	.section	.text._ZN2at6native32elementwise_kernel_manual_unrollILi128ELi4EZNS0_15gpu_kernel_implIZZZNS0_12_GLOBAL__N_139_amp_non_finite_check_and_unscale_cuda_ERNS_6TensorES5_RKS4_ENKUlvE_clEvENKUlvE1_clEvEUlN3c104HalfEE_EEvRNS_18TensorIteratorBaseERKT_EUlibE_EEviT1_,"axG",@progbits,_ZN2at6native32elementwise_kernel_manual_unrollILi128ELi4EZNS0_15gpu_kernel_implIZZZNS0_12_GLOBAL__N_139_amp_non_finite_check_and_unscale_cuda_ERNS_6TensorES5_RKS4_ENKUlvE_clEvENKUlvE1_clEvEUlN3c104HalfEE_EEvRNS_18TensorIteratorBaseERKT_EUlibE_EEviT1_,comdat
	.globl	_ZN2at6native32elementwise_kernel_manual_unrollILi128ELi4EZNS0_15gpu_kernel_implIZZZNS0_12_GLOBAL__N_139_amp_non_finite_check_and_unscale_cuda_ERNS_6TensorES5_RKS4_ENKUlvE_clEvENKUlvE1_clEvEUlN3c104HalfEE_EEvRNS_18TensorIteratorBaseERKT_EUlibE_EEviT1_ ; -- Begin function _ZN2at6native32elementwise_kernel_manual_unrollILi128ELi4EZNS0_15gpu_kernel_implIZZZNS0_12_GLOBAL__N_139_amp_non_finite_check_and_unscale_cuda_ERNS_6TensorES5_RKS4_ENKUlvE_clEvENKUlvE1_clEvEUlN3c104HalfEE_EEvRNS_18TensorIteratorBaseERKT_EUlibE_EEviT1_
	.p2align	8
	.type	_ZN2at6native32elementwise_kernel_manual_unrollILi128ELi4EZNS0_15gpu_kernel_implIZZZNS0_12_GLOBAL__N_139_amp_non_finite_check_and_unscale_cuda_ERNS_6TensorES5_RKS4_ENKUlvE_clEvENKUlvE1_clEvEUlN3c104HalfEE_EEvRNS_18TensorIteratorBaseERKT_EUlibE_EEviT1_,@function
_ZN2at6native32elementwise_kernel_manual_unrollILi128ELi4EZNS0_15gpu_kernel_implIZZZNS0_12_GLOBAL__N_139_amp_non_finite_check_and_unscale_cuda_ERNS_6TensorES5_RKS4_ENKUlvE_clEvENKUlvE1_clEvEUlN3c104HalfEE_EEvRNS_18TensorIteratorBaseERKT_EUlibE_EEviT1_: ; @_ZN2at6native32elementwise_kernel_manual_unrollILi128ELi4EZNS0_15gpu_kernel_implIZZZNS0_12_GLOBAL__N_139_amp_non_finite_check_and_unscale_cuda_ERNS_6TensorES5_RKS4_ENKUlvE_clEvENKUlvE1_clEvEUlN3c104HalfEE_EEvRNS_18TensorIteratorBaseERKT_EUlibE_EEviT1_
; %bb.0:
	s_clause 0x4
	s_load_b32 s12, s[0:1], 0x30
	s_load_b32 s16, s[0:1], 0x0
	s_load_b128 s[4:7], s[0:1], 0x8
	s_load_b64 s[2:3], s[0:1], 0x18
	s_load_b128 s[8:11], s[0:1], 0x20
	v_lshl_or_b32 v2, s15, 9, v0
	s_mov_b32 s1, 0
	s_mov_b32 s14, 0
	s_mov_b32 s0, exec_lo
	s_delay_alu instid0(VALU_DEP_1) | instskip(SKIP_2) | instid1(VALU_DEP_2)
	v_or_b32_e32 v0, 0x180, v2
	s_waitcnt lgkmcnt(0)
	v_lshrrev_b16 v3, 8, s12
	v_cmpx_le_i32_e64 s16, v0
	s_xor_b32 s13, exec_lo, s0
	s_cbranch_execz .LBB23_1041
; %bb.1:
	s_mov_b32 s20, -1
	s_mov_b32 s18, 0
	s_mov_b32 s15, 0
	s_mov_b32 s17, exec_lo
	v_cmpx_gt_i32_e64 s16, v2
	s_cbranch_execz .LBB23_254
; %bb.2:
	v_mul_lo_u32 v0, v2, s3
	v_cmp_gt_i16_e32 vcc_lo, 11, v3
	s_delay_alu instid0(VALU_DEP_2) | instskip(SKIP_1) | instid1(VALU_DEP_1)
	v_ashrrev_i32_e32 v1, 31, v0
	v_add_co_u32 v0, s0, s6, v0
	v_add_co_ci_u32_e64 v1, s0, s7, v1, s0
	s_cbranch_vccnz .LBB23_9
; %bb.3:
	v_cmp_lt_i16_e32 vcc_lo, 25, v3
	s_cbranch_vccz .LBB23_20
; %bb.4:
	v_cmp_lt_i16_e32 vcc_lo, 28, v3
	s_cbranch_vccz .LBB23_23
	;; [unrolled: 3-line block ×4, first 2 shown]
; %bb.7:
	v_cmp_eq_u16_e32 vcc_lo, 46, v3
	s_cbranch_vccz .LBB23_29
; %bb.8:
	global_load_b32 v4, v[0:1], off
	s_mov_b32 s0, -1
	s_waitcnt vmcnt(0)
	v_lshlrev_b32_e32 v4, 16, v4
	s_delay_alu instid0(VALU_DEP_1)
	v_cvt_f16_f32_e32 v4, v4
	s_branch .LBB23_31
.LBB23_9:
	s_mov_b32 s0, 0
                                        ; implicit-def: $vgpr4
	s_cbranch_execnz .LBB23_204
.LBB23_10:
	s_and_not1_b32 vcc_lo, exec_lo, s0
	s_cbranch_vccnz .LBB23_251
.LBB23_11:
	s_waitcnt vmcnt(0)
	s_delay_alu instid0(VALU_DEP_1) | instskip(SKIP_1) | instid1(VALU_DEP_1)
	v_cvt_f32_f16_e32 v0, v4
	s_mov_b32 s0, exec_lo
	v_cmpx_nlg_f32_e64 0x7f800000, |v0|
	s_cbranch_execz .LBB23_13
; %bb.12:
	v_mov_b32_e32 v1, 0
	v_mov_b32_e32 v5, 1.0
	global_store_b32 v1, v5, s[8:9]
.LBB23_13:
	s_or_b32 exec_lo, exec_lo, s0
	v_mov_b32_e32 v1, 0
	v_and_b32_e64 v5, 0xff, s12
	global_load_b32 v6, v1, s[10:11]
	v_mul_lo_u32 v1, v2, s2
	v_cmp_gt_i16_e32 vcc_lo, 11, v5
	s_and_b32 vcc_lo, exec_lo, vcc_lo
	s_delay_alu instid0(VALU_DEP_2) | instskip(SKIP_3) | instid1(VALU_DEP_1)
	v_ashrrev_i32_e32 v7, 31, v1
	s_waitcnt vmcnt(0)
	v_fma_mixlo_f16 v8, v6, v0, 0
	v_add_co_u32 v0, s0, s4, v1
	v_add_co_ci_u32_e64 v1, s0, s5, v7, s0
	v_cmp_eq_f32_e64 s0, 1.0, v6
	s_delay_alu instid0(VALU_DEP_1)
	v_cndmask_b32_e64 v4, v8, v4, s0
	s_cbranch_vccnz .LBB23_21
; %bb.14:
	v_cmp_lt_i16_e32 vcc_lo, 25, v5
	s_cbranch_vccz .LBB23_24
; %bb.15:
	v_cmp_lt_i16_e32 vcc_lo, 28, v5
	s_cbranch_vccz .LBB23_26
	;; [unrolled: 3-line block ×4, first 2 shown]
; %bb.18:
	v_cmp_eq_u16_e32 vcc_lo, 46, v5
	s_mov_b32 s19, 0
	s_mov_b32 s0, -1
	s_mov_b32 s14, 0
	s_cbranch_vccz .LBB23_35
; %bb.19:
	v_cvt_f32_f16_e32 v6, v4
	v_cmp_o_f16_e32 vcc_lo, v4, v4
	s_mov_b32 s14, -1
	s_mov_b32 s0, 0
	s_delay_alu instid0(VALU_DEP_2) | instskip(NEXT) | instid1(VALU_DEP_1)
	v_bfe_u32 v7, v6, 16, 1
	v_add3_u32 v6, v6, v7, 0x7fff
	s_delay_alu instid0(VALU_DEP_1) | instskip(NEXT) | instid1(VALU_DEP_1)
	v_lshrrev_b32_e32 v6, 16, v6
	v_cndmask_b32_e32 v6, 0x7fc0, v6, vcc_lo
	global_store_b32 v[0:1], v6, off
	s_branch .LBB23_35
.LBB23_20:
	s_mov_b32 s0, 0
                                        ; implicit-def: $vgpr4
	s_cbranch_execnz .LBB23_169
	s_branch .LBB23_203
.LBB23_21:
	s_mov_b32 s0, 0
	s_mov_b32 s14, 0
	s_cbranch_execnz .LBB23_104
.LBB23_22:
	s_and_not1_b32 vcc_lo, exec_lo, s14
	s_cbranch_vccnz .LBB23_252
	s_branch .LBB23_142
.LBB23_23:
	s_mov_b32 s14, -1
	s_mov_b32 s0, 0
                                        ; implicit-def: $vgpr4
	s_branch .LBB23_150
.LBB23_24:
	s_mov_b32 s19, -1
	s_mov_b32 s0, 0
	s_mov_b32 s14, 0
	s_branch .LBB23_62
.LBB23_25:
	s_mov_b32 s14, -1
	s_mov_b32 s0, 0
                                        ; implicit-def: $vgpr4
	s_branch .LBB23_145
.LBB23_26:
	s_mov_b32 s19, -1
	s_mov_b32 s0, 0
	s_mov_b32 s14, 0
	s_branch .LBB23_45
.LBB23_27:
	s_mov_b32 s14, -1
	s_branch .LBB23_30
.LBB23_28:
	s_mov_b32 s19, -1
	s_mov_b32 s0, 0
	s_mov_b32 s14, 0
	s_branch .LBB23_41
.LBB23_29:
	s_mov_b32 s15, -1
.LBB23_30:
	s_mov_b32 s0, 0
                                        ; implicit-def: $vgpr4
.LBB23_31:
	s_and_b32 vcc_lo, exec_lo, s14
	s_cbranch_vccz .LBB23_144
; %bb.32:
	v_cmp_eq_u16_e32 vcc_lo, 44, v3
	s_cbranch_vccz .LBB23_143
; %bb.33:
	global_load_u8 v4, v[0:1], off
	s_mov_b32 s15, 0
	s_mov_b32 s0, -1
	s_waitcnt vmcnt(0)
	v_lshlrev_b32_e32 v5, 23, v4
	v_cmp_ne_u32_e32 vcc_lo, 0xff, v4
	s_delay_alu instid0(VALU_DEP_2) | instskip(NEXT) | instid1(VALU_DEP_1)
	v_cvt_f16_f32_e32 v5, v5
	v_cndmask_b32_e32 v5, 0x7e00, v5, vcc_lo
	v_cmp_ne_u32_e32 vcc_lo, 0, v4
	s_delay_alu instid0(VALU_DEP_2)
	v_cndmask_b32_e32 v4, 0, v5, vcc_lo
	s_branch .LBB23_144
.LBB23_34:
	s_mov_b32 s19, -1
	s_mov_b32 s0, 0
	s_mov_b32 s14, 0
.LBB23_35:
	s_and_b32 vcc_lo, exec_lo, s19
	s_cbranch_vccz .LBB23_40
; %bb.36:
	v_cmp_eq_u16_e32 vcc_lo, 44, v5
	s_mov_b32 s0, -1
	s_cbranch_vccz .LBB23_40
; %bb.37:
	v_cvt_f32_f16_e32 v6, v4
	v_mov_b32_e32 v7, 0xff
	s_mov_b32 s14, exec_lo
	s_delay_alu instid0(VALU_DEP_2) | instskip(NEXT) | instid1(VALU_DEP_1)
	v_bfe_u32 v8, v6, 23, 8
	v_cmpx_ne_u32_e32 0xff, v8
; %bb.38:
	v_and_b32_e32 v7, 0x400000, v6
	v_and_or_b32 v8, 0x3fffff, v6, v8
	v_lshrrev_b32_e32 v6, 23, v6
	s_delay_alu instid0(VALU_DEP_3) | instskip(NEXT) | instid1(VALU_DEP_3)
	v_cmp_ne_u32_e32 vcc_lo, 0, v7
	v_cmp_ne_u32_e64 s0, 0, v8
	s_delay_alu instid0(VALU_DEP_1) | instskip(NEXT) | instid1(SALU_CYCLE_1)
	s_and_b32 s0, vcc_lo, s0
	v_cndmask_b32_e64 v7, 0, 1, s0
	s_delay_alu instid0(VALU_DEP_1)
	v_add_nc_u32_e32 v7, v6, v7
; %bb.39:
	s_or_b32 exec_lo, exec_lo, s14
	s_mov_b32 s14, -1
	s_mov_b32 s0, 0
	global_store_b8 v[0:1], v7, off
.LBB23_40:
	s_mov_b32 s19, 0
.LBB23_41:
	s_delay_alu instid0(SALU_CYCLE_1)
	s_and_b32 vcc_lo, exec_lo, s19
	s_cbranch_vccz .LBB23_44
; %bb.42:
	v_cmp_eq_u16_e32 vcc_lo, 29, v5
	s_mov_b32 s0, -1
	s_cbranch_vccz .LBB23_44
; %bb.43:
	v_cvt_f32_f16_e32 v6, v4
	v_mov_b32_e32 v7, 0
	s_mov_b32 s0, 0
	s_mov_b32 s14, -1
	s_mov_b32 s19, 0
	v_cvt_u32_f32_e32 v6, v6
	global_store_b64 v[0:1], v[6:7], off
	s_branch .LBB23_45
.LBB23_44:
	s_mov_b32 s19, 0
.LBB23_45:
	s_delay_alu instid0(SALU_CYCLE_1)
	s_and_b32 vcc_lo, exec_lo, s19
	s_cbranch_vccz .LBB23_61
; %bb.46:
	v_cmp_gt_i16_e32 vcc_lo, 27, v5
	s_mov_b32 s14, -1
	s_cbranch_vccnz .LBB23_52
; %bb.47:
	v_cmp_lt_i16_e32 vcc_lo, 27, v5
	s_cbranch_vccz .LBB23_49
; %bb.48:
	v_cvt_f32_f16_e32 v6, v4
	s_mov_b32 s14, 0
	s_delay_alu instid0(VALU_DEP_1)
	v_cvt_u32_f32_e32 v6, v6
	global_store_b32 v[0:1], v6, off
.LBB23_49:
	s_and_not1_b32 vcc_lo, exec_lo, s14
	s_cbranch_vccnz .LBB23_51
; %bb.50:
	v_cvt_u16_f16_e32 v6, v4
	global_store_b16 v[0:1], v6, off
.LBB23_51:
	s_mov_b32 s14, 0
.LBB23_52:
	s_delay_alu instid0(SALU_CYCLE_1)
	s_and_not1_b32 vcc_lo, exec_lo, s14
	s_cbranch_vccnz .LBB23_60
; %bb.53:
	v_cvt_f32_f16_e32 v6, v4
	v_mov_b32_e32 v8, 0x80
	s_mov_b32 s14, exec_lo
	s_delay_alu instid0(VALU_DEP_2) | instskip(NEXT) | instid1(VALU_DEP_1)
	v_and_b32_e32 v7, 0x7fffffff, v6
	v_cmpx_gt_u32_e32 0x43800000, v7
	s_cbranch_execz .LBB23_59
; %bb.54:
	v_cmp_lt_u32_e32 vcc_lo, 0x3bffffff, v7
	s_mov_b32 s19, 0
                                        ; implicit-def: $vgpr7
	s_and_saveexec_b32 s20, vcc_lo
	s_delay_alu instid0(SALU_CYCLE_1)
	s_xor_b32 s20, exec_lo, s20
	s_cbranch_execz .LBB23_280
; %bb.55:
	v_bfe_u32 v7, v6, 20, 1
	s_mov_b32 s19, exec_lo
	s_delay_alu instid0(VALU_DEP_1) | instskip(NEXT) | instid1(VALU_DEP_1)
	v_add3_u32 v7, v6, v7, 0x487ffff
	v_lshrrev_b32_e32 v7, 20, v7
	s_or_saveexec_b32 s20, s20
                                        ; implicit-def: $sgpr21
	s_delay_alu instid0(SALU_CYCLE_1)
	s_xor_b32 exec_lo, exec_lo, s20
	s_cbranch_execnz .LBB23_281
.LBB23_56:
	s_or_b32 exec_lo, exec_lo, s20
	v_mov_b32_e32 v8, s21
	s_and_saveexec_b32 s20, s19
.LBB23_57:
	v_lshrrev_b32_e32 v6, 24, v6
	s_delay_alu instid0(VALU_DEP_1)
	v_and_or_b32 v8, 0x80, v6, v7
.LBB23_58:
	s_or_b32 exec_lo, exec_lo, s20
.LBB23_59:
	s_delay_alu instid0(SALU_CYCLE_1)
	s_or_b32 exec_lo, exec_lo, s14
	global_store_b8 v[0:1], v8, off
.LBB23_60:
	s_mov_b32 s14, -1
.LBB23_61:
	s_mov_b32 s19, 0
.LBB23_62:
	s_delay_alu instid0(SALU_CYCLE_1)
	s_and_b32 vcc_lo, exec_lo, s19
	s_cbranch_vccz .LBB23_103
; %bb.63:
	v_cmp_lt_i16_e32 vcc_lo, 22, v5
	s_mov_b32 s19, -1
	s_cbranch_vccz .LBB23_95
; %bb.64:
	v_cmp_gt_i16_e32 vcc_lo, 24, v5
	s_mov_b32 s14, -1
	s_cbranch_vccnz .LBB23_84
; %bb.65:
	v_cmp_lt_i16_e32 vcc_lo, 24, v5
	s_cbranch_vccz .LBB23_73
; %bb.66:
	v_cvt_f32_f16_e32 v6, v4
	v_mov_b32_e32 v8, 0x80
	s_mov_b32 s14, exec_lo
	s_delay_alu instid0(VALU_DEP_2) | instskip(NEXT) | instid1(VALU_DEP_1)
	v_and_b32_e32 v7, 0x7fffffff, v6
	v_cmpx_gt_u32_e32 0x47800000, v7
	s_cbranch_execz .LBB23_72
; %bb.67:
	v_cmp_lt_u32_e32 vcc_lo, 0x37ffffff, v7
	s_mov_b32 s19, 0
                                        ; implicit-def: $vgpr7
	s_and_saveexec_b32 s20, vcc_lo
	s_delay_alu instid0(SALU_CYCLE_1)
	s_xor_b32 s20, exec_lo, s20
	s_cbranch_execz .LBB23_284
; %bb.68:
	v_bfe_u32 v7, v6, 21, 1
	s_mov_b32 s19, exec_lo
	s_delay_alu instid0(VALU_DEP_1) | instskip(NEXT) | instid1(VALU_DEP_1)
	v_add3_u32 v7, v6, v7, 0x88fffff
	v_lshrrev_b32_e32 v7, 21, v7
	s_or_saveexec_b32 s20, s20
                                        ; implicit-def: $sgpr21
	s_delay_alu instid0(SALU_CYCLE_1)
	s_xor_b32 exec_lo, exec_lo, s20
	s_cbranch_execnz .LBB23_285
.LBB23_69:
	s_or_b32 exec_lo, exec_lo, s20
	v_mov_b32_e32 v8, s21
	s_and_saveexec_b32 s20, s19
.LBB23_70:
	v_lshrrev_b32_e32 v6, 24, v6
	s_delay_alu instid0(VALU_DEP_1)
	v_and_or_b32 v8, 0x80, v6, v7
.LBB23_71:
	s_or_b32 exec_lo, exec_lo, s20
.LBB23_72:
	s_delay_alu instid0(SALU_CYCLE_1)
	s_or_b32 exec_lo, exec_lo, s14
	s_mov_b32 s14, 0
	global_store_b8 v[0:1], v8, off
.LBB23_73:
	s_and_b32 vcc_lo, exec_lo, s14
	s_cbranch_vccz .LBB23_83
; %bb.74:
	v_cvt_f32_f16_e32 v6, v4
	s_mov_b32 s14, exec_lo
                                        ; implicit-def: $vgpr7
	s_delay_alu instid0(VALU_DEP_1) | instskip(NEXT) | instid1(VALU_DEP_1)
	v_and_b32_e32 v8, 0x7fffffff, v6
	v_cmpx_gt_u32_e32 0x43f00000, v8
	s_xor_b32 s14, exec_lo, s14
	s_cbranch_execz .LBB23_80
; %bb.75:
	s_mov_b32 s19, exec_lo
                                        ; implicit-def: $vgpr7
	v_cmpx_lt_u32_e32 0x3c7fffff, v8
	s_xor_b32 s19, exec_lo, s19
; %bb.76:
	v_bfe_u32 v7, v6, 20, 1
	s_delay_alu instid0(VALU_DEP_1) | instskip(NEXT) | instid1(VALU_DEP_1)
	v_add3_u32 v7, v6, v7, 0x407ffff
	v_and_b32_e32 v8, 0xff00000, v7
	v_lshrrev_b32_e32 v7, 20, v7
	s_delay_alu instid0(VALU_DEP_2) | instskip(NEXT) | instid1(VALU_DEP_2)
	v_cmp_ne_u32_e32 vcc_lo, 0x7f00000, v8
	v_cndmask_b32_e32 v7, 0x7e, v7, vcc_lo
; %bb.77:
	s_and_not1_saveexec_b32 s19, s19
; %bb.78:
	v_add_f32_e64 v7, 0x46800000, |v6|
; %bb.79:
	s_or_b32 exec_lo, exec_lo, s19
                                        ; implicit-def: $vgpr8
.LBB23_80:
	s_and_not1_saveexec_b32 s14, s14
; %bb.81:
	v_mov_b32_e32 v7, 0x7f
	v_cmp_lt_u32_e32 vcc_lo, 0x7f800000, v8
	s_delay_alu instid0(VALU_DEP_2)
	v_cndmask_b32_e32 v7, 0x7e, v7, vcc_lo
; %bb.82:
	s_or_b32 exec_lo, exec_lo, s14
	v_lshrrev_b32_e32 v6, 24, v6
	s_delay_alu instid0(VALU_DEP_1)
	v_and_or_b32 v6, 0x80, v6, v7
	global_store_b8 v[0:1], v6, off
.LBB23_83:
	s_mov_b32 s14, 0
.LBB23_84:
	s_delay_alu instid0(SALU_CYCLE_1)
	s_and_not1_b32 vcc_lo, exec_lo, s14
	s_cbranch_vccnz .LBB23_94
; %bb.85:
	v_cvt_f32_f16_e32 v6, v4
	s_mov_b32 s14, exec_lo
                                        ; implicit-def: $vgpr7
	s_delay_alu instid0(VALU_DEP_1) | instskip(NEXT) | instid1(VALU_DEP_1)
	v_and_b32_e32 v8, 0x7fffffff, v6
	v_cmpx_gt_u32_e32 0x47800000, v8
	s_xor_b32 s14, exec_lo, s14
	s_cbranch_execz .LBB23_91
; %bb.86:
	s_mov_b32 s19, exec_lo
                                        ; implicit-def: $vgpr7
	v_cmpx_lt_u32_e32 0x387fffff, v8
	s_xor_b32 s19, exec_lo, s19
; %bb.87:
	v_bfe_u32 v7, v6, 21, 1
	s_delay_alu instid0(VALU_DEP_1) | instskip(NEXT) | instid1(VALU_DEP_1)
	v_add3_u32 v7, v6, v7, 0x80fffff
	v_lshrrev_b32_e32 v7, 21, v7
; %bb.88:
	s_and_not1_saveexec_b32 s19, s19
; %bb.89:
	v_add_f32_e64 v7, 0x43000000, |v6|
; %bb.90:
	s_or_b32 exec_lo, exec_lo, s19
                                        ; implicit-def: $vgpr8
.LBB23_91:
	s_and_not1_saveexec_b32 s14, s14
; %bb.92:
	v_mov_b32_e32 v7, 0x7f
	v_cmp_lt_u32_e32 vcc_lo, 0x7f800000, v8
	s_delay_alu instid0(VALU_DEP_2)
	v_cndmask_b32_e32 v7, 0x7c, v7, vcc_lo
; %bb.93:
	s_or_b32 exec_lo, exec_lo, s14
	v_lshrrev_b32_e32 v6, 24, v6
	s_delay_alu instid0(VALU_DEP_1)
	v_and_or_b32 v6, 0x80, v6, v7
	global_store_b8 v[0:1], v6, off
.LBB23_94:
	s_mov_b32 s19, 0
	s_mov_b32 s14, -1
.LBB23_95:
	s_and_not1_b32 vcc_lo, exec_lo, s19
	s_cbranch_vccnz .LBB23_103
; %bb.96:
	v_cmp_lt_i16_e32 vcc_lo, 14, v5
	s_mov_b32 s19, -1
	s_cbranch_vccz .LBB23_100
; %bb.97:
	v_cmp_eq_u16_e32 vcc_lo, 15, v5
	s_mov_b32 s0, -1
	s_cbranch_vccz .LBB23_99
; %bb.98:
	v_cvt_f32_f16_e32 v6, v4
	v_cmp_o_f16_e32 vcc_lo, v4, v4
	s_mov_b32 s14, -1
	s_mov_b32 s0, 0
	s_delay_alu instid0(VALU_DEP_2) | instskip(NEXT) | instid1(VALU_DEP_1)
	v_bfe_u32 v7, v6, 16, 1
	v_add3_u32 v6, v6, v7, 0x7fff
	s_delay_alu instid0(VALU_DEP_1) | instskip(NEXT) | instid1(VALU_DEP_1)
	v_lshrrev_b32_e32 v6, 16, v6
	v_cndmask_b32_e32 v6, 0x7fc0, v6, vcc_lo
	global_store_b16 v[0:1], v6, off
.LBB23_99:
	s_mov_b32 s19, 0
.LBB23_100:
	s_delay_alu instid0(SALU_CYCLE_1)
	s_and_b32 vcc_lo, exec_lo, s19
	s_cbranch_vccz .LBB23_103
; %bb.101:
	v_cmp_eq_u16_e32 vcc_lo, 11, v5
	s_mov_b32 s0, -1
	s_cbranch_vccz .LBB23_103
; %bb.102:
	v_cmp_neq_f16_e32 vcc_lo, 0, v4
	s_mov_b32 s0, 0
	s_mov_b32 s14, -1
	v_cndmask_b32_e64 v6, 0, 1, vcc_lo
	global_store_b8 v[0:1], v6, off
.LBB23_103:
	s_branch .LBB23_22
.LBB23_104:
	v_cmp_gt_i16_e32 vcc_lo, 5, v5
	s_mov_b32 s14, -1
	s_cbranch_vccnz .LBB23_125
; %bb.105:
	v_cmp_gt_i16_e32 vcc_lo, 8, v5
	s_cbranch_vccnz .LBB23_115
; %bb.106:
	v_cmp_gt_i16_e32 vcc_lo, 9, v5
	s_cbranch_vccnz .LBB23_112
; %bb.107:
	v_cmp_lt_i16_e32 vcc_lo, 9, v5
	s_cbranch_vccz .LBB23_109
; %bb.108:
	v_cvt_f32_f16_e32 v6, v4
	v_mov_b32_e32 v8, 0
	s_mov_b32 s14, 0
	s_delay_alu instid0(VALU_DEP_2) | instskip(NEXT) | instid1(VALU_DEP_2)
	v_cvt_f64_f32_e32 v[6:7], v6
	v_mov_b32_e32 v9, v8
	global_store_b128 v[0:1], v[6:9], off
.LBB23_109:
	s_and_not1_b32 vcc_lo, exec_lo, s14
	s_cbranch_vccnz .LBB23_111
; %bb.110:
	v_cvt_f32_f16_e32 v6, v4
	v_mov_b32_e32 v7, 0
	global_store_b64 v[0:1], v[6:7], off
.LBB23_111:
	s_mov_b32 s14, 0
.LBB23_112:
	s_delay_alu instid0(SALU_CYCLE_1)
	s_and_not1_b32 vcc_lo, exec_lo, s14
	s_cbranch_vccnz .LBB23_114
; %bb.113:
	v_and_b32_e32 v6, 0xffff, v4
	global_store_b32 v[0:1], v6, off
.LBB23_114:
	s_mov_b32 s14, 0
.LBB23_115:
	s_delay_alu instid0(SALU_CYCLE_1)
	s_and_not1_b32 vcc_lo, exec_lo, s14
	s_cbranch_vccnz .LBB23_124
; %bb.116:
	v_cmp_gt_i16_e32 vcc_lo, 6, v5
	s_mov_b32 s14, -1
	s_cbranch_vccnz .LBB23_122
; %bb.117:
	v_cmp_lt_i16_e32 vcc_lo, 6, v5
	s_cbranch_vccz .LBB23_119
; %bb.118:
	v_cvt_f32_f16_e32 v6, v4
	s_mov_b32 s14, 0
	s_delay_alu instid0(VALU_DEP_1)
	v_cvt_f64_f32_e32 v[6:7], v6
	global_store_b64 v[0:1], v[6:7], off
.LBB23_119:
	s_and_not1_b32 vcc_lo, exec_lo, s14
	s_cbranch_vccnz .LBB23_121
; %bb.120:
	v_cvt_f32_f16_e32 v6, v4
	global_store_b32 v[0:1], v6, off
.LBB23_121:
	s_mov_b32 s14, 0
.LBB23_122:
	s_delay_alu instid0(SALU_CYCLE_1)
	s_and_not1_b32 vcc_lo, exec_lo, s14
	s_cbranch_vccnz .LBB23_124
; %bb.123:
	global_store_b16 v[0:1], v4, off
.LBB23_124:
	s_mov_b32 s14, 0
.LBB23_125:
	s_delay_alu instid0(SALU_CYCLE_1)
	s_and_not1_b32 vcc_lo, exec_lo, s14
	s_cbranch_vccnz .LBB23_141
; %bb.126:
	v_cmp_gt_i16_e32 vcc_lo, 2, v5
	s_mov_b32 s14, -1
	s_cbranch_vccnz .LBB23_136
; %bb.127:
	v_cmp_gt_i16_e32 vcc_lo, 3, v5
	s_cbranch_vccnz .LBB23_133
; %bb.128:
	v_cmp_lt_i16_e32 vcc_lo, 3, v5
	s_cbranch_vccz .LBB23_130
; %bb.129:
	v_cvt_f32_f16_e32 v6, v4
	s_mov_b32 s14, 0
	s_delay_alu instid0(VALU_DEP_1) | instskip(NEXT) | instid1(VALU_DEP_1)
	v_cvt_i32_f32_e32 v6, v6
	v_ashrrev_i32_e32 v7, 31, v6
	global_store_b64 v[0:1], v[6:7], off
.LBB23_130:
	s_and_not1_b32 vcc_lo, exec_lo, s14
	s_cbranch_vccnz .LBB23_132
; %bb.131:
	v_cvt_f32_f16_e32 v6, v4
	s_delay_alu instid0(VALU_DEP_1)
	v_cvt_i32_f32_e32 v6, v6
	global_store_b32 v[0:1], v6, off
.LBB23_132:
	s_mov_b32 s14, 0
.LBB23_133:
	s_delay_alu instid0(SALU_CYCLE_1)
	s_and_not1_b32 vcc_lo, exec_lo, s14
	s_cbranch_vccnz .LBB23_135
; %bb.134:
	v_cvt_i16_f16_e32 v6, v4
	global_store_b16 v[0:1], v6, off
.LBB23_135:
	s_mov_b32 s14, 0
.LBB23_136:
	s_delay_alu instid0(SALU_CYCLE_1)
	s_and_not1_b32 vcc_lo, exec_lo, s14
	s_cbranch_vccnz .LBB23_141
; %bb.137:
	v_cmp_lt_i16_e32 vcc_lo, 0, v5
	s_mov_b32 s14, -1
	s_cbranch_vccz .LBB23_139
; %bb.138:
	v_cvt_i16_f16_e32 v5, v4
	s_mov_b32 s14, 0
	global_store_b8 v[0:1], v5, off
.LBB23_139:
	s_and_not1_b32 vcc_lo, exec_lo, s14
	s_cbranch_vccnz .LBB23_141
; %bb.140:
	v_cvt_f32_f16_e32 v4, v4
	s_delay_alu instid0(VALU_DEP_1)
	v_cvt_i32_f32_e32 v4, v4
	global_store_b8 v[0:1], v4, off
.LBB23_141:
.LBB23_142:
	v_add_nc_u32_e32 v2, 0x80, v2
	s_mov_b32 s19, -1
	s_branch .LBB23_253
.LBB23_143:
	s_mov_b32 s15, -1
                                        ; implicit-def: $vgpr4
.LBB23_144:
	s_mov_b32 s14, 0
.LBB23_145:
	s_delay_alu instid0(SALU_CYCLE_1)
	s_and_b32 vcc_lo, exec_lo, s14
	s_cbranch_vccz .LBB23_149
; %bb.146:
	v_cmp_eq_u16_e32 vcc_lo, 29, v3
	s_cbranch_vccz .LBB23_148
; %bb.147:
	global_load_b64 v[4:5], v[0:1], off
	s_mov_b32 s0, -1
	s_mov_b32 s15, 0
	s_mov_b32 s14, 0
	s_waitcnt vmcnt(0)
	v_clz_i32_u32_e32 v6, v5
	s_delay_alu instid0(VALU_DEP_1) | instskip(NEXT) | instid1(VALU_DEP_1)
	v_min_u32_e32 v6, 32, v6
	v_lshlrev_b64 v[4:5], v6, v[4:5]
	s_delay_alu instid0(VALU_DEP_1) | instskip(NEXT) | instid1(VALU_DEP_1)
	v_min_u32_e32 v4, 1, v4
	v_or_b32_e32 v4, v5, v4
	v_sub_nc_u32_e32 v5, 32, v6
	s_delay_alu instid0(VALU_DEP_2) | instskip(NEXT) | instid1(VALU_DEP_1)
	v_cvt_f32_u32_e32 v4, v4
	v_ldexp_f32 v4, v4, v5
	s_delay_alu instid0(VALU_DEP_1)
	v_cvt_f16_f32_e32 v4, v4
	s_branch .LBB23_150
.LBB23_148:
	s_mov_b32 s15, -1
                                        ; implicit-def: $vgpr4
.LBB23_149:
	s_mov_b32 s14, 0
.LBB23_150:
	s_delay_alu instid0(SALU_CYCLE_1)
	s_and_b32 vcc_lo, exec_lo, s14
	s_cbranch_vccz .LBB23_168
; %bb.151:
	v_cmp_gt_i16_e32 vcc_lo, 27, v3
	s_cbranch_vccnz .LBB23_154
; %bb.152:
	v_cmp_lt_i16_e32 vcc_lo, 27, v3
	s_cbranch_vccz .LBB23_155
; %bb.153:
	global_load_b32 v4, v[0:1], off
	s_mov_b32 s0, 0
	s_waitcnt vmcnt(0)
	v_cvt_f32_u32_e32 v4, v4
	s_delay_alu instid0(VALU_DEP_1)
	v_cvt_f16_f32_e32 v4, v4
	s_branch .LBB23_156
.LBB23_154:
	s_mov_b32 s0, -1
                                        ; implicit-def: $vgpr4
	s_branch .LBB23_159
.LBB23_155:
	s_mov_b32 s0, -1
                                        ; implicit-def: $vgpr4
.LBB23_156:
	s_delay_alu instid0(SALU_CYCLE_1)
	s_and_not1_b32 vcc_lo, exec_lo, s0
	s_cbranch_vccnz .LBB23_158
; %bb.157:
	global_load_u16 v4, v[0:1], off
	s_waitcnt vmcnt(0)
	v_cvt_f16_u16_e32 v4, v4
.LBB23_158:
	s_mov_b32 s0, 0
.LBB23_159:
	s_delay_alu instid0(SALU_CYCLE_1)
	s_and_not1_b32 vcc_lo, exec_lo, s0
	s_cbranch_vccnz .LBB23_167
; %bb.160:
	global_load_u8 v5, v[0:1], off
	s_mov_b32 s0, 0
	s_mov_b32 s19, exec_lo
                                        ; implicit-def: $sgpr14
	s_waitcnt vmcnt(0)
	v_cmpx_lt_i16_e32 0x7f, v5
	s_xor_b32 s19, exec_lo, s19
	s_cbranch_execz .LBB23_180
; %bb.161:
	s_mov_b32 s0, -1
	s_mov_b32 s20, exec_lo
                                        ; implicit-def: $sgpr14
	v_cmpx_eq_u16_e32 0x80, v5
; %bb.162:
	s_movk_i32 s14, 0x7e00
	s_xor_b32 s0, exec_lo, -1
; %bb.163:
	s_or_b32 exec_lo, exec_lo, s20
	s_delay_alu instid0(SALU_CYCLE_1)
	s_and_b32 s0, s0, exec_lo
	s_or_saveexec_b32 s19, s19
	v_mov_b32_e32 v4, s14
	s_xor_b32 exec_lo, exec_lo, s19
	s_cbranch_execnz .LBB23_181
.LBB23_164:
	s_or_b32 exec_lo, exec_lo, s19
	s_and_saveexec_b32 s14, s0
	s_cbranch_execz .LBB23_166
.LBB23_165:
	v_and_b32_e32 v4, 0xffff, v5
	s_delay_alu instid0(VALU_DEP_1) | instskip(NEXT) | instid1(VALU_DEP_1)
	v_and_b32_e32 v6, 7, v4
	v_clz_i32_u32_e32 v7, v6
	s_delay_alu instid0(VALU_DEP_1) | instskip(NEXT) | instid1(VALU_DEP_1)
	v_min_u32_e32 v7, 32, v7
	v_subrev_nc_u32_e32 v8, 28, v7
	v_sub_nc_u32_e32 v7, 29, v7
	s_delay_alu instid0(VALU_DEP_2) | instskip(SKIP_1) | instid1(VALU_DEP_2)
	v_lshlrev_b32_e32 v8, v8, v4
	v_bfe_u32 v4, v4, 3, 4
	v_and_b32_e32 v8, 7, v8
	s_delay_alu instid0(VALU_DEP_2) | instskip(SKIP_1) | instid1(VALU_DEP_1)
	v_cmp_eq_u32_e32 vcc_lo, 0, v4
	v_dual_cndmask_b32 v4, v4, v7 :: v_dual_lshlrev_b32 v5, 24, v5
	v_dual_cndmask_b32 v6, v6, v8 :: v_dual_and_b32 v5, 0x80000000, v5
	s_delay_alu instid0(VALU_DEP_2) | instskip(NEXT) | instid1(VALU_DEP_2)
	v_lshl_add_u32 v4, v4, 23, 0x3b800000
	v_lshlrev_b32_e32 v6, 20, v6
	s_delay_alu instid0(VALU_DEP_1) | instskip(NEXT) | instid1(VALU_DEP_1)
	v_or3_b32 v4, v5, v4, v6
	v_cvt_f16_f32_e32 v4, v4
.LBB23_166:
	s_or_b32 exec_lo, exec_lo, s14
.LBB23_167:
	s_mov_b32 s0, -1
.LBB23_168:
	s_branch .LBB23_203
.LBB23_169:
	v_cmp_lt_i16_e32 vcc_lo, 22, v3
	s_cbranch_vccz .LBB23_179
; %bb.170:
	v_cmp_gt_i16_e32 vcc_lo, 24, v3
	s_cbranch_vccnz .LBB23_182
; %bb.171:
	v_cmp_lt_i16_e32 vcc_lo, 24, v3
	s_cbranch_vccz .LBB23_183
; %bb.172:
	global_load_u8 v5, v[0:1], off
	s_mov_b32 s0, 0
	s_mov_b32 s19, exec_lo
                                        ; implicit-def: $sgpr14
	s_waitcnt vmcnt(0)
	v_cmpx_lt_i16_e32 0x7f, v5
	s_xor_b32 s19, exec_lo, s19
	s_cbranch_execz .LBB23_195
; %bb.173:
	s_mov_b32 s0, -1
	s_mov_b32 s20, exec_lo
                                        ; implicit-def: $sgpr14
	v_cmpx_eq_u16_e32 0x80, v5
; %bb.174:
	s_movk_i32 s14, 0x7e00
	s_xor_b32 s0, exec_lo, -1
; %bb.175:
	s_or_b32 exec_lo, exec_lo, s20
	s_delay_alu instid0(SALU_CYCLE_1)
	s_and_b32 s0, s0, exec_lo
	s_or_saveexec_b32 s19, s19
	v_mov_b32_e32 v4, s14
	s_xor_b32 exec_lo, exec_lo, s19
	s_cbranch_execnz .LBB23_196
.LBB23_176:
	s_or_b32 exec_lo, exec_lo, s19
	s_and_saveexec_b32 s14, s0
	s_cbranch_execz .LBB23_178
.LBB23_177:
	v_and_b32_e32 v4, 0xffff, v5
	s_delay_alu instid0(VALU_DEP_1) | instskip(NEXT) | instid1(VALU_DEP_1)
	v_and_b32_e32 v6, 3, v4
	v_clz_i32_u32_e32 v7, v6
	s_delay_alu instid0(VALU_DEP_1) | instskip(NEXT) | instid1(VALU_DEP_1)
	v_min_u32_e32 v7, 32, v7
	v_subrev_nc_u32_e32 v8, 29, v7
	v_sub_nc_u32_e32 v7, 30, v7
	s_delay_alu instid0(VALU_DEP_2) | instskip(SKIP_1) | instid1(VALU_DEP_2)
	v_lshlrev_b32_e32 v8, v8, v4
	v_bfe_u32 v4, v4, 2, 5
	v_and_b32_e32 v8, 3, v8
	s_delay_alu instid0(VALU_DEP_2) | instskip(SKIP_1) | instid1(VALU_DEP_1)
	v_cmp_eq_u32_e32 vcc_lo, 0, v4
	v_dual_cndmask_b32 v4, v4, v7 :: v_dual_lshlrev_b32 v5, 24, v5
	v_dual_cndmask_b32 v6, v6, v8 :: v_dual_and_b32 v5, 0x80000000, v5
	s_delay_alu instid0(VALU_DEP_2) | instskip(NEXT) | instid1(VALU_DEP_2)
	v_lshl_add_u32 v4, v4, 23, 0x37800000
	v_lshlrev_b32_e32 v6, 21, v6
	s_delay_alu instid0(VALU_DEP_1) | instskip(NEXT) | instid1(VALU_DEP_1)
	v_or3_b32 v4, v5, v4, v6
	v_cvt_f16_f32_e32 v4, v4
.LBB23_178:
	s_or_b32 exec_lo, exec_lo, s14
	s_mov_b32 s0, 0
	s_branch .LBB23_184
.LBB23_179:
	s_mov_b32 s14, -1
                                        ; implicit-def: $vgpr4
	s_branch .LBB23_190
.LBB23_180:
	s_or_saveexec_b32 s19, s19
	v_mov_b32_e32 v4, s14
	s_xor_b32 exec_lo, exec_lo, s19
	s_cbranch_execz .LBB23_164
.LBB23_181:
	v_cmp_ne_u16_e32 vcc_lo, 0, v5
	v_mov_b32_e32 v4, v5
	s_and_not1_b32 s0, s0, exec_lo
	s_and_b32 s14, vcc_lo, exec_lo
	s_delay_alu instid0(SALU_CYCLE_1)
	s_or_b32 s0, s0, s14
	s_or_b32 exec_lo, exec_lo, s19
	s_and_saveexec_b32 s14, s0
	s_cbranch_execnz .LBB23_165
	s_branch .LBB23_166
.LBB23_182:
	s_mov_b32 s0, -1
                                        ; implicit-def: $vgpr4
	s_branch .LBB23_187
.LBB23_183:
	s_mov_b32 s0, -1
                                        ; implicit-def: $vgpr4
.LBB23_184:
	s_delay_alu instid0(SALU_CYCLE_1)
	s_and_b32 vcc_lo, exec_lo, s0
	s_cbranch_vccz .LBB23_186
; %bb.185:
	global_load_u8 v4, v[0:1], off
	s_waitcnt vmcnt(0)
	v_lshlrev_b32_e32 v4, 24, v4
	s_delay_alu instid0(VALU_DEP_1) | instskip(NEXT) | instid1(VALU_DEP_1)
	v_and_b32_e32 v5, 0x7f000000, v4
	v_clz_i32_u32_e32 v6, v5
	v_add_nc_u32_e32 v8, 0x1000000, v5
	v_cmp_ne_u32_e32 vcc_lo, 0, v5
	s_delay_alu instid0(VALU_DEP_3) | instskip(NEXT) | instid1(VALU_DEP_1)
	v_min_u32_e32 v6, 32, v6
	v_sub_nc_u32_e64 v6, v6, 4 clamp
	s_delay_alu instid0(VALU_DEP_1) | instskip(SKIP_1) | instid1(VALU_DEP_2)
	v_lshlrev_b32_e32 v7, v6, v5
	v_lshlrev_b32_e32 v6, 23, v6
	v_lshrrev_b32_e32 v7, 4, v7
	s_delay_alu instid0(VALU_DEP_1) | instskip(SKIP_1) | instid1(VALU_DEP_2)
	v_sub_nc_u32_e32 v6, v7, v6
	v_ashrrev_i32_e32 v7, 8, v8
	v_add_nc_u32_e32 v6, 0x3c000000, v6
	s_delay_alu instid0(VALU_DEP_1) | instskip(NEXT) | instid1(VALU_DEP_1)
	v_and_or_b32 v6, 0x7f800000, v7, v6
	v_cndmask_b32_e32 v5, 0, v6, vcc_lo
	s_delay_alu instid0(VALU_DEP_1) | instskip(NEXT) | instid1(VALU_DEP_1)
	v_and_or_b32 v4, 0x80000000, v4, v5
	v_cvt_f16_f32_e32 v4, v4
.LBB23_186:
	s_mov_b32 s0, 0
.LBB23_187:
	s_delay_alu instid0(SALU_CYCLE_1)
	s_and_not1_b32 vcc_lo, exec_lo, s0
	s_cbranch_vccnz .LBB23_189
; %bb.188:
	global_load_u8 v4, v[0:1], off
	s_waitcnt vmcnt(0)
	v_lshlrev_b32_e32 v5, 25, v4
	v_lshlrev_b16 v4, 8, v4
	s_delay_alu instid0(VALU_DEP_2) | instskip(NEXT) | instid1(VALU_DEP_2)
	v_lshrrev_b32_e32 v6, 4, v5
	v_and_or_b32 v7, 0x7f00, v4, 0.5
	v_bfe_i32 v4, v4, 0, 16
	s_delay_alu instid0(VALU_DEP_3) | instskip(NEXT) | instid1(VALU_DEP_1)
	v_or_b32_e32 v6, 0x70000000, v6
	v_dual_add_f32 v7, -0.5, v7 :: v_dual_mul_f32 v6, 0x7800000, v6
	v_cmp_gt_u32_e32 vcc_lo, 0x8000000, v5
	s_delay_alu instid0(VALU_DEP_2) | instskip(NEXT) | instid1(VALU_DEP_1)
	v_cndmask_b32_e32 v5, v6, v7, vcc_lo
	v_and_or_b32 v4, 0x80000000, v4, v5
	s_delay_alu instid0(VALU_DEP_1)
	v_cvt_f16_f32_e32 v4, v4
.LBB23_189:
	s_mov_b32 s14, 0
	s_mov_b32 s0, -1
.LBB23_190:
	s_and_not1_b32 vcc_lo, exec_lo, s14
	s_cbranch_vccnz .LBB23_203
; %bb.191:
	v_cmp_lt_i16_e32 vcc_lo, 14, v3
	s_cbranch_vccz .LBB23_194
; %bb.192:
	v_cmp_eq_u16_e32 vcc_lo, 15, v3
	s_cbranch_vccz .LBB23_197
; %bb.193:
	global_load_u16 v4, v[0:1], off
	s_mov_b32 s0, -1
	s_mov_b32 s15, 0
	s_waitcnt vmcnt(0)
	v_lshlrev_b32_e32 v4, 16, v4
	s_delay_alu instid0(VALU_DEP_1)
	v_cvt_f16_f32_e32 v4, v4
	s_branch .LBB23_198
.LBB23_194:
	s_mov_b32 s14, -1
                                        ; implicit-def: $vgpr4
	s_branch .LBB23_199
.LBB23_195:
	s_or_saveexec_b32 s19, s19
	v_mov_b32_e32 v4, s14
	s_xor_b32 exec_lo, exec_lo, s19
	s_cbranch_execz .LBB23_176
.LBB23_196:
	v_cmp_ne_u16_e32 vcc_lo, 0, v5
	v_mov_b32_e32 v4, v5
	s_and_not1_b32 s0, s0, exec_lo
	s_and_b32 s14, vcc_lo, exec_lo
	s_delay_alu instid0(SALU_CYCLE_1)
	s_or_b32 s0, s0, s14
	s_or_b32 exec_lo, exec_lo, s19
	s_and_saveexec_b32 s14, s0
	s_cbranch_execnz .LBB23_177
	s_branch .LBB23_178
.LBB23_197:
	s_mov_b32 s15, -1
                                        ; implicit-def: $vgpr4
.LBB23_198:
	s_mov_b32 s14, 0
.LBB23_199:
	s_delay_alu instid0(SALU_CYCLE_1)
	s_and_b32 vcc_lo, exec_lo, s14
	s_cbranch_vccz .LBB23_203
; %bb.200:
	v_cmp_eq_u16_e32 vcc_lo, 11, v3
	s_cbranch_vccz .LBB23_202
; %bb.201:
	global_load_u8 v4, v[0:1], off
	s_mov_b32 s15, 0
	s_mov_b32 s0, -1
	s_waitcnt vmcnt(0)
	v_cmp_ne_u16_e32 vcc_lo, 0, v4
	v_cndmask_b32_e64 v4, 0, 0x3c00, vcc_lo
	s_branch .LBB23_203
.LBB23_202:
	s_mov_b32 s15, -1
                                        ; implicit-def: $vgpr4
.LBB23_203:
	s_branch .LBB23_10
.LBB23_204:
	v_cmp_gt_i16_e32 vcc_lo, 5, v3
	s_cbranch_vccnz .LBB23_209
; %bb.205:
	v_cmp_gt_i16_e32 vcc_lo, 8, v3
	s_cbranch_vccnz .LBB23_210
; %bb.206:
	;; [unrolled: 3-line block ×3, first 2 shown]
	v_cmp_lt_i16_e32 vcc_lo, 9, v3
	s_cbranch_vccz .LBB23_212
; %bb.208:
	global_load_b64 v[4:5], v[0:1], off
	s_mov_b32 s0, 0
	s_waitcnt vmcnt(0)
	v_cvt_f32_f64_e32 v4, v[4:5]
	s_delay_alu instid0(VALU_DEP_1)
	v_cvt_f16_f32_e32 v4, v4
	s_branch .LBB23_213
.LBB23_209:
                                        ; implicit-def: $vgpr4
	s_branch .LBB23_231
.LBB23_210:
	s_mov_b32 s0, -1
                                        ; implicit-def: $vgpr4
	s_branch .LBB23_219
.LBB23_211:
	s_mov_b32 s0, -1
                                        ; implicit-def: $vgpr4
	s_branch .LBB23_216
.LBB23_212:
	s_mov_b32 s0, -1
                                        ; implicit-def: $vgpr4
.LBB23_213:
	s_delay_alu instid0(SALU_CYCLE_1)
	s_and_not1_b32 vcc_lo, exec_lo, s0
	s_cbranch_vccnz .LBB23_215
; %bb.214:
	global_load_b32 v4, v[0:1], off
	s_waitcnt vmcnt(0)
	v_cvt_f16_f32_e32 v4, v4
.LBB23_215:
	s_mov_b32 s0, 0
.LBB23_216:
	s_delay_alu instid0(SALU_CYCLE_1)
	s_and_not1_b32 vcc_lo, exec_lo, s0
	s_cbranch_vccnz .LBB23_218
; %bb.217:
	global_load_b32 v4, v[0:1], off
.LBB23_218:
	s_mov_b32 s0, 0
.LBB23_219:
	s_delay_alu instid0(SALU_CYCLE_1)
	s_and_not1_b32 vcc_lo, exec_lo, s0
	s_cbranch_vccnz .LBB23_230
; %bb.220:
	v_cmp_gt_i16_e32 vcc_lo, 6, v3
	s_cbranch_vccnz .LBB23_223
; %bb.221:
	v_cmp_lt_i16_e32 vcc_lo, 6, v3
	s_cbranch_vccz .LBB23_224
; %bb.222:
	global_load_b64 v[4:5], v[0:1], off
	s_mov_b32 s0, 0
	s_waitcnt vmcnt(0)
	v_cvt_f32_f64_e32 v4, v[4:5]
	s_delay_alu instid0(VALU_DEP_1)
	v_cvt_f16_f32_e32 v4, v4
	s_branch .LBB23_225
.LBB23_223:
	s_mov_b32 s0, -1
                                        ; implicit-def: $vgpr4
	s_branch .LBB23_228
.LBB23_224:
	s_mov_b32 s0, -1
                                        ; implicit-def: $vgpr4
.LBB23_225:
	s_delay_alu instid0(SALU_CYCLE_1)
	s_and_not1_b32 vcc_lo, exec_lo, s0
	s_cbranch_vccnz .LBB23_227
; %bb.226:
	global_load_b32 v4, v[0:1], off
	s_waitcnt vmcnt(0)
	v_cvt_f16_f32_e32 v4, v4
.LBB23_227:
	s_mov_b32 s0, 0
.LBB23_228:
	s_delay_alu instid0(SALU_CYCLE_1)
	s_and_not1_b32 vcc_lo, exec_lo, s0
	s_cbranch_vccnz .LBB23_230
; %bb.229:
	global_load_u16 v4, v[0:1], off
.LBB23_230:
	s_cbranch_execnz .LBB23_250
.LBB23_231:
	v_cmp_gt_i16_e32 vcc_lo, 2, v3
	s_cbranch_vccnz .LBB23_235
; %bb.232:
	v_cmp_gt_i16_e32 vcc_lo, 3, v3
	s_cbranch_vccnz .LBB23_236
; %bb.233:
	v_cmp_lt_i16_e32 vcc_lo, 3, v3
	s_cbranch_vccz .LBB23_237
; %bb.234:
	global_load_b64 v[4:5], v[0:1], off
	s_mov_b32 s0, 0
	s_waitcnt vmcnt(0)
	v_xor_b32_e32 v6, v4, v5
	v_cls_i32_e32 v7, v5
	s_delay_alu instid0(VALU_DEP_2) | instskip(NEXT) | instid1(VALU_DEP_2)
	v_ashrrev_i32_e32 v6, 31, v6
	v_add_nc_u32_e32 v7, -1, v7
	s_delay_alu instid0(VALU_DEP_2) | instskip(NEXT) | instid1(VALU_DEP_1)
	v_add_nc_u32_e32 v6, 32, v6
	v_min_u32_e32 v6, v7, v6
	s_delay_alu instid0(VALU_DEP_1) | instskip(NEXT) | instid1(VALU_DEP_1)
	v_lshlrev_b64 v[4:5], v6, v[4:5]
	v_min_u32_e32 v4, 1, v4
	s_delay_alu instid0(VALU_DEP_1) | instskip(SKIP_1) | instid1(VALU_DEP_2)
	v_or_b32_e32 v4, v5, v4
	v_sub_nc_u32_e32 v5, 32, v6
	v_cvt_f32_i32_e32 v4, v4
	s_delay_alu instid0(VALU_DEP_1) | instskip(NEXT) | instid1(VALU_DEP_1)
	v_ldexp_f32 v4, v4, v5
	v_cvt_f16_f32_e32 v4, v4
	s_branch .LBB23_238
.LBB23_235:
	s_mov_b32 s0, -1
                                        ; implicit-def: $vgpr4
	s_branch .LBB23_244
.LBB23_236:
	s_mov_b32 s0, -1
                                        ; implicit-def: $vgpr4
	s_branch .LBB23_241
.LBB23_237:
	s_mov_b32 s0, -1
                                        ; implicit-def: $vgpr4
.LBB23_238:
	s_delay_alu instid0(SALU_CYCLE_1)
	s_and_not1_b32 vcc_lo, exec_lo, s0
	s_cbranch_vccnz .LBB23_240
; %bb.239:
	global_load_b32 v4, v[0:1], off
	s_waitcnt vmcnt(0)
	v_cvt_f32_i32_e32 v4, v4
	s_delay_alu instid0(VALU_DEP_1)
	v_cvt_f16_f32_e32 v4, v4
.LBB23_240:
	s_mov_b32 s0, 0
.LBB23_241:
	s_delay_alu instid0(SALU_CYCLE_1)
	s_and_not1_b32 vcc_lo, exec_lo, s0
	s_cbranch_vccnz .LBB23_243
; %bb.242:
	global_load_u16 v4, v[0:1], off
	s_waitcnt vmcnt(0)
	v_cvt_f16_i16_e32 v4, v4
.LBB23_243:
	s_mov_b32 s0, 0
.LBB23_244:
	s_delay_alu instid0(SALU_CYCLE_1)
	s_and_not1_b32 vcc_lo, exec_lo, s0
	s_cbranch_vccnz .LBB23_250
; %bb.245:
	v_cmp_lt_i16_e32 vcc_lo, 0, v3
	s_mov_b32 s0, 0
	s_cbranch_vccz .LBB23_247
; %bb.246:
	global_load_i8 v4, v[0:1], off
	s_waitcnt vmcnt(0)
	v_cvt_f16_i16_e32 v4, v4
	s_branch .LBB23_248
.LBB23_247:
	s_mov_b32 s0, -1
                                        ; implicit-def: $vgpr4
.LBB23_248:
	s_delay_alu instid0(SALU_CYCLE_1)
	s_and_not1_b32 vcc_lo, exec_lo, s0
	s_cbranch_vccnz .LBB23_250
; %bb.249:
	global_load_u8 v0, v[0:1], off
	s_waitcnt vmcnt(0)
	v_cvt_f16_u16_e32 v4, v0
.LBB23_250:
	s_branch .LBB23_11
.LBB23_251:
	s_mov_b32 s0, 0
.LBB23_252:
	s_mov_b32 s19, 0
                                        ; implicit-def: $vgpr2
.LBB23_253:
	s_and_b32 s14, s0, exec_lo
	s_and_b32 s15, s15, exec_lo
	s_or_not1_b32 s20, s19, exec_lo
.LBB23_254:
	s_or_b32 exec_lo, exec_lo, s17
	s_mov_b32 s19, 0
	s_mov_b32 s0, 0
                                        ; implicit-def: $vgpr0_vgpr1
                                        ; implicit-def: $vgpr5
	s_and_saveexec_b32 s17, s20
	s_cbranch_execz .LBB23_866
; %bb.255:
	s_mov_b32 s22, -1
	s_mov_b32 s18, s15
	s_mov_b32 s19, s14
	s_mov_b32 s20, exec_lo
	v_cmpx_gt_i32_e64 s16, v2
	s_cbranch_execz .LBB23_516
; %bb.256:
	v_mul_lo_u32 v0, v2, s3
	v_cmp_gt_i16_e32 vcc_lo, 11, v3
	s_delay_alu instid0(VALU_DEP_2) | instskip(SKIP_1) | instid1(VALU_DEP_1)
	v_ashrrev_i32_e32 v1, 31, v0
	v_add_co_u32 v0, s0, s6, v0
	v_add_co_ci_u32_e64 v1, s0, s7, v1, s0
	s_cbranch_vccnz .LBB23_263
; %bb.257:
	v_cmp_lt_i16_e32 vcc_lo, 25, v3
	s_cbranch_vccz .LBB23_274
; %bb.258:
	v_cmp_lt_i16_e32 vcc_lo, 28, v3
	s_cbranch_vccz .LBB23_276
	;; [unrolled: 3-line block ×4, first 2 shown]
; %bb.261:
	v_cmp_eq_u16_e32 vcc_lo, 46, v3
	s_mov_b32 s19, 0
	s_cbranch_vccz .LBB23_286
; %bb.262:
	global_load_b32 v4, v[0:1], off
	s_mov_b32 s0, -1
	s_mov_b32 s18, 0
	s_waitcnt vmcnt(0)
	v_lshlrev_b32_e32 v4, 16, v4
	s_delay_alu instid0(VALU_DEP_1)
	v_cvt_f16_f32_e32 v4, v4
	s_branch .LBB23_288
.LBB23_263:
	s_mov_b32 s0, 0
	s_mov_b32 s18, s15
                                        ; implicit-def: $vgpr4
	s_cbranch_execnz .LBB23_465
.LBB23_264:
	s_and_not1_b32 vcc_lo, exec_lo, s0
	s_cbranch_vccnz .LBB23_513
.LBB23_265:
	s_waitcnt vmcnt(0)
	s_delay_alu instid0(VALU_DEP_1) | instskip(SKIP_1) | instid1(VALU_DEP_1)
	v_cvt_f32_f16_e32 v0, v4
	s_mov_b32 s0, exec_lo
	v_cmpx_nlg_f32_e64 0x7f800000, |v0|
	s_cbranch_execz .LBB23_267
; %bb.266:
	v_mov_b32_e32 v1, 0
	v_mov_b32_e32 v5, 1.0
	global_store_b32 v1, v5, s[8:9]
.LBB23_267:
	s_or_b32 exec_lo, exec_lo, s0
	v_mov_b32_e32 v1, 0
	v_and_b32_e64 v5, 0xff, s12
	global_load_b32 v6, v1, s[10:11]
	v_mul_lo_u32 v1, v2, s2
	v_cmp_gt_i16_e32 vcc_lo, 11, v5
	s_and_b32 vcc_lo, exec_lo, vcc_lo
	s_delay_alu instid0(VALU_DEP_2) | instskip(SKIP_3) | instid1(VALU_DEP_1)
	v_ashrrev_i32_e32 v7, 31, v1
	s_waitcnt vmcnt(0)
	v_fma_mixlo_f16 v8, v6, v0, 0
	v_add_co_u32 v0, s0, s4, v1
	v_add_co_ci_u32_e64 v1, s0, s5, v7, s0
	v_cmp_eq_f32_e64 s0, 1.0, v6
	s_delay_alu instid0(VALU_DEP_1)
	v_cndmask_b32_e64 v4, v8, v4, s0
	s_cbranch_vccnz .LBB23_275
; %bb.268:
	v_cmp_lt_i16_e32 vcc_lo, 25, v5
	s_cbranch_vccz .LBB23_277
; %bb.269:
	v_cmp_lt_i16_e32 vcc_lo, 28, v5
	s_cbranch_vccz .LBB23_279
; %bb.270:
	v_cmp_lt_i16_e32 vcc_lo, 43, v5
	s_cbranch_vccz .LBB23_283
; %bb.271:
	v_cmp_lt_i16_e32 vcc_lo, 45, v5
	s_cbranch_vccz .LBB23_291
; %bb.272:
	v_cmp_eq_u16_e32 vcc_lo, 46, v5
	s_mov_b32 s21, 0
	s_mov_b32 s0, -1
	s_mov_b32 s19, 0
	s_cbranch_vccz .LBB23_292
; %bb.273:
	v_cvt_f32_f16_e32 v6, v4
	v_cmp_o_f16_e32 vcc_lo, v4, v4
	s_mov_b32 s19, -1
	s_mov_b32 s0, 0
	s_delay_alu instid0(VALU_DEP_2) | instskip(NEXT) | instid1(VALU_DEP_1)
	v_bfe_u32 v7, v6, 16, 1
	v_add3_u32 v6, v6, v7, 0x7fff
	s_delay_alu instid0(VALU_DEP_1) | instskip(NEXT) | instid1(VALU_DEP_1)
	v_lshrrev_b32_e32 v6, 16, v6
	v_cndmask_b32_e32 v6, 0x7fc0, v6, vcc_lo
	global_store_b32 v[0:1], v6, off
	s_branch .LBB23_292
.LBB23_274:
	s_mov_b32 s19, -1
	s_mov_b32 s0, 0
	s_mov_b32 s18, s15
                                        ; implicit-def: $vgpr4
	s_branch .LBB23_429
.LBB23_275:
	s_mov_b32 s21, -1
	s_mov_b32 s19, 0
	s_mov_b32 s0, s14
	s_branch .LBB23_361
.LBB23_276:
	s_mov_b32 s19, -1
	s_mov_b32 s0, 0
	s_mov_b32 s18, s15
                                        ; implicit-def: $vgpr4
	s_branch .LBB23_410
.LBB23_277:
	s_mov_b32 s21, -1
	s_mov_b32 s19, 0
	s_mov_b32 s0, s14
	s_branch .LBB23_319
.LBB23_278:
	s_mov_b32 s19, -1
	s_mov_b32 s0, 0
	s_mov_b32 s18, s15
                                        ; implicit-def: $vgpr4
	s_branch .LBB23_405
.LBB23_279:
	s_mov_b32 s21, -1
	s_mov_b32 s19, 0
	s_mov_b32 s0, s14
	s_branch .LBB23_302
.LBB23_280:
	s_or_saveexec_b32 s20, s20
                                        ; implicit-def: $sgpr21
	s_delay_alu instid0(SALU_CYCLE_1)
	s_xor_b32 exec_lo, exec_lo, s20
	s_cbranch_execz .LBB23_56
.LBB23_281:
	v_add_f32_e64 v7, 0x46000000, |v6|
	s_and_not1_b32 s19, s19, exec_lo
	s_mov_b32 s21, 0
	s_delay_alu instid0(VALU_DEP_1) | instskip(NEXT) | instid1(VALU_DEP_1)
	v_and_b32_e32 v7, 0xff, v7
	v_cmp_ne_u32_e32 vcc_lo, 0, v7
	s_and_b32 s22, vcc_lo, exec_lo
	s_delay_alu instid0(SALU_CYCLE_1)
	s_or_b32 s19, s19, s22
	s_or_b32 exec_lo, exec_lo, s20
	v_mov_b32_e32 v8, s21
	s_and_saveexec_b32 s20, s19
	s_cbranch_execnz .LBB23_57
	s_branch .LBB23_58
.LBB23_282:
	s_mov_b32 s19, -1
	s_mov_b32 s0, 0
	s_mov_b32 s18, s15
	s_branch .LBB23_287
.LBB23_283:
	s_mov_b32 s21, -1
	s_mov_b32 s19, 0
	s_mov_b32 s0, s14
	s_branch .LBB23_298
.LBB23_284:
	s_or_saveexec_b32 s20, s20
                                        ; implicit-def: $sgpr21
	s_delay_alu instid0(SALU_CYCLE_1)
	s_xor_b32 exec_lo, exec_lo, s20
	s_cbranch_execz .LBB23_69
.LBB23_285:
	v_add_f32_e64 v7, 0x42800000, |v6|
	s_and_not1_b32 s19, s19, exec_lo
	s_mov_b32 s21, 0
	s_delay_alu instid0(VALU_DEP_1) | instskip(NEXT) | instid1(VALU_DEP_1)
	v_and_b32_e32 v7, 0xff, v7
	v_cmp_ne_u32_e32 vcc_lo, 0, v7
	s_and_b32 s22, vcc_lo, exec_lo
	s_delay_alu instid0(SALU_CYCLE_1)
	s_or_b32 s19, s19, s22
	s_or_b32 exec_lo, exec_lo, s20
	v_mov_b32_e32 v8, s21
	s_and_saveexec_b32 s20, s19
	s_cbranch_execnz .LBB23_70
	s_branch .LBB23_71
.LBB23_286:
	s_mov_b32 s18, -1
	s_mov_b32 s0, 0
.LBB23_287:
                                        ; implicit-def: $vgpr4
.LBB23_288:
	s_and_b32 vcc_lo, exec_lo, s19
	s_cbranch_vccz .LBB23_404
; %bb.289:
	v_cmp_eq_u16_e32 vcc_lo, 44, v3
	s_cbranch_vccz .LBB23_403
; %bb.290:
	global_load_u8 v4, v[0:1], off
	s_mov_b32 s18, 0
	s_mov_b32 s0, -1
	s_waitcnt vmcnt(0)
	v_lshlrev_b32_e32 v5, 23, v4
	v_cmp_ne_u32_e32 vcc_lo, 0xff, v4
	s_delay_alu instid0(VALU_DEP_2) | instskip(NEXT) | instid1(VALU_DEP_1)
	v_cvt_f16_f32_e32 v5, v5
	v_cndmask_b32_e32 v5, 0x7e00, v5, vcc_lo
	v_cmp_ne_u32_e32 vcc_lo, 0, v4
	s_delay_alu instid0(VALU_DEP_2)
	v_cndmask_b32_e32 v4, 0, v5, vcc_lo
	s_branch .LBB23_404
.LBB23_291:
	s_mov_b32 s21, -1
	s_mov_b32 s19, 0
	s_mov_b32 s0, s14
.LBB23_292:
	s_and_b32 vcc_lo, exec_lo, s21
	s_cbranch_vccz .LBB23_297
; %bb.293:
	v_cmp_eq_u16_e32 vcc_lo, 44, v5
	s_mov_b32 s0, -1
	s_cbranch_vccz .LBB23_297
; %bb.294:
	v_cvt_f32_f16_e32 v6, v4
	v_mov_b32_e32 v7, 0xff
	s_mov_b32 s19, exec_lo
	s_delay_alu instid0(VALU_DEP_2) | instskip(NEXT) | instid1(VALU_DEP_1)
	v_bfe_u32 v8, v6, 23, 8
	v_cmpx_ne_u32_e32 0xff, v8
; %bb.295:
	v_and_b32_e32 v7, 0x400000, v6
	v_and_or_b32 v8, 0x3fffff, v6, v8
	v_lshrrev_b32_e32 v6, 23, v6
	s_delay_alu instid0(VALU_DEP_3) | instskip(NEXT) | instid1(VALU_DEP_3)
	v_cmp_ne_u32_e32 vcc_lo, 0, v7
	v_cmp_ne_u32_e64 s0, 0, v8
	s_delay_alu instid0(VALU_DEP_1) | instskip(NEXT) | instid1(SALU_CYCLE_1)
	s_and_b32 s0, vcc_lo, s0
	v_cndmask_b32_e64 v7, 0, 1, s0
	s_delay_alu instid0(VALU_DEP_1)
	v_add_nc_u32_e32 v7, v6, v7
; %bb.296:
	s_or_b32 exec_lo, exec_lo, s19
	s_mov_b32 s19, -1
	s_mov_b32 s0, 0
	global_store_b8 v[0:1], v7, off
.LBB23_297:
	s_mov_b32 s21, 0
.LBB23_298:
	s_delay_alu instid0(SALU_CYCLE_1)
	s_and_b32 vcc_lo, exec_lo, s21
	s_cbranch_vccz .LBB23_301
; %bb.299:
	v_cmp_eq_u16_e32 vcc_lo, 29, v5
	s_mov_b32 s0, -1
	s_cbranch_vccz .LBB23_301
; %bb.300:
	v_cvt_f32_f16_e32 v6, v4
	v_mov_b32_e32 v7, 0
	s_mov_b32 s0, 0
	s_mov_b32 s19, -1
	s_mov_b32 s21, 0
	v_cvt_u32_f32_e32 v6, v6
	global_store_b64 v[0:1], v[6:7], off
	s_branch .LBB23_302
.LBB23_301:
	s_mov_b32 s21, 0
.LBB23_302:
	s_delay_alu instid0(SALU_CYCLE_1)
	s_and_b32 vcc_lo, exec_lo, s21
	s_cbranch_vccz .LBB23_318
; %bb.303:
	v_cmp_gt_i16_e32 vcc_lo, 27, v5
	s_mov_b32 s19, -1
	s_cbranch_vccnz .LBB23_309
; %bb.304:
	v_cmp_lt_i16_e32 vcc_lo, 27, v5
	s_cbranch_vccz .LBB23_306
; %bb.305:
	v_cvt_f32_f16_e32 v6, v4
	s_mov_b32 s19, 0
	s_delay_alu instid0(VALU_DEP_1)
	v_cvt_u32_f32_e32 v6, v6
	global_store_b32 v[0:1], v6, off
.LBB23_306:
	s_and_not1_b32 vcc_lo, exec_lo, s19
	s_cbranch_vccnz .LBB23_308
; %bb.307:
	v_cvt_u16_f16_e32 v6, v4
	global_store_b16 v[0:1], v6, off
.LBB23_308:
	s_mov_b32 s19, 0
.LBB23_309:
	s_delay_alu instid0(SALU_CYCLE_1)
	s_and_not1_b32 vcc_lo, exec_lo, s19
	s_cbranch_vccnz .LBB23_317
; %bb.310:
	v_cvt_f32_f16_e32 v6, v4
	v_mov_b32_e32 v8, 0x80
	s_mov_b32 s19, exec_lo
	s_delay_alu instid0(VALU_DEP_2) | instskip(NEXT) | instid1(VALU_DEP_1)
	v_and_b32_e32 v7, 0x7fffffff, v6
	v_cmpx_gt_u32_e32 0x43800000, v7
	s_cbranch_execz .LBB23_316
; %bb.311:
	v_cmp_lt_u32_e32 vcc_lo, 0x3bffffff, v7
	s_mov_b32 s21, 0
                                        ; implicit-def: $vgpr7
	s_and_saveexec_b32 s22, vcc_lo
	s_delay_alu instid0(SALU_CYCLE_1)
	s_xor_b32 s22, exec_lo, s22
	s_cbranch_execz .LBB23_529
; %bb.312:
	v_bfe_u32 v7, v6, 20, 1
	s_mov_b32 s21, exec_lo
	s_delay_alu instid0(VALU_DEP_1) | instskip(NEXT) | instid1(VALU_DEP_1)
	v_add3_u32 v7, v6, v7, 0x487ffff
	v_lshrrev_b32_e32 v7, 20, v7
	s_or_saveexec_b32 s22, s22
                                        ; implicit-def: $sgpr23
	s_delay_alu instid0(SALU_CYCLE_1)
	s_xor_b32 exec_lo, exec_lo, s22
	s_cbranch_execnz .LBB23_530
.LBB23_313:
	s_or_b32 exec_lo, exec_lo, s22
	v_mov_b32_e32 v8, s23
	s_and_saveexec_b32 s22, s21
.LBB23_314:
	v_lshrrev_b32_e32 v6, 24, v6
	s_delay_alu instid0(VALU_DEP_1)
	v_and_or_b32 v8, 0x80, v6, v7
.LBB23_315:
	s_or_b32 exec_lo, exec_lo, s22
.LBB23_316:
	s_delay_alu instid0(SALU_CYCLE_1)
	s_or_b32 exec_lo, exec_lo, s19
	global_store_b8 v[0:1], v8, off
.LBB23_317:
	s_mov_b32 s19, -1
.LBB23_318:
	s_mov_b32 s21, 0
.LBB23_319:
	s_delay_alu instid0(SALU_CYCLE_1)
	s_and_b32 vcc_lo, exec_lo, s21
	s_cbranch_vccz .LBB23_360
; %bb.320:
	v_cmp_lt_i16_e32 vcc_lo, 22, v5
	s_mov_b32 s21, -1
	s_cbranch_vccz .LBB23_352
; %bb.321:
	v_cmp_gt_i16_e32 vcc_lo, 24, v5
	s_mov_b32 s19, -1
	s_cbranch_vccnz .LBB23_341
; %bb.322:
	v_cmp_lt_i16_e32 vcc_lo, 24, v5
	s_cbranch_vccz .LBB23_330
; %bb.323:
	v_cvt_f32_f16_e32 v6, v4
	v_mov_b32_e32 v8, 0x80
	s_mov_b32 s19, exec_lo
	s_delay_alu instid0(VALU_DEP_2) | instskip(NEXT) | instid1(VALU_DEP_1)
	v_and_b32_e32 v7, 0x7fffffff, v6
	v_cmpx_gt_u32_e32 0x47800000, v7
	s_cbranch_execz .LBB23_329
; %bb.324:
	v_cmp_lt_u32_e32 vcc_lo, 0x37ffffff, v7
	s_mov_b32 s21, 0
                                        ; implicit-def: $vgpr7
	s_and_saveexec_b32 s22, vcc_lo
	s_delay_alu instid0(SALU_CYCLE_1)
	s_xor_b32 s22, exec_lo, s22
	s_cbranch_execz .LBB23_532
; %bb.325:
	v_bfe_u32 v7, v6, 21, 1
	s_mov_b32 s21, exec_lo
	s_delay_alu instid0(VALU_DEP_1) | instskip(NEXT) | instid1(VALU_DEP_1)
	v_add3_u32 v7, v6, v7, 0x88fffff
	v_lshrrev_b32_e32 v7, 21, v7
	s_or_saveexec_b32 s22, s22
                                        ; implicit-def: $sgpr23
	s_delay_alu instid0(SALU_CYCLE_1)
	s_xor_b32 exec_lo, exec_lo, s22
	s_cbranch_execnz .LBB23_533
.LBB23_326:
	s_or_b32 exec_lo, exec_lo, s22
	v_mov_b32_e32 v8, s23
	s_and_saveexec_b32 s22, s21
.LBB23_327:
	v_lshrrev_b32_e32 v6, 24, v6
	s_delay_alu instid0(VALU_DEP_1)
	v_and_or_b32 v8, 0x80, v6, v7
.LBB23_328:
	s_or_b32 exec_lo, exec_lo, s22
.LBB23_329:
	s_delay_alu instid0(SALU_CYCLE_1)
	s_or_b32 exec_lo, exec_lo, s19
	s_mov_b32 s19, 0
	global_store_b8 v[0:1], v8, off
.LBB23_330:
	s_and_b32 vcc_lo, exec_lo, s19
	s_cbranch_vccz .LBB23_340
; %bb.331:
	v_cvt_f32_f16_e32 v6, v4
	s_mov_b32 s19, exec_lo
                                        ; implicit-def: $vgpr7
	s_delay_alu instid0(VALU_DEP_1) | instskip(NEXT) | instid1(VALU_DEP_1)
	v_and_b32_e32 v8, 0x7fffffff, v6
	v_cmpx_gt_u32_e32 0x43f00000, v8
	s_xor_b32 s19, exec_lo, s19
	s_cbranch_execz .LBB23_337
; %bb.332:
	s_mov_b32 s21, exec_lo
                                        ; implicit-def: $vgpr7
	v_cmpx_lt_u32_e32 0x3c7fffff, v8
	s_xor_b32 s21, exec_lo, s21
; %bb.333:
	v_bfe_u32 v7, v6, 20, 1
	s_delay_alu instid0(VALU_DEP_1) | instskip(NEXT) | instid1(VALU_DEP_1)
	v_add3_u32 v7, v6, v7, 0x407ffff
	v_and_b32_e32 v8, 0xff00000, v7
	v_lshrrev_b32_e32 v7, 20, v7
	s_delay_alu instid0(VALU_DEP_2) | instskip(NEXT) | instid1(VALU_DEP_2)
	v_cmp_ne_u32_e32 vcc_lo, 0x7f00000, v8
	v_cndmask_b32_e32 v7, 0x7e, v7, vcc_lo
; %bb.334:
	s_and_not1_saveexec_b32 s21, s21
; %bb.335:
	v_add_f32_e64 v7, 0x46800000, |v6|
; %bb.336:
	s_or_b32 exec_lo, exec_lo, s21
                                        ; implicit-def: $vgpr8
.LBB23_337:
	s_and_not1_saveexec_b32 s19, s19
; %bb.338:
	v_mov_b32_e32 v7, 0x7f
	v_cmp_lt_u32_e32 vcc_lo, 0x7f800000, v8
	s_delay_alu instid0(VALU_DEP_2)
	v_cndmask_b32_e32 v7, 0x7e, v7, vcc_lo
; %bb.339:
	s_or_b32 exec_lo, exec_lo, s19
	v_lshrrev_b32_e32 v6, 24, v6
	s_delay_alu instid0(VALU_DEP_1)
	v_and_or_b32 v6, 0x80, v6, v7
	global_store_b8 v[0:1], v6, off
.LBB23_340:
	s_mov_b32 s19, 0
.LBB23_341:
	s_delay_alu instid0(SALU_CYCLE_1)
	s_and_not1_b32 vcc_lo, exec_lo, s19
	s_cbranch_vccnz .LBB23_351
; %bb.342:
	v_cvt_f32_f16_e32 v6, v4
	s_mov_b32 s19, exec_lo
                                        ; implicit-def: $vgpr7
	s_delay_alu instid0(VALU_DEP_1) | instskip(NEXT) | instid1(VALU_DEP_1)
	v_and_b32_e32 v8, 0x7fffffff, v6
	v_cmpx_gt_u32_e32 0x47800000, v8
	s_xor_b32 s19, exec_lo, s19
	s_cbranch_execz .LBB23_348
; %bb.343:
	s_mov_b32 s21, exec_lo
                                        ; implicit-def: $vgpr7
	v_cmpx_lt_u32_e32 0x387fffff, v8
	s_xor_b32 s21, exec_lo, s21
; %bb.344:
	v_bfe_u32 v7, v6, 21, 1
	s_delay_alu instid0(VALU_DEP_1) | instskip(NEXT) | instid1(VALU_DEP_1)
	v_add3_u32 v7, v6, v7, 0x80fffff
	v_lshrrev_b32_e32 v7, 21, v7
; %bb.345:
	s_and_not1_saveexec_b32 s21, s21
; %bb.346:
	v_add_f32_e64 v7, 0x43000000, |v6|
; %bb.347:
	s_or_b32 exec_lo, exec_lo, s21
                                        ; implicit-def: $vgpr8
.LBB23_348:
	s_and_not1_saveexec_b32 s19, s19
; %bb.349:
	v_mov_b32_e32 v7, 0x7f
	v_cmp_lt_u32_e32 vcc_lo, 0x7f800000, v8
	s_delay_alu instid0(VALU_DEP_2)
	v_cndmask_b32_e32 v7, 0x7c, v7, vcc_lo
; %bb.350:
	s_or_b32 exec_lo, exec_lo, s19
	v_lshrrev_b32_e32 v6, 24, v6
	s_delay_alu instid0(VALU_DEP_1)
	v_and_or_b32 v6, 0x80, v6, v7
	global_store_b8 v[0:1], v6, off
.LBB23_351:
	s_mov_b32 s21, 0
	s_mov_b32 s19, -1
.LBB23_352:
	s_and_not1_b32 vcc_lo, exec_lo, s21
	s_cbranch_vccnz .LBB23_360
; %bb.353:
	v_cmp_lt_i16_e32 vcc_lo, 14, v5
	s_mov_b32 s21, -1
	s_cbranch_vccz .LBB23_357
; %bb.354:
	v_cmp_eq_u16_e32 vcc_lo, 15, v5
	s_mov_b32 s0, -1
	s_cbranch_vccz .LBB23_356
; %bb.355:
	v_cvt_f32_f16_e32 v6, v4
	v_cmp_o_f16_e32 vcc_lo, v4, v4
	s_mov_b32 s19, -1
	s_mov_b32 s0, 0
	s_delay_alu instid0(VALU_DEP_2) | instskip(NEXT) | instid1(VALU_DEP_1)
	v_bfe_u32 v7, v6, 16, 1
	v_add3_u32 v6, v6, v7, 0x7fff
	s_delay_alu instid0(VALU_DEP_1) | instskip(NEXT) | instid1(VALU_DEP_1)
	v_lshrrev_b32_e32 v6, 16, v6
	v_cndmask_b32_e32 v6, 0x7fc0, v6, vcc_lo
	global_store_b16 v[0:1], v6, off
.LBB23_356:
	s_mov_b32 s21, 0
.LBB23_357:
	s_delay_alu instid0(SALU_CYCLE_1)
	s_and_b32 vcc_lo, exec_lo, s21
	s_cbranch_vccz .LBB23_360
; %bb.358:
	v_cmp_eq_u16_e32 vcc_lo, 11, v5
	s_mov_b32 s0, -1
	s_cbranch_vccz .LBB23_360
; %bb.359:
	v_cmp_neq_f16_e32 vcc_lo, 0, v4
	s_mov_b32 s0, 0
	s_mov_b32 s19, -1
	v_cndmask_b32_e64 v6, 0, 1, vcc_lo
	global_store_b8 v[0:1], v6, off
.LBB23_360:
	s_mov_b32 s21, 0
.LBB23_361:
	s_delay_alu instid0(SALU_CYCLE_1)
	s_and_b32 vcc_lo, exec_lo, s21
	s_cbranch_vccz .LBB23_400
; %bb.362:
	v_cmp_gt_i16_e32 vcc_lo, 5, v5
	s_mov_b32 s19, -1
	s_cbranch_vccnz .LBB23_383
; %bb.363:
	v_cmp_gt_i16_e32 vcc_lo, 8, v5
	s_cbranch_vccnz .LBB23_373
; %bb.364:
	v_cmp_gt_i16_e32 vcc_lo, 9, v5
	s_cbranch_vccnz .LBB23_370
; %bb.365:
	v_cmp_lt_i16_e32 vcc_lo, 9, v5
	s_cbranch_vccz .LBB23_367
; %bb.366:
	v_cvt_f32_f16_e32 v6, v4
	v_mov_b32_e32 v8, 0
	s_mov_b32 s19, 0
	s_delay_alu instid0(VALU_DEP_2) | instskip(NEXT) | instid1(VALU_DEP_2)
	v_cvt_f64_f32_e32 v[6:7], v6
	v_mov_b32_e32 v9, v8
	global_store_b128 v[0:1], v[6:9], off
.LBB23_367:
	s_and_not1_b32 vcc_lo, exec_lo, s19
	s_cbranch_vccnz .LBB23_369
; %bb.368:
	v_cvt_f32_f16_e32 v6, v4
	v_mov_b32_e32 v7, 0
	global_store_b64 v[0:1], v[6:7], off
.LBB23_369:
	s_mov_b32 s19, 0
.LBB23_370:
	s_delay_alu instid0(SALU_CYCLE_1)
	s_and_not1_b32 vcc_lo, exec_lo, s19
	s_cbranch_vccnz .LBB23_372
; %bb.371:
	v_and_b32_e32 v6, 0xffff, v4
	global_store_b32 v[0:1], v6, off
.LBB23_372:
	s_mov_b32 s19, 0
.LBB23_373:
	s_delay_alu instid0(SALU_CYCLE_1)
	s_and_not1_b32 vcc_lo, exec_lo, s19
	s_cbranch_vccnz .LBB23_382
; %bb.374:
	v_cmp_gt_i16_e32 vcc_lo, 6, v5
	s_mov_b32 s19, -1
	s_cbranch_vccnz .LBB23_380
; %bb.375:
	v_cmp_lt_i16_e32 vcc_lo, 6, v5
	s_cbranch_vccz .LBB23_377
; %bb.376:
	v_cvt_f32_f16_e32 v6, v4
	s_mov_b32 s19, 0
	s_delay_alu instid0(VALU_DEP_1)
	v_cvt_f64_f32_e32 v[6:7], v6
	global_store_b64 v[0:1], v[6:7], off
.LBB23_377:
	s_and_not1_b32 vcc_lo, exec_lo, s19
	s_cbranch_vccnz .LBB23_379
; %bb.378:
	v_cvt_f32_f16_e32 v6, v4
	global_store_b32 v[0:1], v6, off
.LBB23_379:
	s_mov_b32 s19, 0
.LBB23_380:
	s_delay_alu instid0(SALU_CYCLE_1)
	s_and_not1_b32 vcc_lo, exec_lo, s19
	s_cbranch_vccnz .LBB23_382
; %bb.381:
	global_store_b16 v[0:1], v4, off
.LBB23_382:
	s_mov_b32 s19, 0
.LBB23_383:
	s_delay_alu instid0(SALU_CYCLE_1)
	s_and_not1_b32 vcc_lo, exec_lo, s19
	s_cbranch_vccnz .LBB23_399
; %bb.384:
	v_cmp_gt_i16_e32 vcc_lo, 2, v5
	s_mov_b32 s19, -1
	s_cbranch_vccnz .LBB23_394
; %bb.385:
	v_cmp_gt_i16_e32 vcc_lo, 3, v5
	s_cbranch_vccnz .LBB23_391
; %bb.386:
	v_cmp_lt_i16_e32 vcc_lo, 3, v5
	s_cbranch_vccz .LBB23_388
; %bb.387:
	v_cvt_f32_f16_e32 v6, v4
	s_mov_b32 s19, 0
	s_delay_alu instid0(VALU_DEP_1) | instskip(NEXT) | instid1(VALU_DEP_1)
	v_cvt_i32_f32_e32 v6, v6
	v_ashrrev_i32_e32 v7, 31, v6
	global_store_b64 v[0:1], v[6:7], off
.LBB23_388:
	s_and_not1_b32 vcc_lo, exec_lo, s19
	s_cbranch_vccnz .LBB23_390
; %bb.389:
	v_cvt_f32_f16_e32 v6, v4
	s_delay_alu instid0(VALU_DEP_1)
	v_cvt_i32_f32_e32 v6, v6
	global_store_b32 v[0:1], v6, off
.LBB23_390:
	s_mov_b32 s19, 0
.LBB23_391:
	s_delay_alu instid0(SALU_CYCLE_1)
	s_and_not1_b32 vcc_lo, exec_lo, s19
	s_cbranch_vccnz .LBB23_393
; %bb.392:
	v_cvt_i16_f16_e32 v6, v4
	global_store_b16 v[0:1], v6, off
.LBB23_393:
	s_mov_b32 s19, 0
.LBB23_394:
	s_delay_alu instid0(SALU_CYCLE_1)
	s_and_not1_b32 vcc_lo, exec_lo, s19
	s_cbranch_vccnz .LBB23_399
; %bb.395:
	v_cmp_lt_i16_e32 vcc_lo, 0, v5
	s_mov_b32 s19, -1
	s_cbranch_vccz .LBB23_397
; %bb.396:
	v_cvt_i16_f16_e32 v5, v4
	s_mov_b32 s19, 0
	global_store_b8 v[0:1], v5, off
.LBB23_397:
	s_and_not1_b32 vcc_lo, exec_lo, s19
	s_cbranch_vccnz .LBB23_399
; %bb.398:
	v_cvt_f32_f16_e32 v4, v4
	s_delay_alu instid0(VALU_DEP_1)
	v_cvt_i32_f32_e32 v4, v4
	global_store_b8 v[0:1], v4, off
.LBB23_399:
	s_mov_b32 s19, -1
.LBB23_400:
	s_delay_alu instid0(SALU_CYCLE_1)
	s_and_not1_b32 vcc_lo, exec_lo, s19
	s_cbranch_vccnz .LBB23_402
; %bb.401:
	v_add_nc_u32_e32 v2, 0x80, v2
	s_mov_b32 s21, -1
	s_branch .LBB23_515
.LBB23_402:
	s_mov_b32 s21, 0
	s_branch .LBB23_514
.LBB23_403:
	s_mov_b32 s18, -1
                                        ; implicit-def: $vgpr4
.LBB23_404:
	s_mov_b32 s19, 0
.LBB23_405:
	s_delay_alu instid0(SALU_CYCLE_1)
	s_and_b32 vcc_lo, exec_lo, s19
	s_cbranch_vccz .LBB23_409
; %bb.406:
	v_cmp_eq_u16_e32 vcc_lo, 29, v3
	s_cbranch_vccz .LBB23_408
; %bb.407:
	global_load_b64 v[4:5], v[0:1], off
	s_mov_b32 s0, -1
	s_mov_b32 s18, 0
	s_mov_b32 s19, 0
	s_waitcnt vmcnt(0)
	v_clz_i32_u32_e32 v6, v5
	s_delay_alu instid0(VALU_DEP_1) | instskip(NEXT) | instid1(VALU_DEP_1)
	v_min_u32_e32 v6, 32, v6
	v_lshlrev_b64 v[4:5], v6, v[4:5]
	s_delay_alu instid0(VALU_DEP_1) | instskip(NEXT) | instid1(VALU_DEP_1)
	v_min_u32_e32 v4, 1, v4
	v_or_b32_e32 v4, v5, v4
	v_sub_nc_u32_e32 v5, 32, v6
	s_delay_alu instid0(VALU_DEP_2) | instskip(NEXT) | instid1(VALU_DEP_1)
	v_cvt_f32_u32_e32 v4, v4
	v_ldexp_f32 v4, v4, v5
	s_delay_alu instid0(VALU_DEP_1)
	v_cvt_f16_f32_e32 v4, v4
	s_branch .LBB23_410
.LBB23_408:
	s_mov_b32 s18, -1
                                        ; implicit-def: $vgpr4
.LBB23_409:
	s_mov_b32 s19, 0
.LBB23_410:
	s_delay_alu instid0(SALU_CYCLE_1)
	s_and_b32 vcc_lo, exec_lo, s19
	s_cbranch_vccz .LBB23_428
; %bb.411:
	v_cmp_gt_i16_e32 vcc_lo, 27, v3
	s_cbranch_vccnz .LBB23_414
; %bb.412:
	v_cmp_lt_i16_e32 vcc_lo, 27, v3
	s_cbranch_vccz .LBB23_415
; %bb.413:
	global_load_b32 v4, v[0:1], off
	s_mov_b32 s0, 0
	s_waitcnt vmcnt(0)
	v_cvt_f32_u32_e32 v4, v4
	s_delay_alu instid0(VALU_DEP_1)
	v_cvt_f16_f32_e32 v4, v4
	s_branch .LBB23_416
.LBB23_414:
	s_mov_b32 s0, -1
                                        ; implicit-def: $vgpr4
	s_branch .LBB23_419
.LBB23_415:
	s_mov_b32 s0, -1
                                        ; implicit-def: $vgpr4
.LBB23_416:
	s_delay_alu instid0(SALU_CYCLE_1)
	s_and_not1_b32 vcc_lo, exec_lo, s0
	s_cbranch_vccnz .LBB23_418
; %bb.417:
	global_load_u16 v4, v[0:1], off
	s_waitcnt vmcnt(0)
	v_cvt_f16_u16_e32 v4, v4
.LBB23_418:
	s_mov_b32 s0, 0
.LBB23_419:
	s_delay_alu instid0(SALU_CYCLE_1)
	s_and_not1_b32 vcc_lo, exec_lo, s0
	s_cbranch_vccnz .LBB23_427
; %bb.420:
	global_load_u8 v5, v[0:1], off
	s_mov_b32 s0, 0
	s_mov_b32 s21, exec_lo
                                        ; implicit-def: $sgpr19
	s_waitcnt vmcnt(0)
	v_cmpx_lt_i16_e32 0x7f, v5
	s_xor_b32 s21, exec_lo, s21
	s_cbranch_execz .LBB23_441
; %bb.421:
	s_mov_b32 s0, -1
	s_mov_b32 s22, exec_lo
                                        ; implicit-def: $sgpr19
	v_cmpx_eq_u16_e32 0x80, v5
; %bb.422:
	s_movk_i32 s19, 0x7e00
	s_xor_b32 s0, exec_lo, -1
; %bb.423:
	s_or_b32 exec_lo, exec_lo, s22
	s_delay_alu instid0(SALU_CYCLE_1)
	s_and_b32 s0, s0, exec_lo
	s_or_saveexec_b32 s21, s21
	v_mov_b32_e32 v4, s19
	s_xor_b32 exec_lo, exec_lo, s21
	s_cbranch_execnz .LBB23_442
.LBB23_424:
	s_or_b32 exec_lo, exec_lo, s21
	s_and_saveexec_b32 s19, s0
	s_cbranch_execz .LBB23_426
.LBB23_425:
	v_and_b32_e32 v4, 0xffff, v5
	s_delay_alu instid0(VALU_DEP_1) | instskip(NEXT) | instid1(VALU_DEP_1)
	v_and_b32_e32 v6, 7, v4
	v_clz_i32_u32_e32 v7, v6
	s_delay_alu instid0(VALU_DEP_1) | instskip(NEXT) | instid1(VALU_DEP_1)
	v_min_u32_e32 v7, 32, v7
	v_subrev_nc_u32_e32 v8, 28, v7
	v_sub_nc_u32_e32 v7, 29, v7
	s_delay_alu instid0(VALU_DEP_2) | instskip(SKIP_1) | instid1(VALU_DEP_2)
	v_lshlrev_b32_e32 v8, v8, v4
	v_bfe_u32 v4, v4, 3, 4
	v_and_b32_e32 v8, 7, v8
	s_delay_alu instid0(VALU_DEP_2) | instskip(SKIP_1) | instid1(VALU_DEP_1)
	v_cmp_eq_u32_e32 vcc_lo, 0, v4
	v_dual_cndmask_b32 v4, v4, v7 :: v_dual_lshlrev_b32 v5, 24, v5
	v_dual_cndmask_b32 v6, v6, v8 :: v_dual_and_b32 v5, 0x80000000, v5
	s_delay_alu instid0(VALU_DEP_2) | instskip(NEXT) | instid1(VALU_DEP_2)
	v_lshl_add_u32 v4, v4, 23, 0x3b800000
	v_lshlrev_b32_e32 v6, 20, v6
	s_delay_alu instid0(VALU_DEP_1) | instskip(NEXT) | instid1(VALU_DEP_1)
	v_or3_b32 v4, v5, v4, v6
	v_cvt_f16_f32_e32 v4, v4
.LBB23_426:
	s_or_b32 exec_lo, exec_lo, s19
.LBB23_427:
	s_mov_b32 s0, -1
.LBB23_428:
	s_mov_b32 s19, 0
.LBB23_429:
	s_delay_alu instid0(SALU_CYCLE_1)
	s_and_b32 vcc_lo, exec_lo, s19
	s_cbranch_vccz .LBB23_464
; %bb.430:
	v_cmp_lt_i16_e32 vcc_lo, 22, v3
	s_cbranch_vccz .LBB23_440
; %bb.431:
	v_cmp_gt_i16_e32 vcc_lo, 24, v3
	s_cbranch_vccnz .LBB23_443
; %bb.432:
	v_cmp_lt_i16_e32 vcc_lo, 24, v3
	s_cbranch_vccz .LBB23_444
; %bb.433:
	global_load_u8 v5, v[0:1], off
	s_mov_b32 s0, 0
	s_mov_b32 s21, exec_lo
                                        ; implicit-def: $sgpr19
	s_waitcnt vmcnt(0)
	v_cmpx_lt_i16_e32 0x7f, v5
	s_xor_b32 s21, exec_lo, s21
	s_cbranch_execz .LBB23_456
; %bb.434:
	s_mov_b32 s0, -1
	s_mov_b32 s22, exec_lo
                                        ; implicit-def: $sgpr19
	v_cmpx_eq_u16_e32 0x80, v5
; %bb.435:
	s_movk_i32 s19, 0x7e00
	s_xor_b32 s0, exec_lo, -1
; %bb.436:
	s_or_b32 exec_lo, exec_lo, s22
	s_delay_alu instid0(SALU_CYCLE_1)
	s_and_b32 s0, s0, exec_lo
	s_or_saveexec_b32 s21, s21
	v_mov_b32_e32 v4, s19
	s_xor_b32 exec_lo, exec_lo, s21
	s_cbranch_execnz .LBB23_457
.LBB23_437:
	s_or_b32 exec_lo, exec_lo, s21
	s_and_saveexec_b32 s19, s0
	s_cbranch_execz .LBB23_439
.LBB23_438:
	v_and_b32_e32 v4, 0xffff, v5
	s_delay_alu instid0(VALU_DEP_1) | instskip(NEXT) | instid1(VALU_DEP_1)
	v_and_b32_e32 v6, 3, v4
	v_clz_i32_u32_e32 v7, v6
	s_delay_alu instid0(VALU_DEP_1) | instskip(NEXT) | instid1(VALU_DEP_1)
	v_min_u32_e32 v7, 32, v7
	v_subrev_nc_u32_e32 v8, 29, v7
	v_sub_nc_u32_e32 v7, 30, v7
	s_delay_alu instid0(VALU_DEP_2) | instskip(SKIP_1) | instid1(VALU_DEP_2)
	v_lshlrev_b32_e32 v8, v8, v4
	v_bfe_u32 v4, v4, 2, 5
	v_and_b32_e32 v8, 3, v8
	s_delay_alu instid0(VALU_DEP_2) | instskip(SKIP_1) | instid1(VALU_DEP_1)
	v_cmp_eq_u32_e32 vcc_lo, 0, v4
	v_dual_cndmask_b32 v4, v4, v7 :: v_dual_lshlrev_b32 v5, 24, v5
	v_dual_cndmask_b32 v6, v6, v8 :: v_dual_and_b32 v5, 0x80000000, v5
	s_delay_alu instid0(VALU_DEP_2) | instskip(NEXT) | instid1(VALU_DEP_2)
	v_lshl_add_u32 v4, v4, 23, 0x37800000
	v_lshlrev_b32_e32 v6, 21, v6
	s_delay_alu instid0(VALU_DEP_1) | instskip(NEXT) | instid1(VALU_DEP_1)
	v_or3_b32 v4, v5, v4, v6
	v_cvt_f16_f32_e32 v4, v4
.LBB23_439:
	s_or_b32 exec_lo, exec_lo, s19
	s_mov_b32 s0, 0
	s_branch .LBB23_445
.LBB23_440:
	s_mov_b32 s19, -1
                                        ; implicit-def: $vgpr4
	s_branch .LBB23_451
.LBB23_441:
	s_or_saveexec_b32 s21, s21
	v_mov_b32_e32 v4, s19
	s_xor_b32 exec_lo, exec_lo, s21
	s_cbranch_execz .LBB23_424
.LBB23_442:
	v_cmp_ne_u16_e32 vcc_lo, 0, v5
	v_mov_b32_e32 v4, v5
	s_and_not1_b32 s0, s0, exec_lo
	s_and_b32 s19, vcc_lo, exec_lo
	s_delay_alu instid0(SALU_CYCLE_1)
	s_or_b32 s0, s0, s19
	s_or_b32 exec_lo, exec_lo, s21
	s_and_saveexec_b32 s19, s0
	s_cbranch_execnz .LBB23_425
	s_branch .LBB23_426
.LBB23_443:
	s_mov_b32 s0, -1
                                        ; implicit-def: $vgpr4
	s_branch .LBB23_448
.LBB23_444:
	s_mov_b32 s0, -1
                                        ; implicit-def: $vgpr4
.LBB23_445:
	s_delay_alu instid0(SALU_CYCLE_1)
	s_and_b32 vcc_lo, exec_lo, s0
	s_cbranch_vccz .LBB23_447
; %bb.446:
	global_load_u8 v4, v[0:1], off
	s_waitcnt vmcnt(0)
	v_lshlrev_b32_e32 v4, 24, v4
	s_delay_alu instid0(VALU_DEP_1) | instskip(NEXT) | instid1(VALU_DEP_1)
	v_and_b32_e32 v5, 0x7f000000, v4
	v_clz_i32_u32_e32 v6, v5
	v_add_nc_u32_e32 v8, 0x1000000, v5
	v_cmp_ne_u32_e32 vcc_lo, 0, v5
	s_delay_alu instid0(VALU_DEP_3) | instskip(NEXT) | instid1(VALU_DEP_1)
	v_min_u32_e32 v6, 32, v6
	v_sub_nc_u32_e64 v6, v6, 4 clamp
	s_delay_alu instid0(VALU_DEP_1) | instskip(SKIP_1) | instid1(VALU_DEP_2)
	v_lshlrev_b32_e32 v7, v6, v5
	v_lshlrev_b32_e32 v6, 23, v6
	v_lshrrev_b32_e32 v7, 4, v7
	s_delay_alu instid0(VALU_DEP_1) | instskip(SKIP_1) | instid1(VALU_DEP_2)
	v_sub_nc_u32_e32 v6, v7, v6
	v_ashrrev_i32_e32 v7, 8, v8
	v_add_nc_u32_e32 v6, 0x3c000000, v6
	s_delay_alu instid0(VALU_DEP_1) | instskip(NEXT) | instid1(VALU_DEP_1)
	v_and_or_b32 v6, 0x7f800000, v7, v6
	v_cndmask_b32_e32 v5, 0, v6, vcc_lo
	s_delay_alu instid0(VALU_DEP_1) | instskip(NEXT) | instid1(VALU_DEP_1)
	v_and_or_b32 v4, 0x80000000, v4, v5
	v_cvt_f16_f32_e32 v4, v4
.LBB23_447:
	s_mov_b32 s0, 0
.LBB23_448:
	s_delay_alu instid0(SALU_CYCLE_1)
	s_and_not1_b32 vcc_lo, exec_lo, s0
	s_cbranch_vccnz .LBB23_450
; %bb.449:
	global_load_u8 v4, v[0:1], off
	s_waitcnt vmcnt(0)
	v_lshlrev_b32_e32 v5, 25, v4
	v_lshlrev_b16 v4, 8, v4
	s_delay_alu instid0(VALU_DEP_2) | instskip(NEXT) | instid1(VALU_DEP_2)
	v_lshrrev_b32_e32 v6, 4, v5
	v_and_or_b32 v7, 0x7f00, v4, 0.5
	v_bfe_i32 v4, v4, 0, 16
	s_delay_alu instid0(VALU_DEP_3) | instskip(NEXT) | instid1(VALU_DEP_1)
	v_or_b32_e32 v6, 0x70000000, v6
	v_dual_add_f32 v7, -0.5, v7 :: v_dual_mul_f32 v6, 0x7800000, v6
	v_cmp_gt_u32_e32 vcc_lo, 0x8000000, v5
	s_delay_alu instid0(VALU_DEP_2) | instskip(NEXT) | instid1(VALU_DEP_1)
	v_cndmask_b32_e32 v5, v6, v7, vcc_lo
	v_and_or_b32 v4, 0x80000000, v4, v5
	s_delay_alu instid0(VALU_DEP_1)
	v_cvt_f16_f32_e32 v4, v4
.LBB23_450:
	s_mov_b32 s19, 0
	s_mov_b32 s0, -1
.LBB23_451:
	s_and_not1_b32 vcc_lo, exec_lo, s19
	s_cbranch_vccnz .LBB23_464
; %bb.452:
	v_cmp_lt_i16_e32 vcc_lo, 14, v3
	s_cbranch_vccz .LBB23_455
; %bb.453:
	v_cmp_eq_u16_e32 vcc_lo, 15, v3
	s_cbranch_vccz .LBB23_458
; %bb.454:
	global_load_u16 v4, v[0:1], off
	s_mov_b32 s0, -1
	s_mov_b32 s18, 0
	s_waitcnt vmcnt(0)
	v_lshlrev_b32_e32 v4, 16, v4
	s_delay_alu instid0(VALU_DEP_1)
	v_cvt_f16_f32_e32 v4, v4
	s_branch .LBB23_459
.LBB23_455:
	s_mov_b32 s19, -1
                                        ; implicit-def: $vgpr4
	s_branch .LBB23_460
.LBB23_456:
	s_or_saveexec_b32 s21, s21
	v_mov_b32_e32 v4, s19
	s_xor_b32 exec_lo, exec_lo, s21
	s_cbranch_execz .LBB23_437
.LBB23_457:
	v_cmp_ne_u16_e32 vcc_lo, 0, v5
	v_mov_b32_e32 v4, v5
	s_and_not1_b32 s0, s0, exec_lo
	s_and_b32 s19, vcc_lo, exec_lo
	s_delay_alu instid0(SALU_CYCLE_1)
	s_or_b32 s0, s0, s19
	s_or_b32 exec_lo, exec_lo, s21
	s_and_saveexec_b32 s19, s0
	s_cbranch_execnz .LBB23_438
	s_branch .LBB23_439
.LBB23_458:
	s_mov_b32 s18, -1
                                        ; implicit-def: $vgpr4
.LBB23_459:
	s_mov_b32 s19, 0
.LBB23_460:
	s_delay_alu instid0(SALU_CYCLE_1)
	s_and_b32 vcc_lo, exec_lo, s19
	s_cbranch_vccz .LBB23_464
; %bb.461:
	v_cmp_eq_u16_e32 vcc_lo, 11, v3
	s_cbranch_vccz .LBB23_463
; %bb.462:
	global_load_u8 v4, v[0:1], off
	s_mov_b32 s18, 0
	s_mov_b32 s0, -1
	s_waitcnt vmcnt(0)
	v_cmp_ne_u16_e32 vcc_lo, 0, v4
	v_cndmask_b32_e64 v4, 0, 0x3c00, vcc_lo
	s_branch .LBB23_464
.LBB23_463:
	s_mov_b32 s18, -1
                                        ; implicit-def: $vgpr4
.LBB23_464:
	s_branch .LBB23_264
.LBB23_465:
	v_cmp_gt_i16_e32 vcc_lo, 5, v3
	s_cbranch_vccnz .LBB23_470
; %bb.466:
	v_cmp_gt_i16_e32 vcc_lo, 8, v3
	s_cbranch_vccnz .LBB23_471
; %bb.467:
	;; [unrolled: 3-line block ×3, first 2 shown]
	v_cmp_lt_i16_e32 vcc_lo, 9, v3
	s_cbranch_vccz .LBB23_473
; %bb.469:
	global_load_b64 v[4:5], v[0:1], off
	s_mov_b32 s0, 0
	s_waitcnt vmcnt(0)
	v_cvt_f32_f64_e32 v4, v[4:5]
	s_delay_alu instid0(VALU_DEP_1)
	v_cvt_f16_f32_e32 v4, v4
	s_branch .LBB23_474
.LBB23_470:
	s_mov_b32 s0, -1
                                        ; implicit-def: $vgpr4
	s_branch .LBB23_492
.LBB23_471:
	s_mov_b32 s0, -1
                                        ; implicit-def: $vgpr4
	s_branch .LBB23_480
.LBB23_472:
	s_mov_b32 s0, -1
                                        ; implicit-def: $vgpr4
	s_branch .LBB23_477
.LBB23_473:
	s_mov_b32 s0, -1
                                        ; implicit-def: $vgpr4
.LBB23_474:
	s_delay_alu instid0(SALU_CYCLE_1)
	s_and_not1_b32 vcc_lo, exec_lo, s0
	s_cbranch_vccnz .LBB23_476
; %bb.475:
	global_load_b32 v4, v[0:1], off
	s_waitcnt vmcnt(0)
	v_cvt_f16_f32_e32 v4, v4
.LBB23_476:
	s_mov_b32 s0, 0
.LBB23_477:
	s_delay_alu instid0(SALU_CYCLE_1)
	s_and_not1_b32 vcc_lo, exec_lo, s0
	s_cbranch_vccnz .LBB23_479
; %bb.478:
	global_load_b32 v4, v[0:1], off
.LBB23_479:
	s_mov_b32 s0, 0
.LBB23_480:
	s_delay_alu instid0(SALU_CYCLE_1)
	s_and_not1_b32 vcc_lo, exec_lo, s0
	s_cbranch_vccnz .LBB23_491
; %bb.481:
	v_cmp_gt_i16_e32 vcc_lo, 6, v3
	s_cbranch_vccnz .LBB23_484
; %bb.482:
	v_cmp_lt_i16_e32 vcc_lo, 6, v3
	s_cbranch_vccz .LBB23_485
; %bb.483:
	global_load_b64 v[4:5], v[0:1], off
	s_mov_b32 s0, 0
	s_waitcnt vmcnt(0)
	v_cvt_f32_f64_e32 v4, v[4:5]
	s_delay_alu instid0(VALU_DEP_1)
	v_cvt_f16_f32_e32 v4, v4
	s_branch .LBB23_486
.LBB23_484:
	s_mov_b32 s0, -1
                                        ; implicit-def: $vgpr4
	s_branch .LBB23_489
.LBB23_485:
	s_mov_b32 s0, -1
                                        ; implicit-def: $vgpr4
.LBB23_486:
	s_delay_alu instid0(SALU_CYCLE_1)
	s_and_not1_b32 vcc_lo, exec_lo, s0
	s_cbranch_vccnz .LBB23_488
; %bb.487:
	global_load_b32 v4, v[0:1], off
	s_waitcnt vmcnt(0)
	v_cvt_f16_f32_e32 v4, v4
.LBB23_488:
	s_mov_b32 s0, 0
.LBB23_489:
	s_delay_alu instid0(SALU_CYCLE_1)
	s_and_not1_b32 vcc_lo, exec_lo, s0
	s_cbranch_vccnz .LBB23_491
; %bb.490:
	global_load_u16 v4, v[0:1], off
.LBB23_491:
	s_mov_b32 s0, 0
.LBB23_492:
	s_delay_alu instid0(SALU_CYCLE_1)
	s_and_not1_b32 vcc_lo, exec_lo, s0
	s_cbranch_vccnz .LBB23_512
; %bb.493:
	v_cmp_gt_i16_e32 vcc_lo, 2, v3
	s_cbranch_vccnz .LBB23_497
; %bb.494:
	v_cmp_gt_i16_e32 vcc_lo, 3, v3
	s_cbranch_vccnz .LBB23_498
; %bb.495:
	v_cmp_lt_i16_e32 vcc_lo, 3, v3
	s_cbranch_vccz .LBB23_499
; %bb.496:
	global_load_b64 v[4:5], v[0:1], off
	s_mov_b32 s0, 0
	s_waitcnt vmcnt(0)
	v_xor_b32_e32 v6, v4, v5
	v_cls_i32_e32 v7, v5
	s_delay_alu instid0(VALU_DEP_2) | instskip(NEXT) | instid1(VALU_DEP_2)
	v_ashrrev_i32_e32 v6, 31, v6
	v_add_nc_u32_e32 v7, -1, v7
	s_delay_alu instid0(VALU_DEP_2) | instskip(NEXT) | instid1(VALU_DEP_1)
	v_add_nc_u32_e32 v6, 32, v6
	v_min_u32_e32 v6, v7, v6
	s_delay_alu instid0(VALU_DEP_1) | instskip(NEXT) | instid1(VALU_DEP_1)
	v_lshlrev_b64 v[4:5], v6, v[4:5]
	v_min_u32_e32 v4, 1, v4
	s_delay_alu instid0(VALU_DEP_1) | instskip(SKIP_1) | instid1(VALU_DEP_2)
	v_or_b32_e32 v4, v5, v4
	v_sub_nc_u32_e32 v5, 32, v6
	v_cvt_f32_i32_e32 v4, v4
	s_delay_alu instid0(VALU_DEP_1) | instskip(NEXT) | instid1(VALU_DEP_1)
	v_ldexp_f32 v4, v4, v5
	v_cvt_f16_f32_e32 v4, v4
	s_branch .LBB23_500
.LBB23_497:
	s_mov_b32 s0, -1
                                        ; implicit-def: $vgpr4
	s_branch .LBB23_506
.LBB23_498:
	s_mov_b32 s0, -1
                                        ; implicit-def: $vgpr4
	s_branch .LBB23_503
.LBB23_499:
	s_mov_b32 s0, -1
                                        ; implicit-def: $vgpr4
.LBB23_500:
	s_delay_alu instid0(SALU_CYCLE_1)
	s_and_not1_b32 vcc_lo, exec_lo, s0
	s_cbranch_vccnz .LBB23_502
; %bb.501:
	global_load_b32 v4, v[0:1], off
	s_waitcnt vmcnt(0)
	v_cvt_f32_i32_e32 v4, v4
	s_delay_alu instid0(VALU_DEP_1)
	v_cvt_f16_f32_e32 v4, v4
.LBB23_502:
	s_mov_b32 s0, 0
.LBB23_503:
	s_delay_alu instid0(SALU_CYCLE_1)
	s_and_not1_b32 vcc_lo, exec_lo, s0
	s_cbranch_vccnz .LBB23_505
; %bb.504:
	global_load_u16 v4, v[0:1], off
	s_waitcnt vmcnt(0)
	v_cvt_f16_i16_e32 v4, v4
.LBB23_505:
	s_mov_b32 s0, 0
.LBB23_506:
	s_delay_alu instid0(SALU_CYCLE_1)
	s_and_not1_b32 vcc_lo, exec_lo, s0
	s_cbranch_vccnz .LBB23_512
; %bb.507:
	v_cmp_lt_i16_e32 vcc_lo, 0, v3
	s_mov_b32 s0, 0
	s_cbranch_vccz .LBB23_509
; %bb.508:
	global_load_i8 v4, v[0:1], off
	s_waitcnt vmcnt(0)
	v_cvt_f16_i16_e32 v4, v4
	s_branch .LBB23_510
.LBB23_509:
	s_mov_b32 s0, -1
                                        ; implicit-def: $vgpr4
.LBB23_510:
	s_delay_alu instid0(SALU_CYCLE_1)
	s_and_not1_b32 vcc_lo, exec_lo, s0
	s_cbranch_vccnz .LBB23_512
; %bb.511:
	global_load_u8 v0, v[0:1], off
	s_waitcnt vmcnt(0)
	v_cvt_f16_u16_e32 v4, v0
.LBB23_512:
	s_branch .LBB23_265
.LBB23_513:
	s_mov_b32 s21, 0
	s_mov_b32 s0, s14
.LBB23_514:
                                        ; implicit-def: $vgpr2
.LBB23_515:
	s_and_not1_b32 s19, s14, exec_lo
	s_and_b32 s0, s0, exec_lo
	s_and_not1_b32 s22, s15, exec_lo
	s_and_b32 s18, s18, exec_lo
	s_or_b32 s19, s19, s0
	s_or_b32 s18, s22, s18
	s_or_not1_b32 s22, s21, exec_lo
.LBB23_516:
	s_or_b32 exec_lo, exec_lo, s20
	s_mov_b32 s21, 0
	s_mov_b32 s23, 0
	;; [unrolled: 1-line block ×3, first 2 shown]
                                        ; implicit-def: $vgpr0_vgpr1
                                        ; implicit-def: $vgpr5
	s_and_saveexec_b32 s20, s22
	s_cbranch_execz .LBB23_865
; %bb.517:
	s_mov_b32 s0, -1
	s_mov_b32 s22, s18
	s_mov_b32 s23, s19
	s_mov_b32 s21, exec_lo
	v_cmpx_gt_i32_e64 s16, v2
	s_cbranch_execz .LBB23_779
; %bb.518:
	v_mul_lo_u32 v0, v2, s3
	v_cmp_gt_i16_e32 vcc_lo, 11, v3
	s_delay_alu instid0(VALU_DEP_2) | instskip(SKIP_1) | instid1(VALU_DEP_1)
	v_ashrrev_i32_e32 v1, 31, v0
	v_add_co_u32 v0, s0, s6, v0
	v_add_co_ci_u32_e64 v1, s0, s7, v1, s0
	s_cbranch_vccnz .LBB23_525
; %bb.519:
	v_cmp_lt_i16_e32 vcc_lo, 25, v3
	s_cbranch_vccz .LBB23_526
; %bb.520:
	v_cmp_lt_i16_e32 vcc_lo, 28, v3
	s_cbranch_vccz .LBB23_527
	;; [unrolled: 3-line block ×4, first 2 shown]
; %bb.523:
	v_cmp_eq_u16_e32 vcc_lo, 46, v3
	s_mov_b32 s23, 0
	s_cbranch_vccz .LBB23_534
; %bb.524:
	global_load_b32 v4, v[0:1], off
	s_mov_b32 s0, -1
	s_mov_b32 s22, 0
	s_waitcnt vmcnt(0)
	v_lshlrev_b32_e32 v4, 16, v4
	s_delay_alu instid0(VALU_DEP_1)
	v_cvt_f16_f32_e32 v4, v4
	s_branch .LBB23_536
.LBB23_525:
	s_mov_b32 s23, -1
	s_mov_b32 s0, 0
	s_mov_b32 s22, s18
                                        ; implicit-def: $vgpr4
	s_branch .LBB23_601
.LBB23_526:
	s_mov_b32 s23, -1
	s_mov_b32 s0, 0
	s_mov_b32 s22, s18
                                        ; implicit-def: $vgpr4
	s_branch .LBB23_565
.LBB23_527:
	s_mov_b32 s23, -1
	s_mov_b32 s0, 0
	s_mov_b32 s22, s18
                                        ; implicit-def: $vgpr4
	s_branch .LBB23_546
.LBB23_528:
	s_mov_b32 s23, -1
	s_mov_b32 s0, 0
	s_mov_b32 s22, s18
                                        ; implicit-def: $vgpr4
	s_branch .LBB23_541
.LBB23_529:
	s_or_saveexec_b32 s22, s22
                                        ; implicit-def: $sgpr23
	s_delay_alu instid0(SALU_CYCLE_1)
	s_xor_b32 exec_lo, exec_lo, s22
	s_cbranch_execz .LBB23_313
.LBB23_530:
	v_add_f32_e64 v7, 0x46000000, |v6|
	s_and_not1_b32 s21, s21, exec_lo
	s_mov_b32 s23, 0
	s_delay_alu instid0(VALU_DEP_1) | instskip(NEXT) | instid1(VALU_DEP_1)
	v_and_b32_e32 v7, 0xff, v7
	v_cmp_ne_u32_e32 vcc_lo, 0, v7
	s_and_b32 s24, vcc_lo, exec_lo
	s_delay_alu instid0(SALU_CYCLE_1)
	s_or_b32 s21, s21, s24
	s_or_b32 exec_lo, exec_lo, s22
	v_mov_b32_e32 v8, s23
	s_and_saveexec_b32 s22, s21
	s_cbranch_execnz .LBB23_314
	s_branch .LBB23_315
.LBB23_531:
	s_mov_b32 s23, -1
	s_mov_b32 s0, 0
	s_mov_b32 s22, s18
	s_branch .LBB23_535
.LBB23_532:
	s_or_saveexec_b32 s22, s22
                                        ; implicit-def: $sgpr23
	s_delay_alu instid0(SALU_CYCLE_1)
	s_xor_b32 exec_lo, exec_lo, s22
	s_cbranch_execz .LBB23_326
.LBB23_533:
	v_add_f32_e64 v7, 0x42800000, |v6|
	s_and_not1_b32 s21, s21, exec_lo
	s_mov_b32 s23, 0
	s_delay_alu instid0(VALU_DEP_1) | instskip(NEXT) | instid1(VALU_DEP_1)
	v_and_b32_e32 v7, 0xff, v7
	v_cmp_ne_u32_e32 vcc_lo, 0, v7
	s_and_b32 s24, vcc_lo, exec_lo
	s_delay_alu instid0(SALU_CYCLE_1)
	s_or_b32 s21, s21, s24
	s_or_b32 exec_lo, exec_lo, s22
	v_mov_b32_e32 v8, s23
	s_and_saveexec_b32 s22, s21
	s_cbranch_execnz .LBB23_327
	s_branch .LBB23_328
.LBB23_534:
	s_mov_b32 s22, -1
	s_mov_b32 s0, 0
.LBB23_535:
                                        ; implicit-def: $vgpr4
.LBB23_536:
	s_and_b32 vcc_lo, exec_lo, s23
	s_cbranch_vccz .LBB23_540
; %bb.537:
	v_cmp_eq_u16_e32 vcc_lo, 44, v3
	s_cbranch_vccz .LBB23_539
; %bb.538:
	global_load_u8 v4, v[0:1], off
	s_mov_b32 s22, 0
	s_mov_b32 s0, -1
	s_waitcnt vmcnt(0)
	v_lshlrev_b32_e32 v5, 23, v4
	v_cmp_ne_u32_e32 vcc_lo, 0xff, v4
	s_delay_alu instid0(VALU_DEP_2) | instskip(NEXT) | instid1(VALU_DEP_1)
	v_cvt_f16_f32_e32 v5, v5
	v_cndmask_b32_e32 v5, 0x7e00, v5, vcc_lo
	v_cmp_ne_u32_e32 vcc_lo, 0, v4
	s_delay_alu instid0(VALU_DEP_2)
	v_cndmask_b32_e32 v4, 0, v5, vcc_lo
	s_branch .LBB23_540
.LBB23_539:
	s_mov_b32 s22, -1
                                        ; implicit-def: $vgpr4
.LBB23_540:
	s_mov_b32 s23, 0
.LBB23_541:
	s_delay_alu instid0(SALU_CYCLE_1)
	s_and_b32 vcc_lo, exec_lo, s23
	s_cbranch_vccz .LBB23_545
; %bb.542:
	v_cmp_eq_u16_e32 vcc_lo, 29, v3
	s_cbranch_vccz .LBB23_544
; %bb.543:
	global_load_b64 v[4:5], v[0:1], off
	s_mov_b32 s0, -1
	s_mov_b32 s22, 0
	s_mov_b32 s23, 0
	s_waitcnt vmcnt(0)
	v_clz_i32_u32_e32 v6, v5
	s_delay_alu instid0(VALU_DEP_1) | instskip(NEXT) | instid1(VALU_DEP_1)
	v_min_u32_e32 v6, 32, v6
	v_lshlrev_b64 v[4:5], v6, v[4:5]
	s_delay_alu instid0(VALU_DEP_1) | instskip(NEXT) | instid1(VALU_DEP_1)
	v_min_u32_e32 v4, 1, v4
	v_or_b32_e32 v4, v5, v4
	v_sub_nc_u32_e32 v5, 32, v6
	s_delay_alu instid0(VALU_DEP_2) | instskip(NEXT) | instid1(VALU_DEP_1)
	v_cvt_f32_u32_e32 v4, v4
	v_ldexp_f32 v4, v4, v5
	s_delay_alu instid0(VALU_DEP_1)
	v_cvt_f16_f32_e32 v4, v4
	s_branch .LBB23_546
.LBB23_544:
	s_mov_b32 s22, -1
                                        ; implicit-def: $vgpr4
.LBB23_545:
	s_mov_b32 s23, 0
.LBB23_546:
	s_delay_alu instid0(SALU_CYCLE_1)
	s_and_b32 vcc_lo, exec_lo, s23
	s_cbranch_vccz .LBB23_564
; %bb.547:
	v_cmp_gt_i16_e32 vcc_lo, 27, v3
	s_cbranch_vccnz .LBB23_550
; %bb.548:
	v_cmp_lt_i16_e32 vcc_lo, 27, v3
	s_cbranch_vccz .LBB23_551
; %bb.549:
	global_load_b32 v4, v[0:1], off
	s_mov_b32 s0, 0
	s_waitcnt vmcnt(0)
	v_cvt_f32_u32_e32 v4, v4
	s_delay_alu instid0(VALU_DEP_1)
	v_cvt_f16_f32_e32 v4, v4
	s_branch .LBB23_552
.LBB23_550:
	s_mov_b32 s0, -1
                                        ; implicit-def: $vgpr4
	s_branch .LBB23_555
.LBB23_551:
	s_mov_b32 s0, -1
                                        ; implicit-def: $vgpr4
.LBB23_552:
	s_delay_alu instid0(SALU_CYCLE_1)
	s_and_not1_b32 vcc_lo, exec_lo, s0
	s_cbranch_vccnz .LBB23_554
; %bb.553:
	global_load_u16 v4, v[0:1], off
	s_waitcnt vmcnt(0)
	v_cvt_f16_u16_e32 v4, v4
.LBB23_554:
	s_mov_b32 s0, 0
.LBB23_555:
	s_delay_alu instid0(SALU_CYCLE_1)
	s_and_not1_b32 vcc_lo, exec_lo, s0
	s_cbranch_vccnz .LBB23_563
; %bb.556:
	global_load_u8 v5, v[0:1], off
	s_mov_b32 s0, 0
	s_mov_b32 s24, exec_lo
                                        ; implicit-def: $sgpr23
	s_waitcnt vmcnt(0)
	v_cmpx_lt_i16_e32 0x7f, v5
	s_xor_b32 s24, exec_lo, s24
	s_cbranch_execz .LBB23_577
; %bb.557:
	s_mov_b32 s0, -1
	s_mov_b32 s25, exec_lo
                                        ; implicit-def: $sgpr23
	v_cmpx_eq_u16_e32 0x80, v5
; %bb.558:
	s_movk_i32 s23, 0x7e00
	s_xor_b32 s0, exec_lo, -1
; %bb.559:
	s_or_b32 exec_lo, exec_lo, s25
	s_delay_alu instid0(SALU_CYCLE_1)
	s_and_b32 s0, s0, exec_lo
	s_or_saveexec_b32 s24, s24
	v_mov_b32_e32 v4, s23
	s_xor_b32 exec_lo, exec_lo, s24
	s_cbranch_execnz .LBB23_578
.LBB23_560:
	s_or_b32 exec_lo, exec_lo, s24
	s_and_saveexec_b32 s23, s0
	s_cbranch_execz .LBB23_562
.LBB23_561:
	v_and_b32_e32 v4, 0xffff, v5
	s_delay_alu instid0(VALU_DEP_1) | instskip(NEXT) | instid1(VALU_DEP_1)
	v_and_b32_e32 v6, 7, v4
	v_clz_i32_u32_e32 v7, v6
	s_delay_alu instid0(VALU_DEP_1) | instskip(NEXT) | instid1(VALU_DEP_1)
	v_min_u32_e32 v7, 32, v7
	v_subrev_nc_u32_e32 v8, 28, v7
	v_sub_nc_u32_e32 v7, 29, v7
	s_delay_alu instid0(VALU_DEP_2) | instskip(SKIP_1) | instid1(VALU_DEP_2)
	v_lshlrev_b32_e32 v8, v8, v4
	v_bfe_u32 v4, v4, 3, 4
	v_and_b32_e32 v8, 7, v8
	s_delay_alu instid0(VALU_DEP_2) | instskip(SKIP_1) | instid1(VALU_DEP_1)
	v_cmp_eq_u32_e32 vcc_lo, 0, v4
	v_dual_cndmask_b32 v4, v4, v7 :: v_dual_lshlrev_b32 v5, 24, v5
	v_dual_cndmask_b32 v6, v6, v8 :: v_dual_and_b32 v5, 0x80000000, v5
	s_delay_alu instid0(VALU_DEP_2) | instskip(NEXT) | instid1(VALU_DEP_2)
	v_lshl_add_u32 v4, v4, 23, 0x3b800000
	v_lshlrev_b32_e32 v6, 20, v6
	s_delay_alu instid0(VALU_DEP_1) | instskip(NEXT) | instid1(VALU_DEP_1)
	v_or3_b32 v4, v5, v4, v6
	v_cvt_f16_f32_e32 v4, v4
.LBB23_562:
	s_or_b32 exec_lo, exec_lo, s23
.LBB23_563:
	s_mov_b32 s0, -1
.LBB23_564:
	s_mov_b32 s23, 0
.LBB23_565:
	s_delay_alu instid0(SALU_CYCLE_1)
	s_and_b32 vcc_lo, exec_lo, s23
	s_cbranch_vccz .LBB23_600
; %bb.566:
	v_cmp_lt_i16_e32 vcc_lo, 22, v3
	s_cbranch_vccz .LBB23_576
; %bb.567:
	v_cmp_gt_i16_e32 vcc_lo, 24, v3
	s_cbranch_vccnz .LBB23_579
; %bb.568:
	v_cmp_lt_i16_e32 vcc_lo, 24, v3
	s_cbranch_vccz .LBB23_580
; %bb.569:
	global_load_u8 v5, v[0:1], off
	s_mov_b32 s0, 0
	s_mov_b32 s24, exec_lo
                                        ; implicit-def: $sgpr23
	s_waitcnt vmcnt(0)
	v_cmpx_lt_i16_e32 0x7f, v5
	s_xor_b32 s24, exec_lo, s24
	s_cbranch_execz .LBB23_592
; %bb.570:
	s_mov_b32 s0, -1
	s_mov_b32 s25, exec_lo
                                        ; implicit-def: $sgpr23
	v_cmpx_eq_u16_e32 0x80, v5
; %bb.571:
	s_movk_i32 s23, 0x7e00
	s_xor_b32 s0, exec_lo, -1
; %bb.572:
	s_or_b32 exec_lo, exec_lo, s25
	s_delay_alu instid0(SALU_CYCLE_1)
	s_and_b32 s0, s0, exec_lo
	s_or_saveexec_b32 s24, s24
	v_mov_b32_e32 v4, s23
	s_xor_b32 exec_lo, exec_lo, s24
	s_cbranch_execnz .LBB23_593
.LBB23_573:
	s_or_b32 exec_lo, exec_lo, s24
	s_and_saveexec_b32 s23, s0
	s_cbranch_execz .LBB23_575
.LBB23_574:
	v_and_b32_e32 v4, 0xffff, v5
	s_delay_alu instid0(VALU_DEP_1) | instskip(NEXT) | instid1(VALU_DEP_1)
	v_and_b32_e32 v6, 3, v4
	v_clz_i32_u32_e32 v7, v6
	s_delay_alu instid0(VALU_DEP_1) | instskip(NEXT) | instid1(VALU_DEP_1)
	v_min_u32_e32 v7, 32, v7
	v_subrev_nc_u32_e32 v8, 29, v7
	v_sub_nc_u32_e32 v7, 30, v7
	s_delay_alu instid0(VALU_DEP_2) | instskip(SKIP_1) | instid1(VALU_DEP_2)
	v_lshlrev_b32_e32 v8, v8, v4
	v_bfe_u32 v4, v4, 2, 5
	v_and_b32_e32 v8, 3, v8
	s_delay_alu instid0(VALU_DEP_2) | instskip(SKIP_1) | instid1(VALU_DEP_1)
	v_cmp_eq_u32_e32 vcc_lo, 0, v4
	v_dual_cndmask_b32 v4, v4, v7 :: v_dual_lshlrev_b32 v5, 24, v5
	v_dual_cndmask_b32 v6, v6, v8 :: v_dual_and_b32 v5, 0x80000000, v5
	s_delay_alu instid0(VALU_DEP_2) | instskip(NEXT) | instid1(VALU_DEP_2)
	v_lshl_add_u32 v4, v4, 23, 0x37800000
	v_lshlrev_b32_e32 v6, 21, v6
	s_delay_alu instid0(VALU_DEP_1) | instskip(NEXT) | instid1(VALU_DEP_1)
	v_or3_b32 v4, v5, v4, v6
	v_cvt_f16_f32_e32 v4, v4
.LBB23_575:
	s_or_b32 exec_lo, exec_lo, s23
	s_mov_b32 s0, 0
	s_branch .LBB23_581
.LBB23_576:
	s_mov_b32 s23, -1
                                        ; implicit-def: $vgpr4
	s_branch .LBB23_587
.LBB23_577:
	s_or_saveexec_b32 s24, s24
	v_mov_b32_e32 v4, s23
	s_xor_b32 exec_lo, exec_lo, s24
	s_cbranch_execz .LBB23_560
.LBB23_578:
	v_cmp_ne_u16_e32 vcc_lo, 0, v5
	v_mov_b32_e32 v4, v5
	s_and_not1_b32 s0, s0, exec_lo
	s_and_b32 s23, vcc_lo, exec_lo
	s_delay_alu instid0(SALU_CYCLE_1)
	s_or_b32 s0, s0, s23
	s_or_b32 exec_lo, exec_lo, s24
	s_and_saveexec_b32 s23, s0
	s_cbranch_execnz .LBB23_561
	s_branch .LBB23_562
.LBB23_579:
	s_mov_b32 s0, -1
                                        ; implicit-def: $vgpr4
	s_branch .LBB23_584
.LBB23_580:
	s_mov_b32 s0, -1
                                        ; implicit-def: $vgpr4
.LBB23_581:
	s_delay_alu instid0(SALU_CYCLE_1)
	s_and_b32 vcc_lo, exec_lo, s0
	s_cbranch_vccz .LBB23_583
; %bb.582:
	global_load_u8 v4, v[0:1], off
	s_waitcnt vmcnt(0)
	v_lshlrev_b32_e32 v4, 24, v4
	s_delay_alu instid0(VALU_DEP_1) | instskip(NEXT) | instid1(VALU_DEP_1)
	v_and_b32_e32 v5, 0x7f000000, v4
	v_clz_i32_u32_e32 v6, v5
	v_add_nc_u32_e32 v8, 0x1000000, v5
	v_cmp_ne_u32_e32 vcc_lo, 0, v5
	s_delay_alu instid0(VALU_DEP_3) | instskip(NEXT) | instid1(VALU_DEP_1)
	v_min_u32_e32 v6, 32, v6
	v_sub_nc_u32_e64 v6, v6, 4 clamp
	s_delay_alu instid0(VALU_DEP_1) | instskip(SKIP_1) | instid1(VALU_DEP_2)
	v_lshlrev_b32_e32 v7, v6, v5
	v_lshlrev_b32_e32 v6, 23, v6
	v_lshrrev_b32_e32 v7, 4, v7
	s_delay_alu instid0(VALU_DEP_1) | instskip(SKIP_1) | instid1(VALU_DEP_2)
	v_sub_nc_u32_e32 v6, v7, v6
	v_ashrrev_i32_e32 v7, 8, v8
	v_add_nc_u32_e32 v6, 0x3c000000, v6
	s_delay_alu instid0(VALU_DEP_1) | instskip(NEXT) | instid1(VALU_DEP_1)
	v_and_or_b32 v6, 0x7f800000, v7, v6
	v_cndmask_b32_e32 v5, 0, v6, vcc_lo
	s_delay_alu instid0(VALU_DEP_1) | instskip(NEXT) | instid1(VALU_DEP_1)
	v_and_or_b32 v4, 0x80000000, v4, v5
	v_cvt_f16_f32_e32 v4, v4
.LBB23_583:
	s_mov_b32 s0, 0
.LBB23_584:
	s_delay_alu instid0(SALU_CYCLE_1)
	s_and_not1_b32 vcc_lo, exec_lo, s0
	s_cbranch_vccnz .LBB23_586
; %bb.585:
	global_load_u8 v4, v[0:1], off
	s_waitcnt vmcnt(0)
	v_lshlrev_b32_e32 v5, 25, v4
	v_lshlrev_b16 v4, 8, v4
	s_delay_alu instid0(VALU_DEP_2) | instskip(NEXT) | instid1(VALU_DEP_2)
	v_lshrrev_b32_e32 v6, 4, v5
	v_and_or_b32 v7, 0x7f00, v4, 0.5
	v_bfe_i32 v4, v4, 0, 16
	s_delay_alu instid0(VALU_DEP_3) | instskip(NEXT) | instid1(VALU_DEP_1)
	v_or_b32_e32 v6, 0x70000000, v6
	v_dual_add_f32 v7, -0.5, v7 :: v_dual_mul_f32 v6, 0x7800000, v6
	v_cmp_gt_u32_e32 vcc_lo, 0x8000000, v5
	s_delay_alu instid0(VALU_DEP_2) | instskip(NEXT) | instid1(VALU_DEP_1)
	v_cndmask_b32_e32 v5, v6, v7, vcc_lo
	v_and_or_b32 v4, 0x80000000, v4, v5
	s_delay_alu instid0(VALU_DEP_1)
	v_cvt_f16_f32_e32 v4, v4
.LBB23_586:
	s_mov_b32 s23, 0
	s_mov_b32 s0, -1
.LBB23_587:
	s_and_not1_b32 vcc_lo, exec_lo, s23
	s_cbranch_vccnz .LBB23_600
; %bb.588:
	v_cmp_lt_i16_e32 vcc_lo, 14, v3
	s_cbranch_vccz .LBB23_591
; %bb.589:
	v_cmp_eq_u16_e32 vcc_lo, 15, v3
	s_cbranch_vccz .LBB23_594
; %bb.590:
	global_load_u16 v4, v[0:1], off
	s_mov_b32 s0, -1
	s_mov_b32 s22, 0
	s_waitcnt vmcnt(0)
	v_lshlrev_b32_e32 v4, 16, v4
	s_delay_alu instid0(VALU_DEP_1)
	v_cvt_f16_f32_e32 v4, v4
	s_branch .LBB23_595
.LBB23_591:
	s_mov_b32 s23, -1
                                        ; implicit-def: $vgpr4
	s_branch .LBB23_596
.LBB23_592:
	s_or_saveexec_b32 s24, s24
	v_mov_b32_e32 v4, s23
	s_xor_b32 exec_lo, exec_lo, s24
	s_cbranch_execz .LBB23_573
.LBB23_593:
	v_cmp_ne_u16_e32 vcc_lo, 0, v5
	v_mov_b32_e32 v4, v5
	s_and_not1_b32 s0, s0, exec_lo
	s_and_b32 s23, vcc_lo, exec_lo
	s_delay_alu instid0(SALU_CYCLE_1)
	s_or_b32 s0, s0, s23
	s_or_b32 exec_lo, exec_lo, s24
	s_and_saveexec_b32 s23, s0
	s_cbranch_execnz .LBB23_574
	s_branch .LBB23_575
.LBB23_594:
	s_mov_b32 s22, -1
                                        ; implicit-def: $vgpr4
.LBB23_595:
	s_mov_b32 s23, 0
.LBB23_596:
	s_delay_alu instid0(SALU_CYCLE_1)
	s_and_b32 vcc_lo, exec_lo, s23
	s_cbranch_vccz .LBB23_600
; %bb.597:
	v_cmp_eq_u16_e32 vcc_lo, 11, v3
	s_cbranch_vccz .LBB23_599
; %bb.598:
	global_load_u8 v4, v[0:1], off
	s_mov_b32 s22, 0
	s_mov_b32 s0, -1
	s_waitcnt vmcnt(0)
	v_cmp_ne_u16_e32 vcc_lo, 0, v4
	v_cndmask_b32_e64 v4, 0, 0x3c00, vcc_lo
	s_branch .LBB23_600
.LBB23_599:
	s_mov_b32 s22, -1
                                        ; implicit-def: $vgpr4
.LBB23_600:
	s_mov_b32 s23, 0
.LBB23_601:
	s_delay_alu instid0(SALU_CYCLE_1)
	s_and_b32 vcc_lo, exec_lo, s23
	s_cbranch_vccz .LBB23_650
; %bb.602:
	v_cmp_gt_i16_e32 vcc_lo, 5, v3
	s_cbranch_vccnz .LBB23_607
; %bb.603:
	v_cmp_gt_i16_e32 vcc_lo, 8, v3
	s_cbranch_vccnz .LBB23_608
	;; [unrolled: 3-line block ×3, first 2 shown]
; %bb.605:
	v_cmp_lt_i16_e32 vcc_lo, 9, v3
	s_cbranch_vccz .LBB23_610
; %bb.606:
	global_load_b64 v[4:5], v[0:1], off
	s_mov_b32 s0, 0
	s_waitcnt vmcnt(0)
	v_cvt_f32_f64_e32 v4, v[4:5]
	s_delay_alu instid0(VALU_DEP_1)
	v_cvt_f16_f32_e32 v4, v4
	s_branch .LBB23_611
.LBB23_607:
	s_mov_b32 s0, -1
                                        ; implicit-def: $vgpr4
	s_branch .LBB23_629
.LBB23_608:
	s_mov_b32 s0, -1
                                        ; implicit-def: $vgpr4
	s_branch .LBB23_617
.LBB23_609:
	s_mov_b32 s0, -1
                                        ; implicit-def: $vgpr4
	s_branch .LBB23_614
.LBB23_610:
	s_mov_b32 s0, -1
                                        ; implicit-def: $vgpr4
.LBB23_611:
	s_delay_alu instid0(SALU_CYCLE_1)
	s_and_not1_b32 vcc_lo, exec_lo, s0
	s_cbranch_vccnz .LBB23_613
; %bb.612:
	global_load_b32 v4, v[0:1], off
	s_waitcnt vmcnt(0)
	v_cvt_f16_f32_e32 v4, v4
.LBB23_613:
	s_mov_b32 s0, 0
.LBB23_614:
	s_delay_alu instid0(SALU_CYCLE_1)
	s_and_not1_b32 vcc_lo, exec_lo, s0
	s_cbranch_vccnz .LBB23_616
; %bb.615:
	global_load_b32 v4, v[0:1], off
.LBB23_616:
	s_mov_b32 s0, 0
.LBB23_617:
	s_delay_alu instid0(SALU_CYCLE_1)
	s_and_not1_b32 vcc_lo, exec_lo, s0
	s_cbranch_vccnz .LBB23_628
; %bb.618:
	v_cmp_gt_i16_e32 vcc_lo, 6, v3
	s_cbranch_vccnz .LBB23_621
; %bb.619:
	v_cmp_lt_i16_e32 vcc_lo, 6, v3
	s_cbranch_vccz .LBB23_622
; %bb.620:
	global_load_b64 v[4:5], v[0:1], off
	s_mov_b32 s0, 0
	s_waitcnt vmcnt(0)
	v_cvt_f32_f64_e32 v4, v[4:5]
	s_delay_alu instid0(VALU_DEP_1)
	v_cvt_f16_f32_e32 v4, v4
	s_branch .LBB23_623
.LBB23_621:
	s_mov_b32 s0, -1
                                        ; implicit-def: $vgpr4
	s_branch .LBB23_626
.LBB23_622:
	s_mov_b32 s0, -1
                                        ; implicit-def: $vgpr4
.LBB23_623:
	s_delay_alu instid0(SALU_CYCLE_1)
	s_and_not1_b32 vcc_lo, exec_lo, s0
	s_cbranch_vccnz .LBB23_625
; %bb.624:
	global_load_b32 v4, v[0:1], off
	s_waitcnt vmcnt(0)
	v_cvt_f16_f32_e32 v4, v4
.LBB23_625:
	s_mov_b32 s0, 0
.LBB23_626:
	s_delay_alu instid0(SALU_CYCLE_1)
	s_and_not1_b32 vcc_lo, exec_lo, s0
	s_cbranch_vccnz .LBB23_628
; %bb.627:
	global_load_u16 v4, v[0:1], off
.LBB23_628:
	s_mov_b32 s0, 0
.LBB23_629:
	s_delay_alu instid0(SALU_CYCLE_1)
	s_and_not1_b32 vcc_lo, exec_lo, s0
	s_cbranch_vccnz .LBB23_649
; %bb.630:
	v_cmp_gt_i16_e32 vcc_lo, 2, v3
	s_cbranch_vccnz .LBB23_634
; %bb.631:
	v_cmp_gt_i16_e32 vcc_lo, 3, v3
	s_cbranch_vccnz .LBB23_635
; %bb.632:
	v_cmp_lt_i16_e32 vcc_lo, 3, v3
	s_cbranch_vccz .LBB23_636
; %bb.633:
	global_load_b64 v[4:5], v[0:1], off
	s_mov_b32 s0, 0
	s_waitcnt vmcnt(0)
	v_xor_b32_e32 v6, v4, v5
	v_cls_i32_e32 v7, v5
	s_delay_alu instid0(VALU_DEP_2) | instskip(NEXT) | instid1(VALU_DEP_2)
	v_ashrrev_i32_e32 v6, 31, v6
	v_add_nc_u32_e32 v7, -1, v7
	s_delay_alu instid0(VALU_DEP_2) | instskip(NEXT) | instid1(VALU_DEP_1)
	v_add_nc_u32_e32 v6, 32, v6
	v_min_u32_e32 v6, v7, v6
	s_delay_alu instid0(VALU_DEP_1) | instskip(NEXT) | instid1(VALU_DEP_1)
	v_lshlrev_b64 v[4:5], v6, v[4:5]
	v_min_u32_e32 v4, 1, v4
	s_delay_alu instid0(VALU_DEP_1) | instskip(SKIP_1) | instid1(VALU_DEP_2)
	v_or_b32_e32 v4, v5, v4
	v_sub_nc_u32_e32 v5, 32, v6
	v_cvt_f32_i32_e32 v4, v4
	s_delay_alu instid0(VALU_DEP_1) | instskip(NEXT) | instid1(VALU_DEP_1)
	v_ldexp_f32 v4, v4, v5
	v_cvt_f16_f32_e32 v4, v4
	s_branch .LBB23_637
.LBB23_634:
	s_mov_b32 s0, -1
                                        ; implicit-def: $vgpr4
	s_branch .LBB23_643
.LBB23_635:
	s_mov_b32 s0, -1
                                        ; implicit-def: $vgpr4
	s_branch .LBB23_640
.LBB23_636:
	s_mov_b32 s0, -1
                                        ; implicit-def: $vgpr4
.LBB23_637:
	s_delay_alu instid0(SALU_CYCLE_1)
	s_and_not1_b32 vcc_lo, exec_lo, s0
	s_cbranch_vccnz .LBB23_639
; %bb.638:
	global_load_b32 v4, v[0:1], off
	s_waitcnt vmcnt(0)
	v_cvt_f32_i32_e32 v4, v4
	s_delay_alu instid0(VALU_DEP_1)
	v_cvt_f16_f32_e32 v4, v4
.LBB23_639:
	s_mov_b32 s0, 0
.LBB23_640:
	s_delay_alu instid0(SALU_CYCLE_1)
	s_and_not1_b32 vcc_lo, exec_lo, s0
	s_cbranch_vccnz .LBB23_642
; %bb.641:
	global_load_u16 v4, v[0:1], off
	s_waitcnt vmcnt(0)
	v_cvt_f16_i16_e32 v4, v4
.LBB23_642:
	s_mov_b32 s0, 0
.LBB23_643:
	s_delay_alu instid0(SALU_CYCLE_1)
	s_and_not1_b32 vcc_lo, exec_lo, s0
	s_cbranch_vccnz .LBB23_649
; %bb.644:
	v_cmp_lt_i16_e32 vcc_lo, 0, v3
	s_mov_b32 s0, 0
	s_cbranch_vccz .LBB23_646
; %bb.645:
	global_load_i8 v4, v[0:1], off
	s_waitcnt vmcnt(0)
	v_cvt_f16_i16_e32 v4, v4
	s_branch .LBB23_647
.LBB23_646:
	s_mov_b32 s0, -1
                                        ; implicit-def: $vgpr4
.LBB23_647:
	s_delay_alu instid0(SALU_CYCLE_1)
	s_and_not1_b32 vcc_lo, exec_lo, s0
	s_cbranch_vccnz .LBB23_649
; %bb.648:
	global_load_u8 v0, v[0:1], off
	s_waitcnt vmcnt(0)
	v_cvt_f16_u16_e32 v4, v0
.LBB23_649:
	s_mov_b32 s0, -1
.LBB23_650:
	s_delay_alu instid0(SALU_CYCLE_1)
	s_and_not1_b32 vcc_lo, exec_lo, s0
	s_cbranch_vccnz .LBB23_660
; %bb.651:
	s_waitcnt vmcnt(0)
	v_cvt_f32_f16_e32 v0, v4
	s_mov_b32 s0, exec_lo
	s_delay_alu instid0(VALU_DEP_1)
	v_cmpx_nlg_f32_e64 0x7f800000, |v0|
	s_cbranch_execz .LBB23_653
; %bb.652:
	v_mov_b32_e32 v1, 0
	v_mov_b32_e32 v5, 1.0
	global_store_b32 v1, v5, s[8:9]
.LBB23_653:
	s_or_b32 exec_lo, exec_lo, s0
	v_mov_b32_e32 v1, 0
	v_and_b32_e64 v5, 0xff, s12
	global_load_b32 v6, v1, s[10:11]
	v_mul_lo_u32 v1, v2, s2
	v_cmp_gt_i16_e32 vcc_lo, 11, v5
	s_and_b32 vcc_lo, exec_lo, vcc_lo
	s_delay_alu instid0(VALU_DEP_2) | instskip(SKIP_3) | instid1(VALU_DEP_1)
	v_ashrrev_i32_e32 v7, 31, v1
	s_waitcnt vmcnt(0)
	v_fma_mixlo_f16 v8, v6, v0, 0
	v_add_co_u32 v0, s0, s4, v1
	v_add_co_ci_u32_e64 v1, s0, s5, v7, s0
	v_cmp_eq_f32_e64 s0, 1.0, v6
	s_delay_alu instid0(VALU_DEP_1)
	v_cndmask_b32_e64 v4, v8, v4, s0
	s_cbranch_vccnz .LBB23_661
; %bb.654:
	v_cmp_lt_i16_e32 vcc_lo, 25, v5
	s_cbranch_vccz .LBB23_662
; %bb.655:
	v_cmp_lt_i16_e32 vcc_lo, 28, v5
	s_cbranch_vccz .LBB23_663
	;; [unrolled: 3-line block ×4, first 2 shown]
; %bb.658:
	v_cmp_eq_u16_e32 vcc_lo, 46, v5
	s_mov_b32 s24, 0
	s_mov_b32 s0, -1
	s_mov_b32 s23, 0
	s_cbranch_vccz .LBB23_666
; %bb.659:
	v_cvt_f32_f16_e32 v6, v4
	v_cmp_o_f16_e32 vcc_lo, v4, v4
	s_mov_b32 s23, -1
	s_mov_b32 s0, 0
	s_delay_alu instid0(VALU_DEP_2) | instskip(NEXT) | instid1(VALU_DEP_1)
	v_bfe_u32 v7, v6, 16, 1
	v_add3_u32 v6, v6, v7, 0x7fff
	s_delay_alu instid0(VALU_DEP_1) | instskip(NEXT) | instid1(VALU_DEP_1)
	v_lshrrev_b32_e32 v6, 16, v6
	v_cndmask_b32_e32 v6, 0x7fc0, v6, vcc_lo
	global_store_b32 v[0:1], v6, off
	s_branch .LBB23_666
.LBB23_660:
	s_mov_b32 s24, 0
	s_mov_b32 s0, s19
	s_branch .LBB23_777
.LBB23_661:
	s_mov_b32 s24, -1
	s_mov_b32 s23, 0
	s_mov_b32 s0, s19
	s_branch .LBB23_735
.LBB23_662:
	s_mov_b32 s24, -1
	s_mov_b32 s23, 0
	s_mov_b32 s0, s19
	s_branch .LBB23_693
.LBB23_663:
	s_mov_b32 s24, -1
	s_mov_b32 s23, 0
	s_mov_b32 s0, s19
	s_branch .LBB23_676
.LBB23_664:
	s_mov_b32 s24, -1
	s_mov_b32 s23, 0
	s_mov_b32 s0, s19
	s_branch .LBB23_672
.LBB23_665:
	s_mov_b32 s24, -1
	s_mov_b32 s23, 0
	s_mov_b32 s0, s19
.LBB23_666:
	s_and_b32 vcc_lo, exec_lo, s24
	s_cbranch_vccz .LBB23_671
; %bb.667:
	v_cmp_eq_u16_e32 vcc_lo, 44, v5
	s_mov_b32 s0, -1
	s_cbranch_vccz .LBB23_671
; %bb.668:
	v_cvt_f32_f16_e32 v6, v4
	v_mov_b32_e32 v7, 0xff
	s_mov_b32 s23, exec_lo
	s_delay_alu instid0(VALU_DEP_2) | instskip(NEXT) | instid1(VALU_DEP_1)
	v_bfe_u32 v8, v6, 23, 8
	v_cmpx_ne_u32_e32 0xff, v8
; %bb.669:
	v_and_b32_e32 v7, 0x400000, v6
	v_and_or_b32 v8, 0x3fffff, v6, v8
	v_lshrrev_b32_e32 v6, 23, v6
	s_delay_alu instid0(VALU_DEP_3) | instskip(NEXT) | instid1(VALU_DEP_3)
	v_cmp_ne_u32_e32 vcc_lo, 0, v7
	v_cmp_ne_u32_e64 s0, 0, v8
	s_delay_alu instid0(VALU_DEP_1) | instskip(NEXT) | instid1(SALU_CYCLE_1)
	s_and_b32 s0, vcc_lo, s0
	v_cndmask_b32_e64 v7, 0, 1, s0
	s_delay_alu instid0(VALU_DEP_1)
	v_add_nc_u32_e32 v7, v6, v7
; %bb.670:
	s_or_b32 exec_lo, exec_lo, s23
	s_mov_b32 s23, -1
	s_mov_b32 s0, 0
	global_store_b8 v[0:1], v7, off
.LBB23_671:
	s_mov_b32 s24, 0
.LBB23_672:
	s_delay_alu instid0(SALU_CYCLE_1)
	s_and_b32 vcc_lo, exec_lo, s24
	s_cbranch_vccz .LBB23_675
; %bb.673:
	v_cmp_eq_u16_e32 vcc_lo, 29, v5
	s_mov_b32 s0, -1
	s_cbranch_vccz .LBB23_675
; %bb.674:
	v_cvt_f32_f16_e32 v6, v4
	v_mov_b32_e32 v7, 0
	s_mov_b32 s0, 0
	s_mov_b32 s23, -1
	s_mov_b32 s24, 0
	v_cvt_u32_f32_e32 v6, v6
	global_store_b64 v[0:1], v[6:7], off
	s_branch .LBB23_676
.LBB23_675:
	s_mov_b32 s24, 0
.LBB23_676:
	s_delay_alu instid0(SALU_CYCLE_1)
	s_and_b32 vcc_lo, exec_lo, s24
	s_cbranch_vccz .LBB23_692
; %bb.677:
	v_cmp_gt_i16_e32 vcc_lo, 27, v5
	s_mov_b32 s23, -1
	s_cbranch_vccnz .LBB23_683
; %bb.678:
	v_cmp_lt_i16_e32 vcc_lo, 27, v5
	s_cbranch_vccz .LBB23_680
; %bb.679:
	v_cvt_f32_f16_e32 v6, v4
	s_mov_b32 s23, 0
	s_delay_alu instid0(VALU_DEP_1)
	v_cvt_u32_f32_e32 v6, v6
	global_store_b32 v[0:1], v6, off
.LBB23_680:
	s_and_not1_b32 vcc_lo, exec_lo, s23
	s_cbranch_vccnz .LBB23_682
; %bb.681:
	v_cvt_u16_f16_e32 v6, v4
	global_store_b16 v[0:1], v6, off
.LBB23_682:
	s_mov_b32 s23, 0
.LBB23_683:
	s_delay_alu instid0(SALU_CYCLE_1)
	s_and_not1_b32 vcc_lo, exec_lo, s23
	s_cbranch_vccnz .LBB23_691
; %bb.684:
	v_cvt_f32_f16_e32 v6, v4
	v_mov_b32_e32 v8, 0x80
	s_mov_b32 s23, exec_lo
	s_delay_alu instid0(VALU_DEP_2) | instskip(NEXT) | instid1(VALU_DEP_1)
	v_and_b32_e32 v7, 0x7fffffff, v6
	v_cmpx_gt_u32_e32 0x43800000, v7
	s_cbranch_execz .LBB23_690
; %bb.685:
	v_cmp_lt_u32_e32 vcc_lo, 0x3bffffff, v7
	s_mov_b32 s24, 0
                                        ; implicit-def: $vgpr7
	s_and_saveexec_b32 s25, vcc_lo
	s_delay_alu instid0(SALU_CYCLE_1)
	s_xor_b32 s25, exec_lo, s25
	s_cbranch_execz .LBB23_792
; %bb.686:
	v_bfe_u32 v7, v6, 20, 1
	s_mov_b32 s24, exec_lo
	s_delay_alu instid0(VALU_DEP_1) | instskip(NEXT) | instid1(VALU_DEP_1)
	v_add3_u32 v7, v6, v7, 0x487ffff
	v_lshrrev_b32_e32 v7, 20, v7
	s_or_saveexec_b32 s25, s25
                                        ; implicit-def: $sgpr26
	s_delay_alu instid0(SALU_CYCLE_1)
	s_xor_b32 exec_lo, exec_lo, s25
	s_cbranch_execnz .LBB23_793
.LBB23_687:
	s_or_b32 exec_lo, exec_lo, s25
	v_mov_b32_e32 v8, s26
	s_and_saveexec_b32 s25, s24
.LBB23_688:
	v_lshrrev_b32_e32 v6, 24, v6
	s_delay_alu instid0(VALU_DEP_1)
	v_and_or_b32 v8, 0x80, v6, v7
.LBB23_689:
	s_or_b32 exec_lo, exec_lo, s25
.LBB23_690:
	s_delay_alu instid0(SALU_CYCLE_1)
	s_or_b32 exec_lo, exec_lo, s23
	global_store_b8 v[0:1], v8, off
.LBB23_691:
	s_mov_b32 s23, -1
.LBB23_692:
	s_mov_b32 s24, 0
.LBB23_693:
	s_delay_alu instid0(SALU_CYCLE_1)
	s_and_b32 vcc_lo, exec_lo, s24
	s_cbranch_vccz .LBB23_734
; %bb.694:
	v_cmp_lt_i16_e32 vcc_lo, 22, v5
	s_mov_b32 s24, -1
	s_cbranch_vccz .LBB23_726
; %bb.695:
	v_cmp_gt_i16_e32 vcc_lo, 24, v5
	s_mov_b32 s23, -1
	s_cbranch_vccnz .LBB23_715
; %bb.696:
	v_cmp_lt_i16_e32 vcc_lo, 24, v5
	s_cbranch_vccz .LBB23_704
; %bb.697:
	v_cvt_f32_f16_e32 v6, v4
	v_mov_b32_e32 v8, 0x80
	s_mov_b32 s23, exec_lo
	s_delay_alu instid0(VALU_DEP_2) | instskip(NEXT) | instid1(VALU_DEP_1)
	v_and_b32_e32 v7, 0x7fffffff, v6
	v_cmpx_gt_u32_e32 0x47800000, v7
	s_cbranch_execz .LBB23_703
; %bb.698:
	v_cmp_lt_u32_e32 vcc_lo, 0x37ffffff, v7
	s_mov_b32 s24, 0
                                        ; implicit-def: $vgpr7
	s_and_saveexec_b32 s25, vcc_lo
	s_delay_alu instid0(SALU_CYCLE_1)
	s_xor_b32 s25, exec_lo, s25
	s_cbranch_execz .LBB23_795
; %bb.699:
	v_bfe_u32 v7, v6, 21, 1
	s_mov_b32 s24, exec_lo
	s_delay_alu instid0(VALU_DEP_1) | instskip(NEXT) | instid1(VALU_DEP_1)
	v_add3_u32 v7, v6, v7, 0x88fffff
	v_lshrrev_b32_e32 v7, 21, v7
	s_or_saveexec_b32 s25, s25
                                        ; implicit-def: $sgpr26
	s_delay_alu instid0(SALU_CYCLE_1)
	s_xor_b32 exec_lo, exec_lo, s25
	s_cbranch_execnz .LBB23_796
.LBB23_700:
	s_or_b32 exec_lo, exec_lo, s25
	v_mov_b32_e32 v8, s26
	s_and_saveexec_b32 s25, s24
.LBB23_701:
	v_lshrrev_b32_e32 v6, 24, v6
	s_delay_alu instid0(VALU_DEP_1)
	v_and_or_b32 v8, 0x80, v6, v7
.LBB23_702:
	s_or_b32 exec_lo, exec_lo, s25
.LBB23_703:
	s_delay_alu instid0(SALU_CYCLE_1)
	s_or_b32 exec_lo, exec_lo, s23
	s_mov_b32 s23, 0
	global_store_b8 v[0:1], v8, off
.LBB23_704:
	s_and_b32 vcc_lo, exec_lo, s23
	s_cbranch_vccz .LBB23_714
; %bb.705:
	v_cvt_f32_f16_e32 v6, v4
	s_mov_b32 s23, exec_lo
                                        ; implicit-def: $vgpr7
	s_delay_alu instid0(VALU_DEP_1) | instskip(NEXT) | instid1(VALU_DEP_1)
	v_and_b32_e32 v8, 0x7fffffff, v6
	v_cmpx_gt_u32_e32 0x43f00000, v8
	s_xor_b32 s23, exec_lo, s23
	s_cbranch_execz .LBB23_711
; %bb.706:
	s_mov_b32 s24, exec_lo
                                        ; implicit-def: $vgpr7
	v_cmpx_lt_u32_e32 0x3c7fffff, v8
	s_xor_b32 s24, exec_lo, s24
; %bb.707:
	v_bfe_u32 v7, v6, 20, 1
	s_delay_alu instid0(VALU_DEP_1) | instskip(NEXT) | instid1(VALU_DEP_1)
	v_add3_u32 v7, v6, v7, 0x407ffff
	v_and_b32_e32 v8, 0xff00000, v7
	v_lshrrev_b32_e32 v7, 20, v7
	s_delay_alu instid0(VALU_DEP_2) | instskip(NEXT) | instid1(VALU_DEP_2)
	v_cmp_ne_u32_e32 vcc_lo, 0x7f00000, v8
	v_cndmask_b32_e32 v7, 0x7e, v7, vcc_lo
; %bb.708:
	s_and_not1_saveexec_b32 s24, s24
; %bb.709:
	v_add_f32_e64 v7, 0x46800000, |v6|
; %bb.710:
	s_or_b32 exec_lo, exec_lo, s24
                                        ; implicit-def: $vgpr8
.LBB23_711:
	s_and_not1_saveexec_b32 s23, s23
; %bb.712:
	v_mov_b32_e32 v7, 0x7f
	v_cmp_lt_u32_e32 vcc_lo, 0x7f800000, v8
	s_delay_alu instid0(VALU_DEP_2)
	v_cndmask_b32_e32 v7, 0x7e, v7, vcc_lo
; %bb.713:
	s_or_b32 exec_lo, exec_lo, s23
	v_lshrrev_b32_e32 v6, 24, v6
	s_delay_alu instid0(VALU_DEP_1)
	v_and_or_b32 v6, 0x80, v6, v7
	global_store_b8 v[0:1], v6, off
.LBB23_714:
	s_mov_b32 s23, 0
.LBB23_715:
	s_delay_alu instid0(SALU_CYCLE_1)
	s_and_not1_b32 vcc_lo, exec_lo, s23
	s_cbranch_vccnz .LBB23_725
; %bb.716:
	v_cvt_f32_f16_e32 v6, v4
	s_mov_b32 s23, exec_lo
                                        ; implicit-def: $vgpr7
	s_delay_alu instid0(VALU_DEP_1) | instskip(NEXT) | instid1(VALU_DEP_1)
	v_and_b32_e32 v8, 0x7fffffff, v6
	v_cmpx_gt_u32_e32 0x47800000, v8
	s_xor_b32 s23, exec_lo, s23
	s_cbranch_execz .LBB23_722
; %bb.717:
	s_mov_b32 s24, exec_lo
                                        ; implicit-def: $vgpr7
	v_cmpx_lt_u32_e32 0x387fffff, v8
	s_xor_b32 s24, exec_lo, s24
; %bb.718:
	v_bfe_u32 v7, v6, 21, 1
	s_delay_alu instid0(VALU_DEP_1) | instskip(NEXT) | instid1(VALU_DEP_1)
	v_add3_u32 v7, v6, v7, 0x80fffff
	v_lshrrev_b32_e32 v7, 21, v7
; %bb.719:
	s_and_not1_saveexec_b32 s24, s24
; %bb.720:
	v_add_f32_e64 v7, 0x43000000, |v6|
; %bb.721:
	s_or_b32 exec_lo, exec_lo, s24
                                        ; implicit-def: $vgpr8
.LBB23_722:
	s_and_not1_saveexec_b32 s23, s23
; %bb.723:
	v_mov_b32_e32 v7, 0x7f
	v_cmp_lt_u32_e32 vcc_lo, 0x7f800000, v8
	s_delay_alu instid0(VALU_DEP_2)
	v_cndmask_b32_e32 v7, 0x7c, v7, vcc_lo
; %bb.724:
	s_or_b32 exec_lo, exec_lo, s23
	v_lshrrev_b32_e32 v6, 24, v6
	s_delay_alu instid0(VALU_DEP_1)
	v_and_or_b32 v6, 0x80, v6, v7
	global_store_b8 v[0:1], v6, off
.LBB23_725:
	s_mov_b32 s24, 0
	s_mov_b32 s23, -1
.LBB23_726:
	s_and_not1_b32 vcc_lo, exec_lo, s24
	s_cbranch_vccnz .LBB23_734
; %bb.727:
	v_cmp_lt_i16_e32 vcc_lo, 14, v5
	s_mov_b32 s24, -1
	s_cbranch_vccz .LBB23_731
; %bb.728:
	v_cmp_eq_u16_e32 vcc_lo, 15, v5
	s_mov_b32 s0, -1
	s_cbranch_vccz .LBB23_730
; %bb.729:
	v_cvt_f32_f16_e32 v6, v4
	v_cmp_o_f16_e32 vcc_lo, v4, v4
	s_mov_b32 s23, -1
	s_mov_b32 s0, 0
	s_delay_alu instid0(VALU_DEP_2) | instskip(NEXT) | instid1(VALU_DEP_1)
	v_bfe_u32 v7, v6, 16, 1
	v_add3_u32 v6, v6, v7, 0x7fff
	s_delay_alu instid0(VALU_DEP_1) | instskip(NEXT) | instid1(VALU_DEP_1)
	v_lshrrev_b32_e32 v6, 16, v6
	v_cndmask_b32_e32 v6, 0x7fc0, v6, vcc_lo
	global_store_b16 v[0:1], v6, off
.LBB23_730:
	s_mov_b32 s24, 0
.LBB23_731:
	s_delay_alu instid0(SALU_CYCLE_1)
	s_and_b32 vcc_lo, exec_lo, s24
	s_cbranch_vccz .LBB23_734
; %bb.732:
	v_cmp_eq_u16_e32 vcc_lo, 11, v5
	s_mov_b32 s0, -1
	s_cbranch_vccz .LBB23_734
; %bb.733:
	v_cmp_neq_f16_e32 vcc_lo, 0, v4
	s_mov_b32 s0, 0
	s_mov_b32 s23, -1
	v_cndmask_b32_e64 v6, 0, 1, vcc_lo
	global_store_b8 v[0:1], v6, off
.LBB23_734:
	s_mov_b32 s24, 0
.LBB23_735:
	s_delay_alu instid0(SALU_CYCLE_1)
	s_and_b32 vcc_lo, exec_lo, s24
	s_cbranch_vccz .LBB23_774
; %bb.736:
	v_cmp_gt_i16_e32 vcc_lo, 5, v5
	s_mov_b32 s23, -1
	s_cbranch_vccnz .LBB23_757
; %bb.737:
	v_cmp_gt_i16_e32 vcc_lo, 8, v5
	s_cbranch_vccnz .LBB23_747
; %bb.738:
	v_cmp_gt_i16_e32 vcc_lo, 9, v5
	s_cbranch_vccnz .LBB23_744
; %bb.739:
	v_cmp_lt_i16_e32 vcc_lo, 9, v5
	s_cbranch_vccz .LBB23_741
; %bb.740:
	v_cvt_f32_f16_e32 v6, v4
	v_mov_b32_e32 v8, 0
	s_mov_b32 s23, 0
	s_delay_alu instid0(VALU_DEP_2) | instskip(NEXT) | instid1(VALU_DEP_2)
	v_cvt_f64_f32_e32 v[6:7], v6
	v_mov_b32_e32 v9, v8
	global_store_b128 v[0:1], v[6:9], off
.LBB23_741:
	s_and_not1_b32 vcc_lo, exec_lo, s23
	s_cbranch_vccnz .LBB23_743
; %bb.742:
	v_cvt_f32_f16_e32 v6, v4
	v_mov_b32_e32 v7, 0
	global_store_b64 v[0:1], v[6:7], off
.LBB23_743:
	s_mov_b32 s23, 0
.LBB23_744:
	s_delay_alu instid0(SALU_CYCLE_1)
	s_and_not1_b32 vcc_lo, exec_lo, s23
	s_cbranch_vccnz .LBB23_746
; %bb.745:
	v_and_b32_e32 v6, 0xffff, v4
	global_store_b32 v[0:1], v6, off
.LBB23_746:
	s_mov_b32 s23, 0
.LBB23_747:
	s_delay_alu instid0(SALU_CYCLE_1)
	s_and_not1_b32 vcc_lo, exec_lo, s23
	s_cbranch_vccnz .LBB23_756
; %bb.748:
	v_cmp_gt_i16_e32 vcc_lo, 6, v5
	s_mov_b32 s23, -1
	s_cbranch_vccnz .LBB23_754
; %bb.749:
	v_cmp_lt_i16_e32 vcc_lo, 6, v5
	s_cbranch_vccz .LBB23_751
; %bb.750:
	v_cvt_f32_f16_e32 v6, v4
	s_mov_b32 s23, 0
	s_delay_alu instid0(VALU_DEP_1)
	v_cvt_f64_f32_e32 v[6:7], v6
	global_store_b64 v[0:1], v[6:7], off
.LBB23_751:
	s_and_not1_b32 vcc_lo, exec_lo, s23
	s_cbranch_vccnz .LBB23_753
; %bb.752:
	v_cvt_f32_f16_e32 v6, v4
	global_store_b32 v[0:1], v6, off
.LBB23_753:
	s_mov_b32 s23, 0
.LBB23_754:
	s_delay_alu instid0(SALU_CYCLE_1)
	s_and_not1_b32 vcc_lo, exec_lo, s23
	s_cbranch_vccnz .LBB23_756
; %bb.755:
	global_store_b16 v[0:1], v4, off
.LBB23_756:
	s_mov_b32 s23, 0
.LBB23_757:
	s_delay_alu instid0(SALU_CYCLE_1)
	s_and_not1_b32 vcc_lo, exec_lo, s23
	s_cbranch_vccnz .LBB23_773
; %bb.758:
	v_cmp_gt_i16_e32 vcc_lo, 2, v5
	s_mov_b32 s23, -1
	s_cbranch_vccnz .LBB23_768
; %bb.759:
	v_cmp_gt_i16_e32 vcc_lo, 3, v5
	s_cbranch_vccnz .LBB23_765
; %bb.760:
	v_cmp_lt_i16_e32 vcc_lo, 3, v5
	s_cbranch_vccz .LBB23_762
; %bb.761:
	v_cvt_f32_f16_e32 v6, v4
	s_mov_b32 s23, 0
	s_delay_alu instid0(VALU_DEP_1) | instskip(NEXT) | instid1(VALU_DEP_1)
	v_cvt_i32_f32_e32 v6, v6
	v_ashrrev_i32_e32 v7, 31, v6
	global_store_b64 v[0:1], v[6:7], off
.LBB23_762:
	s_and_not1_b32 vcc_lo, exec_lo, s23
	s_cbranch_vccnz .LBB23_764
; %bb.763:
	v_cvt_f32_f16_e32 v6, v4
	s_delay_alu instid0(VALU_DEP_1)
	v_cvt_i32_f32_e32 v6, v6
	global_store_b32 v[0:1], v6, off
.LBB23_764:
	s_mov_b32 s23, 0
.LBB23_765:
	s_delay_alu instid0(SALU_CYCLE_1)
	s_and_not1_b32 vcc_lo, exec_lo, s23
	s_cbranch_vccnz .LBB23_767
; %bb.766:
	v_cvt_i16_f16_e32 v6, v4
	global_store_b16 v[0:1], v6, off
.LBB23_767:
	s_mov_b32 s23, 0
.LBB23_768:
	s_delay_alu instid0(SALU_CYCLE_1)
	s_and_not1_b32 vcc_lo, exec_lo, s23
	s_cbranch_vccnz .LBB23_773
; %bb.769:
	v_cmp_lt_i16_e32 vcc_lo, 0, v5
	s_mov_b32 s23, -1
	s_cbranch_vccz .LBB23_771
; %bb.770:
	v_cvt_i16_f16_e32 v5, v4
	s_mov_b32 s23, 0
	global_store_b8 v[0:1], v5, off
.LBB23_771:
	s_and_not1_b32 vcc_lo, exec_lo, s23
	s_cbranch_vccnz .LBB23_773
; %bb.772:
	v_cvt_f32_f16_e32 v4, v4
	s_delay_alu instid0(VALU_DEP_1)
	v_cvt_i32_f32_e32 v4, v4
	global_store_b8 v[0:1], v4, off
.LBB23_773:
	s_mov_b32 s23, -1
.LBB23_774:
	s_delay_alu instid0(SALU_CYCLE_1)
	s_and_not1_b32 vcc_lo, exec_lo, s23
	s_cbranch_vccnz .LBB23_776
; %bb.775:
	v_add_nc_u32_e32 v2, 0x80, v2
	s_mov_b32 s24, -1
	s_branch .LBB23_778
.LBB23_776:
	s_mov_b32 s24, 0
.LBB23_777:
                                        ; implicit-def: $vgpr2
.LBB23_778:
	s_and_not1_b32 s23, s19, exec_lo
	s_and_b32 s0, s0, exec_lo
	s_and_not1_b32 s25, s18, exec_lo
	s_and_b32 s22, s22, exec_lo
	s_or_b32 s23, s23, s0
	s_or_b32 s22, s25, s22
	s_or_not1_b32 s0, s24, exec_lo
.LBB23_779:
	s_or_b32 exec_lo, exec_lo, s21
	s_mov_b32 s24, 0
	s_mov_b32 s25, 0
	;; [unrolled: 1-line block ×3, first 2 shown]
                                        ; implicit-def: $vgpr0_vgpr1
                                        ; implicit-def: $vgpr5
	s_and_saveexec_b32 s21, s0
	s_cbranch_execz .LBB23_864
; %bb.780:
	v_cmp_gt_i32_e32 vcc_lo, s16, v2
	s_mov_b32 s0, 0
	s_mov_b32 s24, s22
                                        ; implicit-def: $vgpr0_vgpr1
                                        ; implicit-def: $vgpr5
	s_and_saveexec_b32 s16, vcc_lo
	s_cbranch_execz .LBB23_863
; %bb.781:
	v_mul_lo_u32 v0, v2, s3
	v_cmp_gt_i16_e32 vcc_lo, 11, v3
	s_delay_alu instid0(VALU_DEP_2) | instskip(SKIP_1) | instid1(VALU_DEP_1)
	v_ashrrev_i32_e32 v1, 31, v0
	v_add_co_u32 v0, s0, s6, v0
	v_add_co_ci_u32_e64 v1, s0, s7, v1, s0
	s_cbranch_vccnz .LBB23_788
; %bb.782:
	v_cmp_lt_i16_e32 vcc_lo, 25, v3
	s_mov_b32 s24, 0
	s_cbranch_vccz .LBB23_789
; %bb.783:
	v_cmp_lt_i16_e32 vcc_lo, 28, v3
	s_cbranch_vccz .LBB23_790
; %bb.784:
	v_cmp_lt_i16_e32 vcc_lo, 43, v3
	;; [unrolled: 3-line block ×3, first 2 shown]
	s_cbranch_vccz .LBB23_794
; %bb.786:
	v_cmp_eq_u16_e32 vcc_lo, 46, v3
	s_cbranch_vccz .LBB23_797
; %bb.787:
	global_load_b32 v4, v[0:1], off
	s_mov_b32 s0, 0
	s_mov_b32 s25, -1
	s_waitcnt vmcnt(0)
	v_lshlrev_b32_e32 v4, 16, v4
	s_delay_alu instid0(VALU_DEP_1)
	v_cvt_f16_f32_e32 v5, v4
	s_branch .LBB23_799
.LBB23_788:
	s_mov_b32 s27, -1
	s_mov_b32 s24, 0
	s_mov_b32 s0, s22
                                        ; implicit-def: $vgpr5
	s_branch .LBB23_862
.LBB23_789:
	s_mov_b32 s26, -1
	s_mov_b32 s0, s22
                                        ; implicit-def: $vgpr5
	s_branch .LBB23_828
.LBB23_790:
	s_mov_b32 s26, -1
	s_mov_b32 s0, s22
                                        ; implicit-def: $vgpr5
	s_branch .LBB23_809
.LBB23_791:
	s_mov_b32 s26, -1
	s_mov_b32 s0, s22
                                        ; implicit-def: $vgpr5
	s_branch .LBB23_804
.LBB23_792:
	s_or_saveexec_b32 s25, s25
                                        ; implicit-def: $sgpr26
	s_delay_alu instid0(SALU_CYCLE_1)
	s_xor_b32 exec_lo, exec_lo, s25
	s_cbranch_execz .LBB23_687
.LBB23_793:
	v_add_f32_e64 v7, 0x46000000, |v6|
	s_and_not1_b32 s24, s24, exec_lo
	s_mov_b32 s26, 0
	s_delay_alu instid0(VALU_DEP_1) | instskip(NEXT) | instid1(VALU_DEP_1)
	v_and_b32_e32 v7, 0xff, v7
	v_cmp_ne_u32_e32 vcc_lo, 0, v7
	s_and_b32 s27, vcc_lo, exec_lo
	s_delay_alu instid0(SALU_CYCLE_1)
	s_or_b32 s24, s24, s27
	s_or_b32 exec_lo, exec_lo, s25
	v_mov_b32_e32 v8, s26
	s_and_saveexec_b32 s25, s24
	s_cbranch_execnz .LBB23_688
	s_branch .LBB23_689
.LBB23_794:
	s_mov_b32 s26, -1
	s_mov_b32 s0, s22
	s_branch .LBB23_798
.LBB23_795:
	s_or_saveexec_b32 s25, s25
                                        ; implicit-def: $sgpr26
	s_delay_alu instid0(SALU_CYCLE_1)
	s_xor_b32 exec_lo, exec_lo, s25
	s_cbranch_execz .LBB23_700
.LBB23_796:
	v_add_f32_e64 v7, 0x42800000, |v6|
	s_and_not1_b32 s24, s24, exec_lo
	s_mov_b32 s26, 0
	s_delay_alu instid0(VALU_DEP_1) | instskip(NEXT) | instid1(VALU_DEP_1)
	v_and_b32_e32 v7, 0xff, v7
	v_cmp_ne_u32_e32 vcc_lo, 0, v7
	s_and_b32 s27, vcc_lo, exec_lo
	s_delay_alu instid0(SALU_CYCLE_1)
	s_or_b32 s24, s24, s27
	s_or_b32 exec_lo, exec_lo, s25
	v_mov_b32_e32 v8, s26
	s_and_saveexec_b32 s25, s24
	s_cbranch_execnz .LBB23_701
	s_branch .LBB23_702
.LBB23_797:
	s_mov_b32 s0, -1
.LBB23_798:
                                        ; implicit-def: $vgpr5
.LBB23_799:
	s_and_b32 vcc_lo, exec_lo, s26
	s_cbranch_vccz .LBB23_803
; %bb.800:
	v_cmp_eq_u16_e32 vcc_lo, 44, v3
	s_cbranch_vccz .LBB23_802
; %bb.801:
	global_load_u8 v4, v[0:1], off
	s_mov_b32 s0, 0
	s_mov_b32 s25, -1
	s_waitcnt vmcnt(0)
	v_lshlrev_b32_e32 v5, 23, v4
	v_cmp_ne_u32_e32 vcc_lo, 0xff, v4
	s_delay_alu instid0(VALU_DEP_2) | instskip(NEXT) | instid1(VALU_DEP_1)
	v_cvt_f16_f32_e32 v5, v5
	v_cndmask_b32_e32 v5, 0x7e00, v5, vcc_lo
	v_cmp_ne_u32_e32 vcc_lo, 0, v4
	s_delay_alu instid0(VALU_DEP_2)
	v_cndmask_b32_e32 v5, 0, v5, vcc_lo
	s_branch .LBB23_803
.LBB23_802:
	s_mov_b32 s0, -1
                                        ; implicit-def: $vgpr5
.LBB23_803:
	s_mov_b32 s26, 0
.LBB23_804:
	s_delay_alu instid0(SALU_CYCLE_1)
	s_and_b32 vcc_lo, exec_lo, s26
	s_cbranch_vccz .LBB23_808
; %bb.805:
	v_cmp_eq_u16_e32 vcc_lo, 29, v3
	s_cbranch_vccz .LBB23_807
; %bb.806:
	global_load_b64 v[4:5], v[0:1], off
	s_mov_b32 s0, 0
	s_mov_b32 s25, -1
	s_mov_b32 s26, 0
	s_waitcnt vmcnt(0)
	v_clz_i32_u32_e32 v6, v5
	s_delay_alu instid0(VALU_DEP_1) | instskip(NEXT) | instid1(VALU_DEP_1)
	v_min_u32_e32 v6, 32, v6
	v_lshlrev_b64 v[4:5], v6, v[4:5]
	s_delay_alu instid0(VALU_DEP_1) | instskip(NEXT) | instid1(VALU_DEP_1)
	v_min_u32_e32 v4, 1, v4
	v_or_b32_e32 v4, v5, v4
	v_sub_nc_u32_e32 v5, 32, v6
	s_delay_alu instid0(VALU_DEP_2) | instskip(NEXT) | instid1(VALU_DEP_1)
	v_cvt_f32_u32_e32 v4, v4
	v_ldexp_f32 v4, v4, v5
	s_delay_alu instid0(VALU_DEP_1)
	v_cvt_f16_f32_e32 v5, v4
	s_branch .LBB23_809
.LBB23_807:
	s_mov_b32 s0, -1
                                        ; implicit-def: $vgpr5
.LBB23_808:
	s_mov_b32 s26, 0
.LBB23_809:
	s_delay_alu instid0(SALU_CYCLE_1)
	s_and_b32 vcc_lo, exec_lo, s26
	s_cbranch_vccz .LBB23_827
; %bb.810:
	v_cmp_gt_i16_e32 vcc_lo, 27, v3
	s_cbranch_vccnz .LBB23_813
; %bb.811:
	v_cmp_lt_i16_e32 vcc_lo, 27, v3
	s_cbranch_vccz .LBB23_814
; %bb.812:
	global_load_b32 v4, v[0:1], off
	s_mov_b32 s25, 0
	s_waitcnt vmcnt(0)
	v_cvt_f32_u32_e32 v4, v4
	s_delay_alu instid0(VALU_DEP_1)
	v_cvt_f16_f32_e32 v5, v4
	s_branch .LBB23_815
.LBB23_813:
	s_mov_b32 s25, -1
                                        ; implicit-def: $vgpr5
	s_branch .LBB23_818
.LBB23_814:
	s_mov_b32 s25, -1
                                        ; implicit-def: $vgpr5
.LBB23_815:
	s_delay_alu instid0(SALU_CYCLE_1)
	s_and_not1_b32 vcc_lo, exec_lo, s25
	s_cbranch_vccnz .LBB23_817
; %bb.816:
	global_load_u16 v4, v[0:1], off
	s_waitcnt vmcnt(0)
	v_cvt_f16_u16_e32 v5, v4
.LBB23_817:
	s_mov_b32 s25, 0
.LBB23_818:
	s_delay_alu instid0(SALU_CYCLE_1)
	s_and_not1_b32 vcc_lo, exec_lo, s25
	s_cbranch_vccnz .LBB23_826
; %bb.819:
	global_load_u8 v4, v[0:1], off
	s_mov_b32 s25, 0
	s_mov_b32 s27, exec_lo
                                        ; implicit-def: $sgpr26
	s_waitcnt vmcnt(0)
	v_cmpx_lt_i16_e32 0x7f, v4
	s_xor_b32 s27, exec_lo, s27
	s_cbranch_execz .LBB23_840
; %bb.820:
	s_mov_b32 s25, -1
	s_mov_b32 s28, exec_lo
                                        ; implicit-def: $sgpr26
	v_cmpx_eq_u16_e32 0x80, v4
; %bb.821:
	s_movk_i32 s26, 0x7e00
	s_xor_b32 s25, exec_lo, -1
; %bb.822:
	s_or_b32 exec_lo, exec_lo, s28
	s_delay_alu instid0(SALU_CYCLE_1)
	s_and_b32 s25, s25, exec_lo
	s_or_saveexec_b32 s27, s27
	v_mov_b32_e32 v5, s26
	s_xor_b32 exec_lo, exec_lo, s27
	s_cbranch_execnz .LBB23_841
.LBB23_823:
	s_or_b32 exec_lo, exec_lo, s27
	s_and_saveexec_b32 s26, s25
	s_cbranch_execz .LBB23_825
.LBB23_824:
	v_and_b32_e32 v5, 0xffff, v4
	v_lshlrev_b32_e32 v4, 24, v4
	s_delay_alu instid0(VALU_DEP_2) | instskip(NEXT) | instid1(VALU_DEP_2)
	v_and_b32_e32 v6, 7, v5
	v_and_b32_e32 v4, 0x80000000, v4
	s_delay_alu instid0(VALU_DEP_2) | instskip(NEXT) | instid1(VALU_DEP_1)
	v_clz_i32_u32_e32 v7, v6
	v_min_u32_e32 v7, 32, v7
	s_delay_alu instid0(VALU_DEP_1) | instskip(SKIP_1) | instid1(VALU_DEP_2)
	v_subrev_nc_u32_e32 v8, 28, v7
	v_sub_nc_u32_e32 v7, 29, v7
	v_lshlrev_b32_e32 v8, v8, v5
	v_bfe_u32 v5, v5, 3, 4
	s_delay_alu instid0(VALU_DEP_2) | instskip(NEXT) | instid1(VALU_DEP_2)
	v_and_b32_e32 v8, 7, v8
	v_cmp_eq_u32_e32 vcc_lo, 0, v5
	s_delay_alu instid0(VALU_DEP_2) | instskip(NEXT) | instid1(VALU_DEP_1)
	v_dual_cndmask_b32 v5, v5, v7 :: v_dual_cndmask_b32 v6, v6, v8
	v_lshl_add_u32 v5, v5, 23, 0x3b800000
	s_delay_alu instid0(VALU_DEP_2) | instskip(NEXT) | instid1(VALU_DEP_1)
	v_lshlrev_b32_e32 v6, 20, v6
	v_or3_b32 v4, v4, v5, v6
	s_delay_alu instid0(VALU_DEP_1)
	v_cvt_f16_f32_e32 v5, v4
.LBB23_825:
	s_or_b32 exec_lo, exec_lo, s26
.LBB23_826:
	s_mov_b32 s25, -1
.LBB23_827:
	s_mov_b32 s26, 0
.LBB23_828:
	s_delay_alu instid0(SALU_CYCLE_1)
	s_and_b32 vcc_lo, exec_lo, s26
	s_cbranch_vccz .LBB23_861
; %bb.829:
	v_cmp_lt_i16_e32 vcc_lo, 22, v3
	s_cbranch_vccz .LBB23_839
; %bb.830:
	v_cmp_gt_i16_e32 vcc_lo, 24, v3
	s_cbranch_vccnz .LBB23_842
; %bb.831:
	v_cmp_lt_i16_e32 vcc_lo, 24, v3
	s_cbranch_vccz .LBB23_843
; %bb.832:
	global_load_u8 v4, v[0:1], off
	s_mov_b32 s26, exec_lo
                                        ; implicit-def: $sgpr25
	s_waitcnt vmcnt(0)
	v_cmpx_lt_i16_e32 0x7f, v4
	s_xor_b32 s26, exec_lo, s26
	s_cbranch_execz .LBB23_855
; %bb.833:
	s_mov_b32 s24, -1
	s_mov_b32 s27, exec_lo
                                        ; implicit-def: $sgpr25
	v_cmpx_eq_u16_e32 0x80, v4
; %bb.834:
	s_movk_i32 s25, 0x7e00
	s_xor_b32 s24, exec_lo, -1
; %bb.835:
	s_or_b32 exec_lo, exec_lo, s27
	s_delay_alu instid0(SALU_CYCLE_1)
	s_and_b32 s24, s24, exec_lo
	s_or_saveexec_b32 s26, s26
	v_mov_b32_e32 v5, s25
	s_xor_b32 exec_lo, exec_lo, s26
	s_cbranch_execnz .LBB23_856
.LBB23_836:
	s_or_b32 exec_lo, exec_lo, s26
	s_and_saveexec_b32 s25, s24
	s_cbranch_execz .LBB23_838
.LBB23_837:
	v_and_b32_e32 v5, 0xffff, v4
	v_lshlrev_b32_e32 v4, 24, v4
	s_delay_alu instid0(VALU_DEP_2) | instskip(NEXT) | instid1(VALU_DEP_2)
	v_and_b32_e32 v6, 3, v5
	v_and_b32_e32 v4, 0x80000000, v4
	s_delay_alu instid0(VALU_DEP_2) | instskip(NEXT) | instid1(VALU_DEP_1)
	v_clz_i32_u32_e32 v7, v6
	v_min_u32_e32 v7, 32, v7
	s_delay_alu instid0(VALU_DEP_1) | instskip(SKIP_1) | instid1(VALU_DEP_2)
	v_subrev_nc_u32_e32 v8, 29, v7
	v_sub_nc_u32_e32 v7, 30, v7
	v_lshlrev_b32_e32 v8, v8, v5
	v_bfe_u32 v5, v5, 2, 5
	s_delay_alu instid0(VALU_DEP_2) | instskip(NEXT) | instid1(VALU_DEP_2)
	v_and_b32_e32 v8, 3, v8
	v_cmp_eq_u32_e32 vcc_lo, 0, v5
	s_delay_alu instid0(VALU_DEP_2) | instskip(NEXT) | instid1(VALU_DEP_1)
	v_dual_cndmask_b32 v5, v5, v7 :: v_dual_cndmask_b32 v6, v6, v8
	v_lshl_add_u32 v5, v5, 23, 0x37800000
	s_delay_alu instid0(VALU_DEP_2) | instskip(NEXT) | instid1(VALU_DEP_1)
	v_lshlrev_b32_e32 v6, 21, v6
	v_or3_b32 v4, v4, v5, v6
	s_delay_alu instid0(VALU_DEP_1)
	v_cvt_f16_f32_e32 v5, v4
.LBB23_838:
	s_or_b32 exec_lo, exec_lo, s25
	s_mov_b32 s24, 0
	s_branch .LBB23_844
.LBB23_839:
	s_mov_b32 s24, -1
                                        ; implicit-def: $vgpr5
	s_branch .LBB23_850
.LBB23_840:
	s_or_saveexec_b32 s27, s27
	v_mov_b32_e32 v5, s26
	s_xor_b32 exec_lo, exec_lo, s27
	s_cbranch_execz .LBB23_823
.LBB23_841:
	v_cmp_ne_u16_e32 vcc_lo, 0, v4
	v_mov_b32_e32 v5, v4
	s_and_not1_b32 s25, s25, exec_lo
	s_and_b32 s26, vcc_lo, exec_lo
	s_delay_alu instid0(SALU_CYCLE_1)
	s_or_b32 s25, s25, s26
	s_or_b32 exec_lo, exec_lo, s27
	s_and_saveexec_b32 s26, s25
	s_cbranch_execnz .LBB23_824
	s_branch .LBB23_825
.LBB23_842:
	s_mov_b32 s24, -1
                                        ; implicit-def: $vgpr5
	s_branch .LBB23_847
.LBB23_843:
	s_mov_b32 s24, -1
                                        ; implicit-def: $vgpr5
.LBB23_844:
	s_delay_alu instid0(SALU_CYCLE_1)
	s_and_b32 vcc_lo, exec_lo, s24
	s_cbranch_vccz .LBB23_846
; %bb.845:
	global_load_u8 v4, v[0:1], off
	s_waitcnt vmcnt(0)
	v_lshlrev_b32_e32 v4, 24, v4
	s_delay_alu instid0(VALU_DEP_1) | instskip(NEXT) | instid1(VALU_DEP_1)
	v_and_b32_e32 v5, 0x7f000000, v4
	v_clz_i32_u32_e32 v6, v5
	v_add_nc_u32_e32 v8, 0x1000000, v5
	v_cmp_ne_u32_e32 vcc_lo, 0, v5
	s_delay_alu instid0(VALU_DEP_3) | instskip(NEXT) | instid1(VALU_DEP_1)
	v_min_u32_e32 v6, 32, v6
	v_sub_nc_u32_e64 v6, v6, 4 clamp
	s_delay_alu instid0(VALU_DEP_1) | instskip(SKIP_1) | instid1(VALU_DEP_2)
	v_lshlrev_b32_e32 v7, v6, v5
	v_lshlrev_b32_e32 v6, 23, v6
	v_lshrrev_b32_e32 v7, 4, v7
	s_delay_alu instid0(VALU_DEP_1) | instskip(SKIP_1) | instid1(VALU_DEP_2)
	v_sub_nc_u32_e32 v6, v7, v6
	v_ashrrev_i32_e32 v7, 8, v8
	v_add_nc_u32_e32 v6, 0x3c000000, v6
	s_delay_alu instid0(VALU_DEP_1) | instskip(NEXT) | instid1(VALU_DEP_1)
	v_and_or_b32 v6, 0x7f800000, v7, v6
	v_cndmask_b32_e32 v5, 0, v6, vcc_lo
	s_delay_alu instid0(VALU_DEP_1) | instskip(NEXT) | instid1(VALU_DEP_1)
	v_and_or_b32 v4, 0x80000000, v4, v5
	v_cvt_f16_f32_e32 v5, v4
.LBB23_846:
	s_mov_b32 s24, 0
.LBB23_847:
	s_delay_alu instid0(SALU_CYCLE_1)
	s_and_not1_b32 vcc_lo, exec_lo, s24
	s_cbranch_vccnz .LBB23_849
; %bb.848:
	global_load_u8 v4, v[0:1], off
	s_waitcnt vmcnt(0)
	v_lshlrev_b32_e32 v5, 25, v4
	v_lshlrev_b16 v4, 8, v4
	s_delay_alu instid0(VALU_DEP_2) | instskip(NEXT) | instid1(VALU_DEP_2)
	v_lshrrev_b32_e32 v6, 4, v5
	v_and_or_b32 v7, 0x7f00, v4, 0.5
	v_bfe_i32 v4, v4, 0, 16
	s_delay_alu instid0(VALU_DEP_3) | instskip(NEXT) | instid1(VALU_DEP_1)
	v_or_b32_e32 v6, 0x70000000, v6
	v_dual_add_f32 v7, -0.5, v7 :: v_dual_mul_f32 v6, 0x7800000, v6
	v_cmp_gt_u32_e32 vcc_lo, 0x8000000, v5
	s_delay_alu instid0(VALU_DEP_2) | instskip(NEXT) | instid1(VALU_DEP_1)
	v_cndmask_b32_e32 v5, v6, v7, vcc_lo
	v_and_or_b32 v4, 0x80000000, v4, v5
	s_delay_alu instid0(VALU_DEP_1)
	v_cvt_f16_f32_e32 v5, v4
.LBB23_849:
	s_mov_b32 s24, 0
	s_mov_b32 s25, -1
.LBB23_850:
	s_and_not1_b32 vcc_lo, exec_lo, s24
	s_mov_b32 s24, 0
	s_cbranch_vccnz .LBB23_861
; %bb.851:
	v_cmp_lt_i16_e32 vcc_lo, 14, v3
	s_cbranch_vccz .LBB23_854
; %bb.852:
	v_cmp_eq_u16_e32 vcc_lo, 15, v3
	s_cbranch_vccz .LBB23_857
; %bb.853:
	global_load_u16 v4, v[0:1], off
	s_mov_b32 s0, 0
	s_mov_b32 s25, -1
	s_waitcnt vmcnt(0)
	v_lshlrev_b32_e32 v4, 16, v4
	s_delay_alu instid0(VALU_DEP_1)
	v_cvt_f16_f32_e32 v5, v4
	s_branch .LBB23_859
.LBB23_854:
	s_mov_b32 s24, -1
	s_branch .LBB23_858
.LBB23_855:
	s_or_saveexec_b32 s26, s26
	v_mov_b32_e32 v5, s25
	s_xor_b32 exec_lo, exec_lo, s26
	s_cbranch_execz .LBB23_836
.LBB23_856:
	v_cmp_ne_u16_e32 vcc_lo, 0, v4
	v_mov_b32_e32 v5, v4
	s_and_not1_b32 s24, s24, exec_lo
	s_and_b32 s25, vcc_lo, exec_lo
	s_delay_alu instid0(SALU_CYCLE_1)
	s_or_b32 s24, s24, s25
	s_or_b32 exec_lo, exec_lo, s26
	s_and_saveexec_b32 s25, s24
	s_cbranch_execnz .LBB23_837
	s_branch .LBB23_838
.LBB23_857:
	s_mov_b32 s0, -1
.LBB23_858:
                                        ; implicit-def: $vgpr5
.LBB23_859:
	s_and_b32 vcc_lo, exec_lo, s24
	s_mov_b32 s24, 0
	s_cbranch_vccz .LBB23_861
; %bb.860:
	v_cmp_ne_u16_e32 vcc_lo, 11, v3
	s_and_not1_b32 s0, s0, exec_lo
	s_mov_b32 s24, -1
                                        ; implicit-def: $vgpr5
	s_and_b32 s26, vcc_lo, exec_lo
	s_delay_alu instid0(SALU_CYCLE_1)
	s_or_b32 s0, s0, s26
.LBB23_861:
	s_mov_b32 s27, 0
.LBB23_862:
	s_and_b32 s26, s25, exec_lo
	s_and_b32 s25, s27, exec_lo
	s_and_not1_b32 s27, s22, exec_lo
	s_and_b32 s28, s0, exec_lo
	s_and_b32 s0, s24, exec_lo
	s_or_b32 s24, s27, s28
.LBB23_863:
	s_or_b32 exec_lo, exec_lo, s16
	s_delay_alu instid0(SALU_CYCLE_1)
	s_and_not1_b32 s16, s22, exec_lo
	s_and_b32 s22, s24, exec_lo
	s_and_b32 s26, s26, exec_lo
	;; [unrolled: 1-line block ×4, first 2 shown]
	s_or_b32 s22, s16, s22
.LBB23_864:
	s_or_b32 exec_lo, exec_lo, s21
	s_delay_alu instid0(SALU_CYCLE_1)
	s_and_not1_b32 s0, s19, exec_lo
	s_and_b32 s16, s23, exec_lo
	s_and_b32 s23, s25, exec_lo
	s_or_b32 s19, s0, s16
	s_and_not1_b32 s16, s18, exec_lo
	s_and_b32 s18, s22, exec_lo
	s_and_b32 s0, s26, exec_lo
	;; [unrolled: 1-line block ×3, first 2 shown]
	s_or_b32 s18, s16, s18
.LBB23_865:
	s_or_b32 exec_lo, exec_lo, s20
	s_delay_alu instid0(SALU_CYCLE_1)
	s_and_not1_b32 s14, s14, exec_lo
	s_and_b32 s16, s19, exec_lo
	s_and_not1_b32 s15, s15, exec_lo
	s_or_b32 s14, s14, s16
	s_and_b32 s16, s18, exec_lo
	s_and_b32 s0, s0, exec_lo
	;; [unrolled: 1-line block ×4, first 2 shown]
	s_or_b32 s15, s15, s16
.LBB23_866:
	s_or_b32 exec_lo, exec_lo, s17
	s_mov_b32 s16, 0
	s_and_saveexec_b32 s17, s15
	s_cbranch_execnz .LBB23_878
; %bb.867:
	s_or_b32 exec_lo, exec_lo, s17
	s_and_saveexec_b32 s15, s18
	s_delay_alu instid0(SALU_CYCLE_1)
	s_xor_b32 s15, exec_lo, s15
	s_cbranch_execz .LBB23_869
.LBB23_868:
	global_load_u8 v4, v[0:1], off
	s_or_b32 s0, s0, exec_lo
	s_waitcnt vmcnt(0)
	v_cmp_ne_u16_e32 vcc_lo, 0, v4
	v_cndmask_b32_e64 v5, 0, 0x3c00, vcc_lo
.LBB23_869:
	s_or_b32 exec_lo, exec_lo, s15
	s_and_saveexec_b32 s15, s19
	s_cbranch_execz .LBB23_917
; %bb.870:
	v_cmp_gt_i16_e32 vcc_lo, 5, v3
	s_cbranch_vccnz .LBB23_875
; %bb.871:
	v_cmp_gt_i16_e32 vcc_lo, 8, v3
	s_cbranch_vccnz .LBB23_876
	;; [unrolled: 3-line block ×3, first 2 shown]
; %bb.873:
	v_cmp_lt_i16_e32 vcc_lo, 9, v3
	s_cbranch_vccz .LBB23_880
; %bb.874:
	global_load_b64 v[4:5], v[0:1], off
	s_mov_b32 s17, 0
	s_waitcnt vmcnt(0)
	v_cvt_f32_f64_e32 v4, v[4:5]
	s_delay_alu instid0(VALU_DEP_1)
	v_cvt_f16_f32_e32 v5, v4
	s_branch .LBB23_881
.LBB23_875:
                                        ; implicit-def: $vgpr5
	s_branch .LBB23_898
.LBB23_876:
                                        ; implicit-def: $vgpr5
	s_branch .LBB23_887
.LBB23_877:
	s_mov_b32 s17, -1
                                        ; implicit-def: $vgpr5
	s_branch .LBB23_884
.LBB23_878:
	s_cbranch_execnz .LBB23_928
; %bb.879:
	s_mov_b32 s16, exec_lo
	s_and_not1_b32 s18, s18, exec_lo
                                        ; implicit-def: $vgpr5
	s_or_b32 exec_lo, exec_lo, s17
	s_and_saveexec_b32 s15, s18
	s_delay_alu instid0(SALU_CYCLE_1)
	s_xor_b32 s15, exec_lo, s15
	s_cbranch_execnz .LBB23_868
	s_branch .LBB23_869
.LBB23_880:
	s_mov_b32 s17, -1
                                        ; implicit-def: $vgpr5
.LBB23_881:
	s_delay_alu instid0(SALU_CYCLE_1)
	s_and_not1_b32 vcc_lo, exec_lo, s17
	s_cbranch_vccnz .LBB23_883
; %bb.882:
	global_load_b32 v4, v[0:1], off
	s_waitcnt vmcnt(0)
	v_cvt_f16_f32_e32 v5, v4
.LBB23_883:
	s_mov_b32 s17, 0
.LBB23_884:
	s_delay_alu instid0(SALU_CYCLE_1)
	s_and_not1_b32 vcc_lo, exec_lo, s17
	s_cbranch_vccnz .LBB23_886
; %bb.885:
	global_load_b32 v5, v[0:1], off
.LBB23_886:
	s_cbranch_execnz .LBB23_897
.LBB23_887:
	v_cmp_gt_i16_e32 vcc_lo, 6, v3
	s_cbranch_vccnz .LBB23_890
; %bb.888:
	v_cmp_lt_i16_e32 vcc_lo, 6, v3
	s_cbranch_vccz .LBB23_891
; %bb.889:
	global_load_b64 v[4:5], v[0:1], off
	s_mov_b32 s17, 0
	s_waitcnt vmcnt(0)
	v_cvt_f32_f64_e32 v4, v[4:5]
	s_delay_alu instid0(VALU_DEP_1)
	v_cvt_f16_f32_e32 v5, v4
	s_branch .LBB23_892
.LBB23_890:
	s_mov_b32 s17, -1
                                        ; implicit-def: $vgpr5
	s_branch .LBB23_895
.LBB23_891:
	s_mov_b32 s17, -1
                                        ; implicit-def: $vgpr5
.LBB23_892:
	s_delay_alu instid0(SALU_CYCLE_1)
	s_and_not1_b32 vcc_lo, exec_lo, s17
	s_cbranch_vccnz .LBB23_894
; %bb.893:
	global_load_b32 v4, v[0:1], off
	s_waitcnt vmcnt(0)
	v_cvt_f16_f32_e32 v5, v4
.LBB23_894:
	s_mov_b32 s17, 0
.LBB23_895:
	s_delay_alu instid0(SALU_CYCLE_1)
	s_and_not1_b32 vcc_lo, exec_lo, s17
	s_cbranch_vccnz .LBB23_897
; %bb.896:
	global_load_u16 v5, v[0:1], off
.LBB23_897:
	s_cbranch_execnz .LBB23_916
.LBB23_898:
	v_cmp_gt_i16_e32 vcc_lo, 2, v3
	s_cbranch_vccnz .LBB23_902
; %bb.899:
	v_cmp_gt_i16_e32 vcc_lo, 3, v3
	s_cbranch_vccnz .LBB23_903
; %bb.900:
	v_cmp_lt_i16_e32 vcc_lo, 3, v3
	s_cbranch_vccz .LBB23_904
; %bb.901:
	global_load_b64 v[4:5], v[0:1], off
	s_mov_b32 s17, 0
	s_waitcnt vmcnt(0)
	v_xor_b32_e32 v6, v4, v5
	v_cls_i32_e32 v7, v5
	s_delay_alu instid0(VALU_DEP_2) | instskip(NEXT) | instid1(VALU_DEP_2)
	v_ashrrev_i32_e32 v6, 31, v6
	v_add_nc_u32_e32 v7, -1, v7
	s_delay_alu instid0(VALU_DEP_2) | instskip(NEXT) | instid1(VALU_DEP_1)
	v_add_nc_u32_e32 v6, 32, v6
	v_min_u32_e32 v6, v7, v6
	s_delay_alu instid0(VALU_DEP_1) | instskip(NEXT) | instid1(VALU_DEP_1)
	v_lshlrev_b64 v[4:5], v6, v[4:5]
	v_min_u32_e32 v4, 1, v4
	s_delay_alu instid0(VALU_DEP_1) | instskip(SKIP_1) | instid1(VALU_DEP_2)
	v_or_b32_e32 v4, v5, v4
	v_sub_nc_u32_e32 v5, 32, v6
	v_cvt_f32_i32_e32 v4, v4
	s_delay_alu instid0(VALU_DEP_1) | instskip(NEXT) | instid1(VALU_DEP_1)
	v_ldexp_f32 v4, v4, v5
	v_cvt_f16_f32_e32 v5, v4
	s_branch .LBB23_905
.LBB23_902:
                                        ; implicit-def: $vgpr5
	s_branch .LBB23_911
.LBB23_903:
	s_mov_b32 s17, -1
                                        ; implicit-def: $vgpr5
	s_branch .LBB23_908
.LBB23_904:
	s_mov_b32 s17, -1
                                        ; implicit-def: $vgpr5
.LBB23_905:
	s_delay_alu instid0(SALU_CYCLE_1)
	s_and_not1_b32 vcc_lo, exec_lo, s17
	s_cbranch_vccnz .LBB23_907
; %bb.906:
	global_load_b32 v4, v[0:1], off
	s_waitcnt vmcnt(0)
	v_cvt_f32_i32_e32 v4, v4
	s_delay_alu instid0(VALU_DEP_1)
	v_cvt_f16_f32_e32 v5, v4
.LBB23_907:
	s_mov_b32 s17, 0
.LBB23_908:
	s_delay_alu instid0(SALU_CYCLE_1)
	s_and_not1_b32 vcc_lo, exec_lo, s17
	s_cbranch_vccnz .LBB23_910
; %bb.909:
	global_load_u16 v4, v[0:1], off
	s_waitcnt vmcnt(0)
	v_cvt_f16_i16_e32 v5, v4
.LBB23_910:
	s_cbranch_execnz .LBB23_916
.LBB23_911:
	v_cmp_lt_i16_e32 vcc_lo, 0, v3
	s_mov_b32 s17, 0
	s_cbranch_vccz .LBB23_913
; %bb.912:
	global_load_i8 v3, v[0:1], off
	s_waitcnt vmcnt(0)
	v_cvt_f16_i16_e32 v5, v3
	s_branch .LBB23_914
.LBB23_913:
	s_mov_b32 s17, -1
                                        ; implicit-def: $vgpr5
.LBB23_914:
	s_delay_alu instid0(SALU_CYCLE_1)
	s_and_not1_b32 vcc_lo, exec_lo, s17
	s_cbranch_vccnz .LBB23_916
; %bb.915:
	global_load_u8 v0, v[0:1], off
	s_waitcnt vmcnt(0)
	v_cvt_f16_u16_e32 v5, v0
.LBB23_916:
	s_or_b32 s0, s0, exec_lo
.LBB23_917:
	s_or_b32 exec_lo, exec_lo, s15
	s_mov_b32 s18, 0
	s_mov_b32 s17, 0
                                        ; implicit-def: $vgpr4
                                        ; implicit-def: $vgpr0_vgpr1
                                        ; implicit-def: $vgpr3
	s_and_saveexec_b32 s15, s0
	s_cbranch_execz .LBB23_999
; %bb.918:
	s_waitcnt vmcnt(0)
	v_cvt_f32_f16_e32 v0, v5
	s_mov_b32 s0, exec_lo
	s_delay_alu instid0(VALU_DEP_1)
	v_cmpx_nlg_f32_e64 0x7f800000, |v0|
	s_cbranch_execz .LBB23_920
; %bb.919:
	v_mov_b32_e32 v1, 0
	v_mov_b32_e32 v3, 1.0
	global_store_b32 v1, v3, s[8:9]
.LBB23_920:
	s_or_b32 exec_lo, exec_lo, s0
	v_mov_b32_e32 v1, 0
	v_and_b32_e64 v4, 0xff, s12
	global_load_b32 v3, v1, s[10:11]
	v_mul_lo_u32 v1, v2, s2
	v_cmp_gt_i16_e32 vcc_lo, 11, v4
	s_and_b32 vcc_lo, exec_lo, vcc_lo
	s_delay_alu instid0(VALU_DEP_2) | instskip(SKIP_3) | instid1(VALU_DEP_1)
	v_ashrrev_i32_e32 v2, 31, v1
	s_waitcnt vmcnt(0)
	v_fma_mixlo_f16 v6, v3, v0, 0
	v_add_co_u32 v0, s0, s4, v1
	v_add_co_ci_u32_e64 v1, s0, s5, v2, s0
	v_cmp_eq_f32_e64 s0, 1.0, v3
	s_delay_alu instid0(VALU_DEP_1)
	v_cndmask_b32_e64 v3, v6, v5, s0
	s_cbranch_vccnz .LBB23_927
; %bb.921:
	v_cmp_lt_i16_e32 vcc_lo, 25, v4
	s_mov_b32 s17, -1
	s_mov_b32 s0, s14
	s_cbranch_vccz .LBB23_957
; %bb.922:
	v_cmp_lt_i16_e32 vcc_lo, 28, v4
	s_mov_b32 s0, s14
	s_cbranch_vccz .LBB23_941
; %bb.923:
	v_cmp_lt_i16_e32 vcc_lo, 43, v4
	;; [unrolled: 4-line block ×3, first 2 shown]
	s_mov_b32 s0, s14
	s_cbranch_vccz .LBB23_931
; %bb.925:
	v_cmp_eq_u16_e32 vcc_lo, 46, v4
	s_mov_b32 s0, -1
	s_cbranch_vccz .LBB23_930
; %bb.926:
	v_cvt_f32_f16_e32 v2, v3
	v_cmp_o_f16_e32 vcc_lo, v3, v3
	s_mov_b32 s0, 0
	s_mov_b32 s17, 0
	s_delay_alu instid0(VALU_DEP_2) | instskip(NEXT) | instid1(VALU_DEP_1)
	v_bfe_u32 v5, v2, 16, 1
	v_add3_u32 v2, v2, v5, 0x7fff
	s_delay_alu instid0(VALU_DEP_1) | instskip(NEXT) | instid1(VALU_DEP_1)
	v_lshrrev_b32_e32 v2, 16, v2
	v_cndmask_b32_e32 v2, 0x7fc0, v2, vcc_lo
	global_store_b32 v[0:1], v2, off
	s_branch .LBB23_931
.LBB23_927:
	s_mov_b32 s17, -1
	s_mov_b32 s0, s14
	s_branch .LBB23_998
.LBB23_928:
	s_trap 2
	s_sendmsg_rtn_b32 s0, sendmsg(MSG_RTN_GET_DOORBELL)
	s_mov_b32 ttmp2, m0
	s_waitcnt lgkmcnt(0)
	s_and_b32 s0, s0, 0x3ff
	s_delay_alu instid0(SALU_CYCLE_1) | instskip(NEXT) | instid1(SALU_CYCLE_1)
	s_bitset1_b32 s0, 10
	s_mov_b32 m0, s0
	s_sendmsg sendmsg(MSG_INTERRUPT)
	s_mov_b32 m0, ttmp2
.LBB23_929:                             ; =>This Inner Loop Header: Depth=1
	s_sethalt 5
	s_branch .LBB23_929
.LBB23_930:
	s_mov_b32 s17, 0
.LBB23_931:
	s_delay_alu instid0(SALU_CYCLE_1)
	s_and_b32 vcc_lo, exec_lo, s17
	s_cbranch_vccz .LBB23_936
; %bb.932:
	v_cmp_eq_u16_e32 vcc_lo, 44, v4
	s_mov_b32 s0, -1
	s_cbranch_vccz .LBB23_936
; %bb.933:
	v_cvt_f32_f16_e32 v2, v3
	v_mov_b32_e32 v5, 0xff
	s_mov_b32 s17, exec_lo
	s_delay_alu instid0(VALU_DEP_2) | instskip(NEXT) | instid1(VALU_DEP_1)
	v_bfe_u32 v6, v2, 23, 8
	v_cmpx_ne_u32_e32 0xff, v6
; %bb.934:
	v_and_b32_e32 v5, 0x400000, v2
	v_and_or_b32 v6, 0x3fffff, v2, v6
	v_lshrrev_b32_e32 v2, 23, v2
	s_delay_alu instid0(VALU_DEP_3) | instskip(NEXT) | instid1(VALU_DEP_3)
	v_cmp_ne_u32_e32 vcc_lo, 0, v5
	v_cmp_ne_u32_e64 s0, 0, v6
	s_delay_alu instid0(VALU_DEP_1) | instskip(NEXT) | instid1(SALU_CYCLE_1)
	s_and_b32 s0, vcc_lo, s0
	v_cndmask_b32_e64 v5, 0, 1, s0
	s_delay_alu instid0(VALU_DEP_1)
	v_add_nc_u32_e32 v5, v2, v5
; %bb.935:
	s_or_b32 exec_lo, exec_lo, s17
	s_mov_b32 s0, 0
	global_store_b8 v[0:1], v5, off
.LBB23_936:
	s_mov_b32 s17, 0
.LBB23_937:
	s_delay_alu instid0(SALU_CYCLE_1)
	s_and_b32 vcc_lo, exec_lo, s17
	s_cbranch_vccz .LBB23_940
; %bb.938:
	v_cmp_eq_u16_e32 vcc_lo, 29, v4
	s_mov_b32 s0, -1
	s_cbranch_vccz .LBB23_940
; %bb.939:
	v_cvt_f32_f16_e32 v2, v3
	v_mov_b32_e32 v6, 0
	s_mov_b32 s0, 0
	s_mov_b32 s17, 0
	s_delay_alu instid0(VALU_DEP_2)
	v_cvt_u32_f32_e32 v5, v2
	global_store_b64 v[0:1], v[5:6], off
	s_branch .LBB23_941
.LBB23_940:
	s_mov_b32 s17, 0
.LBB23_941:
	s_delay_alu instid0(SALU_CYCLE_1)
	s_and_b32 vcc_lo, exec_lo, s17
	s_cbranch_vccz .LBB23_956
; %bb.942:
	v_cmp_gt_i16_e32 vcc_lo, 27, v4
	s_mov_b32 s17, -1
	s_cbranch_vccnz .LBB23_948
; %bb.943:
	v_cmp_lt_i16_e32 vcc_lo, 27, v4
	s_cbranch_vccz .LBB23_945
; %bb.944:
	v_cvt_f32_f16_e32 v2, v3
	s_mov_b32 s17, 0
	s_delay_alu instid0(VALU_DEP_1)
	v_cvt_u32_f32_e32 v2, v2
	global_store_b32 v[0:1], v2, off
.LBB23_945:
	s_and_not1_b32 vcc_lo, exec_lo, s17
	s_cbranch_vccnz .LBB23_947
; %bb.946:
	v_cvt_u16_f16_e32 v2, v3
	global_store_b16 v[0:1], v2, off
.LBB23_947:
	s_mov_b32 s17, 0
.LBB23_948:
	s_delay_alu instid0(SALU_CYCLE_1)
	s_and_not1_b32 vcc_lo, exec_lo, s17
	s_cbranch_vccnz .LBB23_956
; %bb.949:
	v_cvt_f32_f16_e32 v2, v3
	v_mov_b32_e32 v6, 0x80
	s_mov_b32 s17, exec_lo
	s_delay_alu instid0(VALU_DEP_2) | instskip(NEXT) | instid1(VALU_DEP_1)
	v_and_b32_e32 v5, 0x7fffffff, v2
	v_cmpx_gt_u32_e32 0x43800000, v5
	s_cbranch_execz .LBB23_955
; %bb.950:
	v_cmp_lt_u32_e32 vcc_lo, 0x3bffffff, v5
                                        ; implicit-def: $vgpr5
	s_and_saveexec_b32 s19, vcc_lo
	s_delay_alu instid0(SALU_CYCLE_1)
	s_xor_b32 s19, exec_lo, s19
	s_cbranch_execz .LBB23_1192
; %bb.951:
	v_bfe_u32 v5, v2, 20, 1
	s_mov_b32 s18, exec_lo
	s_delay_alu instid0(VALU_DEP_1) | instskip(NEXT) | instid1(VALU_DEP_1)
	v_add3_u32 v5, v2, v5, 0x487ffff
	v_lshrrev_b32_e32 v5, 20, v5
	s_or_saveexec_b32 s19, s19
                                        ; implicit-def: $sgpr20
	s_delay_alu instid0(SALU_CYCLE_1)
	s_xor_b32 exec_lo, exec_lo, s19
	s_cbranch_execnz .LBB23_1193
.LBB23_952:
	s_or_b32 exec_lo, exec_lo, s19
	v_mov_b32_e32 v6, s20
	s_and_saveexec_b32 s19, s18
.LBB23_953:
	v_lshrrev_b32_e32 v2, 24, v2
	s_delay_alu instid0(VALU_DEP_1)
	v_and_or_b32 v6, 0x80, v2, v5
.LBB23_954:
	s_or_b32 exec_lo, exec_lo, s19
.LBB23_955:
	s_delay_alu instid0(SALU_CYCLE_1)
	s_or_b32 exec_lo, exec_lo, s17
	global_store_b8 v[0:1], v6, off
.LBB23_956:
	s_mov_b32 s17, 0
.LBB23_957:
	s_delay_alu instid0(SALU_CYCLE_1)
	s_and_b32 vcc_lo, exec_lo, s17
	s_mov_b32 s17, 0
	s_cbranch_vccz .LBB23_997
; %bb.958:
	v_cmp_lt_i16_e32 vcc_lo, 22, v4
	s_mov_b32 s18, -1
	s_cbranch_vccz .LBB23_990
; %bb.959:
	v_cmp_gt_i16_e32 vcc_lo, 24, v4
	s_cbranch_vccnz .LBB23_979
; %bb.960:
	v_cmp_lt_i16_e32 vcc_lo, 24, v4
	s_cbranch_vccz .LBB23_968
; %bb.961:
	v_cvt_f32_f16_e32 v2, v3
	v_mov_b32_e32 v6, 0x80
	s_mov_b32 s18, exec_lo
	s_delay_alu instid0(VALU_DEP_2) | instskip(NEXT) | instid1(VALU_DEP_1)
	v_and_b32_e32 v5, 0x7fffffff, v2
	v_cmpx_gt_u32_e32 0x47800000, v5
	s_cbranch_execz .LBB23_967
; %bb.962:
	v_cmp_lt_u32_e32 vcc_lo, 0x37ffffff, v5
	s_mov_b32 s19, 0
                                        ; implicit-def: $vgpr5
	s_and_saveexec_b32 s20, vcc_lo
	s_delay_alu instid0(SALU_CYCLE_1)
	s_xor_b32 s20, exec_lo, s20
	s_cbranch_execz .LBB23_1236
; %bb.963:
	v_bfe_u32 v5, v2, 21, 1
	s_mov_b32 s19, exec_lo
	s_delay_alu instid0(VALU_DEP_1) | instskip(NEXT) | instid1(VALU_DEP_1)
	v_add3_u32 v5, v2, v5, 0x88fffff
	v_lshrrev_b32_e32 v5, 21, v5
	s_or_saveexec_b32 s20, s20
                                        ; implicit-def: $sgpr21
	s_delay_alu instid0(SALU_CYCLE_1)
	s_xor_b32 exec_lo, exec_lo, s20
	s_cbranch_execnz .LBB23_1237
.LBB23_964:
	s_or_b32 exec_lo, exec_lo, s20
	v_mov_b32_e32 v6, s21
	s_and_saveexec_b32 s20, s19
.LBB23_965:
	v_lshrrev_b32_e32 v2, 24, v2
	s_delay_alu instid0(VALU_DEP_1)
	v_and_or_b32 v6, 0x80, v2, v5
.LBB23_966:
	s_or_b32 exec_lo, exec_lo, s20
.LBB23_967:
	s_delay_alu instid0(SALU_CYCLE_1)
	s_or_b32 exec_lo, exec_lo, s18
	s_mov_b32 s18, 0
	global_store_b8 v[0:1], v6, off
.LBB23_968:
	s_and_b32 vcc_lo, exec_lo, s18
	s_cbranch_vccz .LBB23_978
; %bb.969:
	v_cvt_f32_f16_e32 v2, v3
	s_mov_b32 s18, exec_lo
                                        ; implicit-def: $vgpr5
	s_delay_alu instid0(VALU_DEP_1) | instskip(NEXT) | instid1(VALU_DEP_1)
	v_and_b32_e32 v6, 0x7fffffff, v2
	v_cmpx_gt_u32_e32 0x43f00000, v6
	s_xor_b32 s18, exec_lo, s18
	s_cbranch_execz .LBB23_975
; %bb.970:
	s_mov_b32 s19, exec_lo
                                        ; implicit-def: $vgpr5
	v_cmpx_lt_u32_e32 0x3c7fffff, v6
	s_xor_b32 s19, exec_lo, s19
; %bb.971:
	v_bfe_u32 v5, v2, 20, 1
	s_delay_alu instid0(VALU_DEP_1) | instskip(NEXT) | instid1(VALU_DEP_1)
	v_add3_u32 v5, v2, v5, 0x407ffff
	v_and_b32_e32 v6, 0xff00000, v5
	v_lshrrev_b32_e32 v5, 20, v5
	s_delay_alu instid0(VALU_DEP_2) | instskip(NEXT) | instid1(VALU_DEP_2)
	v_cmp_ne_u32_e32 vcc_lo, 0x7f00000, v6
	v_cndmask_b32_e32 v5, 0x7e, v5, vcc_lo
; %bb.972:
	s_and_not1_saveexec_b32 s19, s19
; %bb.973:
	v_add_f32_e64 v5, 0x46800000, |v2|
; %bb.974:
	s_or_b32 exec_lo, exec_lo, s19
                                        ; implicit-def: $vgpr6
.LBB23_975:
	s_and_not1_saveexec_b32 s18, s18
; %bb.976:
	v_mov_b32_e32 v5, 0x7f
	v_cmp_lt_u32_e32 vcc_lo, 0x7f800000, v6
	s_delay_alu instid0(VALU_DEP_2)
	v_cndmask_b32_e32 v5, 0x7e, v5, vcc_lo
; %bb.977:
	s_or_b32 exec_lo, exec_lo, s18
	v_lshrrev_b32_e32 v2, 24, v2
	s_delay_alu instid0(VALU_DEP_1)
	v_and_or_b32 v2, 0x80, v2, v5
	global_store_b8 v[0:1], v2, off
.LBB23_978:
	s_mov_b32 s18, 0
.LBB23_979:
	s_delay_alu instid0(SALU_CYCLE_1)
	s_and_not1_b32 vcc_lo, exec_lo, s18
	s_cbranch_vccnz .LBB23_989
; %bb.980:
	v_cvt_f32_f16_e32 v2, v3
	s_mov_b32 s18, exec_lo
                                        ; implicit-def: $vgpr5
	s_delay_alu instid0(VALU_DEP_1) | instskip(NEXT) | instid1(VALU_DEP_1)
	v_and_b32_e32 v6, 0x7fffffff, v2
	v_cmpx_gt_u32_e32 0x47800000, v6
	s_xor_b32 s18, exec_lo, s18
	s_cbranch_execz .LBB23_986
; %bb.981:
	s_mov_b32 s19, exec_lo
                                        ; implicit-def: $vgpr5
	v_cmpx_lt_u32_e32 0x387fffff, v6
	s_xor_b32 s19, exec_lo, s19
; %bb.982:
	v_bfe_u32 v5, v2, 21, 1
	s_delay_alu instid0(VALU_DEP_1) | instskip(NEXT) | instid1(VALU_DEP_1)
	v_add3_u32 v5, v2, v5, 0x80fffff
	v_lshrrev_b32_e32 v5, 21, v5
; %bb.983:
	s_and_not1_saveexec_b32 s19, s19
; %bb.984:
	v_add_f32_e64 v5, 0x43000000, |v2|
; %bb.985:
	s_or_b32 exec_lo, exec_lo, s19
                                        ; implicit-def: $vgpr6
.LBB23_986:
	s_and_not1_saveexec_b32 s18, s18
; %bb.987:
	v_mov_b32_e32 v5, 0x7f
	v_cmp_lt_u32_e32 vcc_lo, 0x7f800000, v6
	s_delay_alu instid0(VALU_DEP_2)
	v_cndmask_b32_e32 v5, 0x7c, v5, vcc_lo
; %bb.988:
	s_or_b32 exec_lo, exec_lo, s18
	v_lshrrev_b32_e32 v2, 24, v2
	s_delay_alu instid0(VALU_DEP_1)
	v_and_or_b32 v2, 0x80, v2, v5
	global_store_b8 v[0:1], v2, off
.LBB23_989:
	s_mov_b32 s18, 0
.LBB23_990:
	s_delay_alu instid0(SALU_CYCLE_1)
	s_and_not1_b32 vcc_lo, exec_lo, s18
	s_mov_b32 s18, 0
	s_cbranch_vccnz .LBB23_998
; %bb.991:
	v_cmp_lt_i16_e32 vcc_lo, 14, v4
	s_mov_b32 s18, -1
	s_cbranch_vccz .LBB23_995
; %bb.992:
	v_cmp_eq_u16_e32 vcc_lo, 15, v4
	s_mov_b32 s0, -1
	s_cbranch_vccz .LBB23_994
; %bb.993:
	v_cvt_f32_f16_e32 v2, v3
	v_cmp_o_f16_e32 vcc_lo, v3, v3
	s_mov_b32 s0, 0
	s_delay_alu instid0(VALU_DEP_2) | instskip(NEXT) | instid1(VALU_DEP_1)
	v_bfe_u32 v5, v2, 16, 1
	v_add3_u32 v2, v2, v5, 0x7fff
	s_delay_alu instid0(VALU_DEP_1) | instskip(NEXT) | instid1(VALU_DEP_1)
	v_lshrrev_b32_e32 v2, 16, v2
	v_cndmask_b32_e32 v2, 0x7fc0, v2, vcc_lo
	global_store_b16 v[0:1], v2, off
.LBB23_994:
	s_mov_b32 s18, 0
.LBB23_995:
	s_delay_alu instid0(SALU_CYCLE_1)
	s_and_b32 vcc_lo, exec_lo, s18
	s_mov_b32 s18, 0
	s_cbranch_vccz .LBB23_998
; %bb.996:
	v_cmp_ne_u16_e32 vcc_lo, 11, v4
	s_and_not1_b32 s0, s0, exec_lo
	s_mov_b32 s18, -1
	s_and_b32 s19, vcc_lo, exec_lo
	s_delay_alu instid0(SALU_CYCLE_1)
	s_or_b32 s0, s0, s19
	s_branch .LBB23_998
.LBB23_997:
	s_mov_b32 s18, 0
.LBB23_998:
	s_and_not1_b32 s14, s14, exec_lo
	s_and_b32 s0, s0, exec_lo
	s_and_b32 s17, s17, exec_lo
	s_and_b32 s18, s18, exec_lo
	s_or_b32 s14, s14, s0
.LBB23_999:
	s_or_b32 exec_lo, exec_lo, s15
	s_and_saveexec_b32 s0, s14
	s_cbranch_execnz .LBB23_1061
; %bb.1000:
	s_or_b32 exec_lo, exec_lo, s0
	s_and_saveexec_b32 s0, s18
	s_delay_alu instid0(SALU_CYCLE_1)
	s_xor_b32 s0, exec_lo, s0
	s_cbranch_execz .LBB23_1002
.LBB23_1001:
	v_cmp_neq_f16_e32 vcc_lo, 0, v3
	v_cndmask_b32_e64 v2, 0, 1, vcc_lo
	global_store_b8 v[0:1], v2, off
.LBB23_1002:
	s_or_b32 exec_lo, exec_lo, s0
	s_and_saveexec_b32 s0, s17
	s_delay_alu instid0(SALU_CYCLE_1)
	s_xor_b32 s0, exec_lo, s0
	s_cbranch_execz .LBB23_1040
; %bb.1003:
	s_waitcnt vmcnt(0)
	v_cmp_gt_i16_e32 vcc_lo, 5, v4
	s_mov_b32 s14, -1
	s_cbranch_vccnz .LBB23_1024
; %bb.1004:
	v_cmp_gt_i16_e32 vcc_lo, 8, v4
	s_cbranch_vccnz .LBB23_1014
; %bb.1005:
	v_cmp_gt_i16_e32 vcc_lo, 9, v4
	s_cbranch_vccnz .LBB23_1011
; %bb.1006:
	v_cmp_lt_i16_e32 vcc_lo, 9, v4
	s_cbranch_vccz .LBB23_1008
; %bb.1007:
	v_cvt_f32_f16_e32 v2, v3
	v_mov_b32_e32 v7, 0
	s_mov_b32 s14, 0
	s_delay_alu instid0(VALU_DEP_2) | instskip(NEXT) | instid1(VALU_DEP_2)
	v_cvt_f64_f32_e32 v[5:6], v2
	v_mov_b32_e32 v8, v7
	global_store_b128 v[0:1], v[5:8], off
.LBB23_1008:
	s_and_not1_b32 vcc_lo, exec_lo, s14
	s_cbranch_vccnz .LBB23_1010
; %bb.1009:
	v_cvt_f32_f16_e32 v5, v3
	v_mov_b32_e32 v6, 0
	global_store_b64 v[0:1], v[5:6], off
.LBB23_1010:
	s_mov_b32 s14, 0
.LBB23_1011:
	s_delay_alu instid0(SALU_CYCLE_1)
	s_and_not1_b32 vcc_lo, exec_lo, s14
	s_cbranch_vccnz .LBB23_1013
; %bb.1012:
	v_and_b32_e32 v2, 0xffff, v3
	global_store_b32 v[0:1], v2, off
.LBB23_1013:
	s_mov_b32 s14, 0
.LBB23_1014:
	s_delay_alu instid0(SALU_CYCLE_1)
	s_and_not1_b32 vcc_lo, exec_lo, s14
	s_cbranch_vccnz .LBB23_1023
; %bb.1015:
	v_cmp_gt_i16_e32 vcc_lo, 6, v4
	s_mov_b32 s14, -1
	s_cbranch_vccnz .LBB23_1021
; %bb.1016:
	v_cmp_lt_i16_e32 vcc_lo, 6, v4
	s_cbranch_vccz .LBB23_1018
; %bb.1017:
	v_cvt_f32_f16_e32 v2, v3
	s_mov_b32 s14, 0
	s_delay_alu instid0(VALU_DEP_1)
	v_cvt_f64_f32_e32 v[5:6], v2
	global_store_b64 v[0:1], v[5:6], off
.LBB23_1018:
	s_and_not1_b32 vcc_lo, exec_lo, s14
	s_cbranch_vccnz .LBB23_1020
; %bb.1019:
	v_cvt_f32_f16_e32 v2, v3
	global_store_b32 v[0:1], v2, off
.LBB23_1020:
	s_mov_b32 s14, 0
.LBB23_1021:
	s_delay_alu instid0(SALU_CYCLE_1)
	s_and_not1_b32 vcc_lo, exec_lo, s14
	s_cbranch_vccnz .LBB23_1023
; %bb.1022:
	global_store_b16 v[0:1], v3, off
.LBB23_1023:
	s_mov_b32 s14, 0
.LBB23_1024:
	s_delay_alu instid0(SALU_CYCLE_1)
	s_and_not1_b32 vcc_lo, exec_lo, s14
	s_cbranch_vccnz .LBB23_1040
; %bb.1025:
	v_cmp_gt_i16_e32 vcc_lo, 2, v4
	s_mov_b32 s14, -1
	s_cbranch_vccnz .LBB23_1035
; %bb.1026:
	v_cmp_gt_i16_e32 vcc_lo, 3, v4
	s_cbranch_vccnz .LBB23_1032
; %bb.1027:
	v_cmp_lt_i16_e32 vcc_lo, 3, v4
	s_cbranch_vccz .LBB23_1029
; %bb.1028:
	v_cvt_f32_f16_e32 v2, v3
	s_mov_b32 s14, 0
	s_delay_alu instid0(VALU_DEP_1) | instskip(NEXT) | instid1(VALU_DEP_1)
	v_cvt_i32_f32_e32 v5, v2
	v_ashrrev_i32_e32 v6, 31, v5
	global_store_b64 v[0:1], v[5:6], off
.LBB23_1029:
	s_and_not1_b32 vcc_lo, exec_lo, s14
	s_cbranch_vccnz .LBB23_1031
; %bb.1030:
	v_cvt_f32_f16_e32 v2, v3
	s_delay_alu instid0(VALU_DEP_1)
	v_cvt_i32_f32_e32 v2, v2
	global_store_b32 v[0:1], v2, off
.LBB23_1031:
	s_mov_b32 s14, 0
.LBB23_1032:
	s_delay_alu instid0(SALU_CYCLE_1)
	s_and_not1_b32 vcc_lo, exec_lo, s14
	s_cbranch_vccnz .LBB23_1034
; %bb.1033:
	v_cvt_i16_f16_e32 v2, v3
	global_store_b16 v[0:1], v2, off
.LBB23_1034:
	s_mov_b32 s14, 0
.LBB23_1035:
	s_delay_alu instid0(SALU_CYCLE_1)
	s_and_not1_b32 vcc_lo, exec_lo, s14
	s_cbranch_vccnz .LBB23_1040
; %bb.1036:
	v_cmp_lt_i16_e32 vcc_lo, 0, v4
	s_mov_b32 s14, -1
	s_cbranch_vccz .LBB23_1038
; %bb.1037:
	v_cvt_i16_f16_e32 v2, v3
	s_mov_b32 s14, 0
	global_store_b8 v[0:1], v2, off
.LBB23_1038:
	s_and_not1_b32 vcc_lo, exec_lo, s14
	s_cbranch_vccnz .LBB23_1040
; %bb.1039:
	v_cvt_f32_f16_e32 v2, v3
	s_delay_alu instid0(VALU_DEP_1)
	v_cvt_i32_f32_e32 v2, v2
	global_store_b8 v[0:1], v2, off
.LBB23_1040:
	s_or_b32 exec_lo, exec_lo, s0
	s_delay_alu instid0(SALU_CYCLE_1)
	s_and_b32 s14, s16, exec_lo
                                        ; implicit-def: $vgpr2
                                        ; implicit-def: $vgpr3
.LBB23_1041:
	s_or_saveexec_b32 s13, s13
	s_mov_b32 s0, 0
                                        ; implicit-def: $vgpr4
                                        ; implicit-def: $vgpr0_vgpr1
                                        ; implicit-def: $vgpr5
	s_xor_b32 exec_lo, exec_lo, s13
	s_cbranch_execz .LBB23_2014
; %bb.1042:
	v_mul_lo_u32 v6, s3, v2
	v_cmp_gt_i16_e32 vcc_lo, 11, v3
	s_delay_alu instid0(VALU_DEP_2) | instskip(SKIP_1) | instid1(VALU_DEP_1)
	v_ashrrev_i32_e32 v1, 31, v6
	v_add_co_u32 v0, s0, s6, v6
	v_add_co_ci_u32_e64 v1, s0, s7, v1, s0
	s_cbranch_vccnz .LBB23_1049
; %bb.1043:
	v_cmp_lt_i16_e32 vcc_lo, 25, v3
	s_mov_b32 s15, 0
	s_cbranch_vccz .LBB23_1055
; %bb.1044:
	v_cmp_lt_i16_e32 vcc_lo, 28, v3
	s_cbranch_vccz .LBB23_1057
; %bb.1045:
	v_cmp_lt_i16_e32 vcc_lo, 43, v3
	s_cbranch_vccz .LBB23_1059
; %bb.1046:
	v_cmp_lt_i16_e32 vcc_lo, 45, v3
	s_cbranch_vccz .LBB23_1063
; %bb.1047:
	v_cmp_eq_u16_e32 vcc_lo, 46, v3
	s_cbranch_vccz .LBB23_1103
; %bb.1048:
	global_load_b32 v4, v[0:1], off
	s_mov_b32 s0, 0
	s_mov_b32 s16, -1
	s_waitcnt vmcnt(0)
	v_lshlrev_b32_e32 v4, 16, v4
	s_delay_alu instid0(VALU_DEP_1)
	v_cvt_f16_f32_e32 v5, v4
	s_branch .LBB23_1105
.LBB23_1049:
	s_mov_b32 s16, 0
	s_mov_b32 s1, s14
                                        ; implicit-def: $vgpr5
	s_cbranch_execz .LBB23_1168
; %bb.1050:
	v_cmp_gt_i16_e32 vcc_lo, 5, v3
	s_cbranch_vccnz .LBB23_1056
; %bb.1051:
	v_cmp_gt_i16_e32 vcc_lo, 8, v3
	s_cbranch_vccnz .LBB23_1058
	;; [unrolled: 3-line block ×3, first 2 shown]
; %bb.1053:
	v_cmp_lt_i16_e32 vcc_lo, 9, v3
	s_cbranch_vccz .LBB23_1064
; %bb.1054:
	global_load_b64 v[4:5], v[0:1], off
	s_mov_b32 s0, 0
	s_waitcnt vmcnt(0)
	v_cvt_f32_f64_e32 v4, v[4:5]
	s_delay_alu instid0(VALU_DEP_1)
	v_cvt_f16_f32_e32 v5, v4
	s_branch .LBB23_1065
.LBB23_1055:
	s_mov_b32 s16, 0
	s_mov_b32 s0, 0
                                        ; implicit-def: $vgpr5
	s_cbranch_execnz .LBB23_1133
	s_branch .LBB23_1164
.LBB23_1056:
                                        ; implicit-def: $vgpr5
	s_branch .LBB23_1082
.LBB23_1057:
	s_mov_b32 s1, -1
	s_mov_b32 s16, 0
	s_mov_b32 s0, 0
                                        ; implicit-def: $vgpr5
	s_branch .LBB23_1114
.LBB23_1058:
                                        ; implicit-def: $vgpr5
	s_branch .LBB23_1071
.LBB23_1059:
	s_mov_b32 s16, 0
	s_mov_b32 s0, 0
                                        ; implicit-def: $vgpr5
	s_cbranch_execnz .LBB23_1110
	s_branch .LBB23_1113
.LBB23_1060:
	s_mov_b32 s0, -1
                                        ; implicit-def: $vgpr5
	s_branch .LBB23_1068
.LBB23_1061:
	s_cbranch_execnz .LBB23_1101
; %bb.1062:
	s_or_b32 s16, s16, exec_lo
	s_and_not1_b32 s18, s18, exec_lo
	s_or_b32 exec_lo, exec_lo, s0
	s_and_saveexec_b32 s0, s18
	s_delay_alu instid0(SALU_CYCLE_1)
	s_xor_b32 s0, exec_lo, s0
	s_cbranch_execnz .LBB23_1001
	s_branch .LBB23_1002
.LBB23_1063:
	s_mov_b32 s1, -1
	s_mov_b32 s16, 0
	s_mov_b32 s0, 0
	s_branch .LBB23_1104
.LBB23_1064:
	s_mov_b32 s0, -1
                                        ; implicit-def: $vgpr5
.LBB23_1065:
	s_delay_alu instid0(SALU_CYCLE_1)
	s_and_not1_b32 vcc_lo, exec_lo, s0
	s_cbranch_vccnz .LBB23_1067
; %bb.1066:
	global_load_b32 v4, v[0:1], off
	s_waitcnt vmcnt(0)
	v_cvt_f16_f32_e32 v5, v4
.LBB23_1067:
	s_mov_b32 s0, 0
.LBB23_1068:
	s_delay_alu instid0(SALU_CYCLE_1)
	s_and_not1_b32 vcc_lo, exec_lo, s0
	s_cbranch_vccnz .LBB23_1070
; %bb.1069:
	global_load_b32 v5, v[0:1], off
.LBB23_1070:
	s_cbranch_execnz .LBB23_1081
.LBB23_1071:
	v_cmp_gt_i16_e32 vcc_lo, 6, v3
	s_cbranch_vccnz .LBB23_1074
; %bb.1072:
	v_cmp_lt_i16_e32 vcc_lo, 6, v3
	s_cbranch_vccz .LBB23_1075
; %bb.1073:
	global_load_b64 v[4:5], v[0:1], off
	s_mov_b32 s0, 0
	s_waitcnt vmcnt(0)
	v_cvt_f32_f64_e32 v4, v[4:5]
	s_delay_alu instid0(VALU_DEP_1)
	v_cvt_f16_f32_e32 v5, v4
	s_branch .LBB23_1076
.LBB23_1074:
	s_mov_b32 s0, -1
                                        ; implicit-def: $vgpr5
	s_branch .LBB23_1079
.LBB23_1075:
	s_mov_b32 s0, -1
                                        ; implicit-def: $vgpr5
.LBB23_1076:
	s_delay_alu instid0(SALU_CYCLE_1)
	s_and_not1_b32 vcc_lo, exec_lo, s0
	s_cbranch_vccnz .LBB23_1078
; %bb.1077:
	global_load_b32 v4, v[0:1], off
	s_waitcnt vmcnt(0)
	v_cvt_f16_f32_e32 v5, v4
.LBB23_1078:
	s_mov_b32 s0, 0
.LBB23_1079:
	s_delay_alu instid0(SALU_CYCLE_1)
	s_and_not1_b32 vcc_lo, exec_lo, s0
	s_cbranch_vccnz .LBB23_1081
; %bb.1080:
	global_load_u16 v5, v[0:1], off
.LBB23_1081:
	s_cbranch_execnz .LBB23_1100
.LBB23_1082:
	v_cmp_gt_i16_e32 vcc_lo, 2, v3
	s_cbranch_vccnz .LBB23_1086
; %bb.1083:
	v_cmp_gt_i16_e32 vcc_lo, 3, v3
	s_cbranch_vccnz .LBB23_1087
; %bb.1084:
	v_cmp_lt_i16_e32 vcc_lo, 3, v3
	s_cbranch_vccz .LBB23_1088
; %bb.1085:
	global_load_b64 v[4:5], v[0:1], off
	s_mov_b32 s0, 0
	s_waitcnt vmcnt(0)
	v_xor_b32_e32 v7, v4, v5
	v_cls_i32_e32 v8, v5
	s_delay_alu instid0(VALU_DEP_2) | instskip(NEXT) | instid1(VALU_DEP_2)
	v_ashrrev_i32_e32 v7, 31, v7
	v_add_nc_u32_e32 v8, -1, v8
	s_delay_alu instid0(VALU_DEP_2) | instskip(NEXT) | instid1(VALU_DEP_1)
	v_add_nc_u32_e32 v7, 32, v7
	v_min_u32_e32 v7, v8, v7
	s_delay_alu instid0(VALU_DEP_1) | instskip(NEXT) | instid1(VALU_DEP_1)
	v_lshlrev_b64 v[4:5], v7, v[4:5]
	v_min_u32_e32 v4, 1, v4
	s_delay_alu instid0(VALU_DEP_1) | instskip(SKIP_1) | instid1(VALU_DEP_2)
	v_or_b32_e32 v4, v5, v4
	v_sub_nc_u32_e32 v5, 32, v7
	v_cvt_f32_i32_e32 v4, v4
	s_delay_alu instid0(VALU_DEP_1) | instskip(NEXT) | instid1(VALU_DEP_1)
	v_ldexp_f32 v4, v4, v5
	v_cvt_f16_f32_e32 v5, v4
	s_branch .LBB23_1089
.LBB23_1086:
                                        ; implicit-def: $vgpr5
	s_branch .LBB23_1095
.LBB23_1087:
	s_mov_b32 s0, -1
                                        ; implicit-def: $vgpr5
	s_branch .LBB23_1092
.LBB23_1088:
	s_mov_b32 s0, -1
                                        ; implicit-def: $vgpr5
.LBB23_1089:
	s_delay_alu instid0(SALU_CYCLE_1)
	s_and_not1_b32 vcc_lo, exec_lo, s0
	s_cbranch_vccnz .LBB23_1091
; %bb.1090:
	global_load_b32 v4, v[0:1], off
	s_waitcnt vmcnt(0)
	v_cvt_f32_i32_e32 v4, v4
	s_delay_alu instid0(VALU_DEP_1)
	v_cvt_f16_f32_e32 v5, v4
.LBB23_1091:
	s_mov_b32 s0, 0
.LBB23_1092:
	s_delay_alu instid0(SALU_CYCLE_1)
	s_and_not1_b32 vcc_lo, exec_lo, s0
	s_cbranch_vccnz .LBB23_1094
; %bb.1093:
	global_load_u16 v4, v[0:1], off
	s_waitcnt vmcnt(0)
	v_cvt_f16_i16_e32 v5, v4
.LBB23_1094:
	s_cbranch_execnz .LBB23_1100
.LBB23_1095:
	v_cmp_lt_i16_e32 vcc_lo, 0, v3
	s_mov_b32 s0, 0
	s_cbranch_vccz .LBB23_1097
; %bb.1096:
	global_load_i8 v4, v[0:1], off
	s_waitcnt vmcnt(0)
	v_cvt_f16_i16_e32 v5, v4
	s_branch .LBB23_1098
.LBB23_1097:
	s_mov_b32 s0, -1
                                        ; implicit-def: $vgpr5
.LBB23_1098:
	s_delay_alu instid0(SALU_CYCLE_1)
	s_and_not1_b32 vcc_lo, exec_lo, s0
	s_cbranch_vccnz .LBB23_1100
; %bb.1099:
	global_load_u8 v0, v[0:1], off
	s_waitcnt vmcnt(0)
	v_cvt_f16_u16_e32 v5, v0
.LBB23_1100:
	s_branch .LBB23_1169
.LBB23_1101:
	s_trap 2
	s_sendmsg_rtn_b32 s0, sendmsg(MSG_RTN_GET_DOORBELL)
	s_mov_b32 ttmp2, m0
	s_waitcnt lgkmcnt(0)
	s_and_b32 s0, s0, 0x3ff
	s_delay_alu instid0(SALU_CYCLE_1) | instskip(NEXT) | instid1(SALU_CYCLE_1)
	s_bitset1_b32 s0, 10
	s_mov_b32 m0, s0
	s_sendmsg sendmsg(MSG_INTERRUPT)
	s_mov_b32 m0, ttmp2
.LBB23_1102:                            ; =>This Inner Loop Header: Depth=1
	s_sethalt 5
	s_branch .LBB23_1102
.LBB23_1103:
	s_mov_b32 s0, -1
	s_mov_b32 s16, 0
.LBB23_1104:
                                        ; implicit-def: $vgpr5
.LBB23_1105:
	s_and_b32 vcc_lo, exec_lo, s1
	s_cbranch_vccz .LBB23_1108
; %bb.1106:
	v_cmp_eq_u16_e32 vcc_lo, 44, v3
	s_cbranch_vccz .LBB23_1109
; %bb.1107:
	global_load_u8 v4, v[0:1], off
	s_mov_b32 s0, 0
	s_mov_b32 s16, -1
	s_waitcnt vmcnt(0)
	v_lshlrev_b32_e32 v5, 23, v4
	v_cmp_ne_u32_e32 vcc_lo, 0xff, v4
	s_delay_alu instid0(VALU_DEP_2) | instskip(NEXT) | instid1(VALU_DEP_1)
	v_cvt_f16_f32_e32 v5, v5
	v_cndmask_b32_e32 v5, 0x7e00, v5, vcc_lo
	v_cmp_ne_u32_e32 vcc_lo, 0, v4
	s_delay_alu instid0(VALU_DEP_2)
	v_cndmask_b32_e32 v5, 0, v5, vcc_lo
.LBB23_1108:
	s_branch .LBB23_1113
.LBB23_1109:
	s_mov_b32 s0, -1
                                        ; implicit-def: $vgpr5
	s_branch .LBB23_1113
.LBB23_1110:
	v_cmp_eq_u16_e32 vcc_lo, 29, v3
	s_cbranch_vccz .LBB23_1112
; %bb.1111:
	global_load_b64 v[4:5], v[0:1], off
	s_mov_b32 s0, 0
	s_mov_b32 s16, -1
	s_mov_b32 s1, 0
	s_waitcnt vmcnt(0)
	v_clz_i32_u32_e32 v7, v5
	s_delay_alu instid0(VALU_DEP_1) | instskip(NEXT) | instid1(VALU_DEP_1)
	v_min_u32_e32 v7, 32, v7
	v_lshlrev_b64 v[4:5], v7, v[4:5]
	s_delay_alu instid0(VALU_DEP_1) | instskip(NEXT) | instid1(VALU_DEP_1)
	v_min_u32_e32 v4, 1, v4
	v_or_b32_e32 v4, v5, v4
	v_sub_nc_u32_e32 v5, 32, v7
	s_delay_alu instid0(VALU_DEP_2) | instskip(NEXT) | instid1(VALU_DEP_1)
	v_cvt_f32_u32_e32 v4, v4
	v_ldexp_f32 v4, v4, v5
	s_delay_alu instid0(VALU_DEP_1)
	v_cvt_f16_f32_e32 v5, v4
	s_branch .LBB23_1114
.LBB23_1112:
	s_mov_b32 s0, -1
                                        ; implicit-def: $vgpr5
.LBB23_1113:
	s_mov_b32 s1, 0
.LBB23_1114:
	s_delay_alu instid0(SALU_CYCLE_1)
	s_and_b32 vcc_lo, exec_lo, s1
	s_cbranch_vccz .LBB23_1132
; %bb.1115:
	v_cmp_gt_i16_e32 vcc_lo, 27, v3
	s_cbranch_vccnz .LBB23_1118
; %bb.1116:
	v_cmp_lt_i16_e32 vcc_lo, 27, v3
	s_cbranch_vccz .LBB23_1119
; %bb.1117:
	global_load_b32 v4, v[0:1], off
	s_mov_b32 s1, 0
	s_waitcnt vmcnt(0)
	v_cvt_f32_u32_e32 v4, v4
	s_delay_alu instid0(VALU_DEP_1)
	v_cvt_f16_f32_e32 v5, v4
	s_branch .LBB23_1120
.LBB23_1118:
	s_mov_b32 s1, -1
                                        ; implicit-def: $vgpr5
	s_branch .LBB23_1123
.LBB23_1119:
	s_mov_b32 s1, -1
                                        ; implicit-def: $vgpr5
.LBB23_1120:
	s_delay_alu instid0(SALU_CYCLE_1)
	s_and_not1_b32 vcc_lo, exec_lo, s1
	s_cbranch_vccnz .LBB23_1122
; %bb.1121:
	global_load_u16 v4, v[0:1], off
	s_waitcnt vmcnt(0)
	v_cvt_f16_u16_e32 v5, v4
.LBB23_1122:
	s_mov_b32 s1, 0
.LBB23_1123:
	s_delay_alu instid0(SALU_CYCLE_1)
	s_and_not1_b32 vcc_lo, exec_lo, s1
	s_cbranch_vccnz .LBB23_1131
; %bb.1124:
	global_load_u8 v4, v[0:1], off
	s_mov_b32 s1, 0
	s_mov_b32 s17, exec_lo
                                        ; implicit-def: $sgpr16
	s_waitcnt vmcnt(0)
	v_cmpx_lt_i16_e32 0x7f, v4
	s_xor_b32 s17, exec_lo, s17
	s_cbranch_execz .LBB23_1144
; %bb.1125:
	s_mov_b32 s1, -1
	s_mov_b32 s18, exec_lo
                                        ; implicit-def: $sgpr16
	v_cmpx_eq_u16_e32 0x80, v4
; %bb.1126:
	s_movk_i32 s16, 0x7e00
	s_xor_b32 s1, exec_lo, -1
; %bb.1127:
	s_or_b32 exec_lo, exec_lo, s18
	s_delay_alu instid0(SALU_CYCLE_1)
	s_and_b32 s1, s1, exec_lo
	s_or_saveexec_b32 s17, s17
	v_mov_b32_e32 v5, s16
	s_xor_b32 exec_lo, exec_lo, s17
	s_cbranch_execnz .LBB23_1145
.LBB23_1128:
	s_or_b32 exec_lo, exec_lo, s17
	s_and_saveexec_b32 s16, s1
	s_cbranch_execz .LBB23_1130
.LBB23_1129:
	v_and_b32_e32 v5, 0xffff, v4
	s_delay_alu instid0(VALU_DEP_1) | instskip(NEXT) | instid1(VALU_DEP_1)
	v_and_b32_e32 v7, 7, v5
	v_clz_i32_u32_e32 v8, v7
	s_delay_alu instid0(VALU_DEP_1) | instskip(NEXT) | instid1(VALU_DEP_1)
	v_min_u32_e32 v8, 32, v8
	v_subrev_nc_u32_e32 v9, 28, v8
	v_sub_nc_u32_e32 v8, 29, v8
	s_delay_alu instid0(VALU_DEP_2) | instskip(SKIP_1) | instid1(VALU_DEP_2)
	v_lshlrev_b32_e32 v9, v9, v5
	v_bfe_u32 v5, v5, 3, 4
	v_and_b32_e32 v9, 7, v9
	s_delay_alu instid0(VALU_DEP_2) | instskip(NEXT) | instid1(VALU_DEP_2)
	v_cmp_eq_u32_e32 vcc_lo, 0, v5
	v_dual_cndmask_b32 v7, v7, v9 :: v_dual_lshlrev_b32 v4, 24, v4
	v_cndmask_b32_e32 v5, v5, v8, vcc_lo
	s_delay_alu instid0(VALU_DEP_2) | instskip(NEXT) | instid1(VALU_DEP_3)
	v_and_b32_e32 v4, 0x80000000, v4
	v_lshlrev_b32_e32 v7, 20, v7
	s_delay_alu instid0(VALU_DEP_3) | instskip(NEXT) | instid1(VALU_DEP_1)
	v_lshl_add_u32 v5, v5, 23, 0x3b800000
	v_or3_b32 v4, v4, v5, v7
	s_delay_alu instid0(VALU_DEP_1)
	v_cvt_f16_f32_e32 v5, v4
.LBB23_1130:
	s_or_b32 exec_lo, exec_lo, s16
.LBB23_1131:
	s_mov_b32 s16, -1
.LBB23_1132:
	s_branch .LBB23_1164
.LBB23_1133:
	v_cmp_lt_i16_e32 vcc_lo, 22, v3
	s_cbranch_vccz .LBB23_1143
; %bb.1134:
	v_cmp_gt_i16_e32 vcc_lo, 24, v3
	s_cbranch_vccnz .LBB23_1146
; %bb.1135:
	v_cmp_lt_i16_e32 vcc_lo, 24, v3
	s_cbranch_vccz .LBB23_1147
; %bb.1136:
	global_load_u8 v4, v[0:1], off
	s_mov_b32 s1, 0
	s_mov_b32 s16, exec_lo
                                        ; implicit-def: $sgpr15
	s_waitcnt vmcnt(0)
	v_cmpx_lt_i16_e32 0x7f, v4
	s_xor_b32 s16, exec_lo, s16
	s_cbranch_execz .LBB23_1158
; %bb.1137:
	s_mov_b32 s1, -1
	s_mov_b32 s17, exec_lo
                                        ; implicit-def: $sgpr15
	v_cmpx_eq_u16_e32 0x80, v4
; %bb.1138:
	s_movk_i32 s15, 0x7e00
	s_xor_b32 s1, exec_lo, -1
; %bb.1139:
	s_or_b32 exec_lo, exec_lo, s17
	s_delay_alu instid0(SALU_CYCLE_1)
	s_and_b32 s1, s1, exec_lo
	s_or_saveexec_b32 s16, s16
	v_mov_b32_e32 v5, s15
	s_xor_b32 exec_lo, exec_lo, s16
	s_cbranch_execnz .LBB23_1159
.LBB23_1140:
	s_or_b32 exec_lo, exec_lo, s16
	s_and_saveexec_b32 s15, s1
	s_cbranch_execz .LBB23_1142
.LBB23_1141:
	v_and_b32_e32 v5, 0xffff, v4
	s_delay_alu instid0(VALU_DEP_1) | instskip(NEXT) | instid1(VALU_DEP_1)
	v_and_b32_e32 v7, 3, v5
	v_clz_i32_u32_e32 v8, v7
	s_delay_alu instid0(VALU_DEP_1) | instskip(NEXT) | instid1(VALU_DEP_1)
	v_min_u32_e32 v8, 32, v8
	v_subrev_nc_u32_e32 v9, 29, v8
	v_sub_nc_u32_e32 v8, 30, v8
	s_delay_alu instid0(VALU_DEP_2) | instskip(SKIP_1) | instid1(VALU_DEP_2)
	v_lshlrev_b32_e32 v9, v9, v5
	v_bfe_u32 v5, v5, 2, 5
	v_and_b32_e32 v9, 3, v9
	s_delay_alu instid0(VALU_DEP_2) | instskip(NEXT) | instid1(VALU_DEP_2)
	v_cmp_eq_u32_e32 vcc_lo, 0, v5
	v_dual_cndmask_b32 v7, v7, v9 :: v_dual_lshlrev_b32 v4, 24, v4
	v_cndmask_b32_e32 v5, v5, v8, vcc_lo
	s_delay_alu instid0(VALU_DEP_2) | instskip(NEXT) | instid1(VALU_DEP_3)
	v_and_b32_e32 v4, 0x80000000, v4
	v_lshlrev_b32_e32 v7, 21, v7
	s_delay_alu instid0(VALU_DEP_3) | instskip(NEXT) | instid1(VALU_DEP_1)
	v_lshl_add_u32 v5, v5, 23, 0x37800000
	v_or3_b32 v4, v4, v5, v7
	s_delay_alu instid0(VALU_DEP_1)
	v_cvt_f16_f32_e32 v5, v4
.LBB23_1142:
	s_or_b32 exec_lo, exec_lo, s15
	s_mov_b32 s1, 0
	s_branch .LBB23_1148
.LBB23_1143:
                                        ; implicit-def: $vgpr5
	s_mov_b32 s15, 0
	s_branch .LBB23_1154
.LBB23_1144:
	s_or_saveexec_b32 s17, s17
	v_mov_b32_e32 v5, s16
	s_xor_b32 exec_lo, exec_lo, s17
	s_cbranch_execz .LBB23_1128
.LBB23_1145:
	v_cmp_ne_u16_e32 vcc_lo, 0, v4
	v_mov_b32_e32 v5, v4
	s_and_not1_b32 s1, s1, exec_lo
	s_and_b32 s16, vcc_lo, exec_lo
	s_delay_alu instid0(SALU_CYCLE_1)
	s_or_b32 s1, s1, s16
	s_or_b32 exec_lo, exec_lo, s17
	s_and_saveexec_b32 s16, s1
	s_cbranch_execnz .LBB23_1129
	s_branch .LBB23_1130
.LBB23_1146:
	s_mov_b32 s1, -1
                                        ; implicit-def: $vgpr5
	s_branch .LBB23_1151
.LBB23_1147:
	s_mov_b32 s1, -1
                                        ; implicit-def: $vgpr5
.LBB23_1148:
	s_delay_alu instid0(SALU_CYCLE_1)
	s_and_b32 vcc_lo, exec_lo, s1
	s_cbranch_vccz .LBB23_1150
; %bb.1149:
	global_load_u8 v4, v[0:1], off
	s_waitcnt vmcnt(0)
	v_lshlrev_b32_e32 v4, 24, v4
	s_delay_alu instid0(VALU_DEP_1) | instskip(NEXT) | instid1(VALU_DEP_1)
	v_and_b32_e32 v5, 0x7f000000, v4
	v_clz_i32_u32_e32 v7, v5
	v_add_nc_u32_e32 v9, 0x1000000, v5
	v_cmp_ne_u32_e32 vcc_lo, 0, v5
	s_delay_alu instid0(VALU_DEP_3) | instskip(NEXT) | instid1(VALU_DEP_1)
	v_min_u32_e32 v7, 32, v7
	v_sub_nc_u32_e64 v7, v7, 4 clamp
	s_delay_alu instid0(VALU_DEP_1) | instskip(SKIP_1) | instid1(VALU_DEP_2)
	v_lshlrev_b32_e32 v8, v7, v5
	v_lshlrev_b32_e32 v7, 23, v7
	v_lshrrev_b32_e32 v8, 4, v8
	s_delay_alu instid0(VALU_DEP_1) | instskip(SKIP_1) | instid1(VALU_DEP_2)
	v_sub_nc_u32_e32 v7, v8, v7
	v_ashrrev_i32_e32 v8, 8, v9
	v_add_nc_u32_e32 v7, 0x3c000000, v7
	s_delay_alu instid0(VALU_DEP_1) | instskip(NEXT) | instid1(VALU_DEP_1)
	v_and_or_b32 v7, 0x7f800000, v8, v7
	v_cndmask_b32_e32 v5, 0, v7, vcc_lo
	s_delay_alu instid0(VALU_DEP_1) | instskip(NEXT) | instid1(VALU_DEP_1)
	v_and_or_b32 v4, 0x80000000, v4, v5
	v_cvt_f16_f32_e32 v5, v4
.LBB23_1150:
	s_mov_b32 s1, 0
.LBB23_1151:
	s_delay_alu instid0(SALU_CYCLE_1)
	s_and_not1_b32 vcc_lo, exec_lo, s1
	s_cbranch_vccnz .LBB23_1153
; %bb.1152:
	global_load_u8 v4, v[0:1], off
	s_waitcnt vmcnt(0)
	v_lshlrev_b32_e32 v5, 25, v4
	v_lshlrev_b16 v4, 8, v4
	s_delay_alu instid0(VALU_DEP_2) | instskip(NEXT) | instid1(VALU_DEP_2)
	v_lshrrev_b32_e32 v7, 4, v5
	v_and_or_b32 v8, 0x7f00, v4, 0.5
	v_cmp_gt_u32_e32 vcc_lo, 0x8000000, v5
	v_bfe_i32 v4, v4, 0, 16
	s_delay_alu instid0(VALU_DEP_4) | instskip(NEXT) | instid1(VALU_DEP_1)
	v_or_b32_e32 v7, 0x70000000, v7
	v_dual_add_f32 v8, -0.5, v8 :: v_dual_mul_f32 v7, 0x7800000, v7
	s_delay_alu instid0(VALU_DEP_1) | instskip(NEXT) | instid1(VALU_DEP_1)
	v_cndmask_b32_e32 v5, v7, v8, vcc_lo
	v_and_or_b32 v4, 0x80000000, v4, v5
	s_delay_alu instid0(VALU_DEP_1)
	v_cvt_f16_f32_e32 v5, v4
.LBB23_1153:
	s_mov_b32 s16, -1
	s_mov_b32 s15, 0
	s_cbranch_execnz .LBB23_1164
.LBB23_1154:
	v_cmp_lt_i16_e32 vcc_lo, 14, v3
	s_cbranch_vccz .LBB23_1157
; %bb.1155:
	v_cmp_eq_u16_e32 vcc_lo, 15, v3
	s_cbranch_vccz .LBB23_1160
; %bb.1156:
	global_load_u16 v4, v[0:1], off
	s_mov_b32 s0, 0
	s_mov_b32 s16, -1
	s_waitcnt vmcnt(0)
	v_lshlrev_b32_e32 v4, 16, v4
	s_delay_alu instid0(VALU_DEP_1)
	v_cvt_f16_f32_e32 v5, v4
	s_branch .LBB23_1161
.LBB23_1157:
	s_mov_b32 s1, -1
                                        ; implicit-def: $vgpr5
	s_branch .LBB23_1162
.LBB23_1158:
	s_or_saveexec_b32 s16, s16
	v_mov_b32_e32 v5, s15
	s_xor_b32 exec_lo, exec_lo, s16
	s_cbranch_execz .LBB23_1140
.LBB23_1159:
	v_cmp_ne_u16_e32 vcc_lo, 0, v4
	v_mov_b32_e32 v5, v4
	s_and_not1_b32 s1, s1, exec_lo
	s_and_b32 s15, vcc_lo, exec_lo
	s_delay_alu instid0(SALU_CYCLE_1)
	s_or_b32 s1, s1, s15
	s_or_b32 exec_lo, exec_lo, s16
	s_and_saveexec_b32 s15, s1
	s_cbranch_execnz .LBB23_1141
	s_branch .LBB23_1142
.LBB23_1160:
	s_mov_b32 s0, -1
                                        ; implicit-def: $vgpr5
.LBB23_1161:
	s_mov_b32 s1, 0
.LBB23_1162:
	s_delay_alu instid0(SALU_CYCLE_1)
	s_and_b32 vcc_lo, exec_lo, s1
	s_cbranch_vccz .LBB23_1164
; %bb.1163:
	v_cmp_ne_u16_e64 s0, 11, v3
	s_mov_b32 s15, -1
                                        ; implicit-def: $vgpr5
.LBB23_1164:
	s_delay_alu instid0(VALU_DEP_1)
	s_and_b32 vcc_lo, exec_lo, s0
	s_mov_b32 s1, s14
	s_cbranch_vccnz .LBB23_1190
; %bb.1165:
	s_and_not1_b32 vcc_lo, exec_lo, s15
	s_cbranch_vccnz .LBB23_1167
.LBB23_1166:
	global_load_u8 v4, v[0:1], off
	s_mov_b32 s16, -1
	s_waitcnt vmcnt(0)
	v_cmp_ne_u16_e32 vcc_lo, 0, v4
	v_cndmask_b32_e64 v5, 0, 0x3c00, vcc_lo
.LBB23_1167:
.LBB23_1168:
	s_and_not1_b32 vcc_lo, exec_lo, s16
	s_cbranch_vccnz .LBB23_2012
.LBB23_1169:
	s_waitcnt vmcnt(0)
	s_delay_alu instid0(VALU_DEP_1) | instskip(SKIP_1) | instid1(VALU_DEP_1)
	v_cvt_f32_f16_e32 v4, v5
	s_mov_b32 s0, exec_lo
	v_cmpx_nlg_f32_e64 0x7f800000, |v4|
	s_cbranch_execz .LBB23_1171
; %bb.1170:
	v_dual_mov_b32 v0, 0 :: v_dual_mov_b32 v1, 1.0
	global_store_b32 v0, v1, s[8:9]
.LBB23_1171:
	s_or_b32 exec_lo, exec_lo, s0
	s_lshl_b32 s3, s3, 7
	s_delay_alu instid0(SALU_CYCLE_1) | instskip(SKIP_4) | instid1(VALU_DEP_1)
	v_dual_mov_b32 v0, 0 :: v_dual_add_nc_u32 v7, s3, v6
	v_cmp_gt_i16_e32 vcc_lo, 11, v3
	global_load_b32 v9, v0, s[10:11]
	v_ashrrev_i32_e32 v1, 31, v7
	v_add_co_u32 v0, s0, s6, v7
	v_add_co_ci_u32_e64 v1, s0, s7, v1, s0
	s_cbranch_vccnz .LBB23_1178
; %bb.1172:
	v_cmp_lt_i16_e32 vcc_lo, 25, v3
	s_mov_b32 s15, 0
	s_cbranch_vccz .LBB23_1184
; %bb.1173:
	v_cmp_lt_i16_e32 vcc_lo, 28, v3
	s_cbranch_vccz .LBB23_1186
; %bb.1174:
	v_cmp_lt_i16_e32 vcc_lo, 43, v3
	;; [unrolled: 3-line block ×3, first 2 shown]
	s_cbranch_vccz .LBB23_1194
; %bb.1176:
	v_cmp_eq_u16_e32 vcc_lo, 46, v3
	s_mov_b32 s17, 0
	s_cbranch_vccz .LBB23_1238
; %bb.1177:
	global_load_b32 v6, v[0:1], off
	s_mov_b32 s0, 0
	s_mov_b32 s16, -1
	s_waitcnt vmcnt(0)
	v_lshlrev_b32_e32 v6, 16, v6
	s_delay_alu instid0(VALU_DEP_1)
	v_cvt_f16_f32_e32 v6, v6
	s_branch .LBB23_1240
.LBB23_1178:
	s_mov_b32 s16, 0
                                        ; implicit-def: $vgpr6
	s_cbranch_execz .LBB23_1305
; %bb.1179:
	v_cmp_gt_i16_e32 vcc_lo, 5, v3
	s_cbranch_vccnz .LBB23_1185
; %bb.1180:
	v_cmp_gt_i16_e32 vcc_lo, 8, v3
	s_cbranch_vccnz .LBB23_1187
	;; [unrolled: 3-line block ×3, first 2 shown]
; %bb.1182:
	v_cmp_lt_i16_e32 vcc_lo, 9, v3
	s_cbranch_vccz .LBB23_1195
; %bb.1183:
	global_load_b64 v[10:11], v[0:1], off
	s_mov_b32 s0, 0
	s_waitcnt vmcnt(0)
	v_cvt_f32_f64_e32 v6, v[10:11]
	s_delay_alu instid0(VALU_DEP_1)
	v_cvt_f16_f32_e32 v6, v6
	s_branch .LBB23_1196
.LBB23_1184:
	s_mov_b32 s16, 0
	s_mov_b32 s0, 0
                                        ; implicit-def: $vgpr6
	s_cbranch_execnz .LBB23_1269
	s_branch .LBB23_1301
.LBB23_1185:
                                        ; implicit-def: $vgpr6
	s_branch .LBB23_1214
.LBB23_1186:
	s_mov_b32 s17, -1
	s_mov_b32 s16, 0
	s_mov_b32 s0, 0
                                        ; implicit-def: $vgpr6
	s_branch .LBB23_1250
.LBB23_1187:
	s_mov_b32 s0, -1
                                        ; implicit-def: $vgpr6
	s_branch .LBB23_1202
.LBB23_1188:
	s_mov_b32 s17, -1
	s_mov_b32 s16, 0
	s_mov_b32 s0, 0
                                        ; implicit-def: $vgpr6
	s_branch .LBB23_1245
.LBB23_1189:
	s_mov_b32 s0, -1
                                        ; implicit-def: $vgpr6
	s_branch .LBB23_1199
.LBB23_1190:
	s_cbranch_execnz .LBB23_1234
; %bb.1191:
	s_or_b32 s1, s14, exec_lo
                                        ; implicit-def: $vgpr5
	s_cbranch_execz .LBB23_1166
	s_branch .LBB23_1167
.LBB23_1192:
	s_or_saveexec_b32 s19, s19
                                        ; implicit-def: $sgpr20
	s_delay_alu instid0(SALU_CYCLE_1)
	s_xor_b32 exec_lo, exec_lo, s19
	s_cbranch_execz .LBB23_952
.LBB23_1193:
	v_add_f32_e64 v5, 0x46000000, |v2|
	s_and_not1_b32 s18, s18, exec_lo
	s_mov_b32 s20, 0
	s_delay_alu instid0(VALU_DEP_1) | instskip(NEXT) | instid1(VALU_DEP_1)
	v_and_b32_e32 v5, 0xff, v5
	v_cmp_ne_u32_e32 vcc_lo, 0, v5
	s_and_b32 s21, vcc_lo, exec_lo
	s_delay_alu instid0(SALU_CYCLE_1)
	s_or_b32 s18, s18, s21
	s_or_b32 exec_lo, exec_lo, s19
	v_mov_b32_e32 v6, s20
	s_and_saveexec_b32 s19, s18
	s_cbranch_execnz .LBB23_953
	s_branch .LBB23_954
.LBB23_1194:
	s_mov_b32 s17, -1
	s_mov_b32 s16, 0
	s_mov_b32 s0, 0
	s_branch .LBB23_1239
.LBB23_1195:
	s_mov_b32 s0, -1
                                        ; implicit-def: $vgpr6
.LBB23_1196:
	s_delay_alu instid0(SALU_CYCLE_1)
	s_and_not1_b32 vcc_lo, exec_lo, s0
	s_cbranch_vccnz .LBB23_1198
; %bb.1197:
	global_load_b32 v6, v[0:1], off
	s_waitcnt vmcnt(0)
	v_cvt_f16_f32_e32 v6, v6
.LBB23_1198:
	s_mov_b32 s0, 0
.LBB23_1199:
	s_delay_alu instid0(SALU_CYCLE_1)
	s_and_not1_b32 vcc_lo, exec_lo, s0
	s_cbranch_vccnz .LBB23_1201
; %bb.1200:
	global_load_b32 v6, v[0:1], off
.LBB23_1201:
	s_mov_b32 s0, 0
.LBB23_1202:
	s_delay_alu instid0(SALU_CYCLE_1)
	s_and_not1_b32 vcc_lo, exec_lo, s0
	s_cbranch_vccnz .LBB23_1213
; %bb.1203:
	v_cmp_gt_i16_e32 vcc_lo, 6, v3
	s_cbranch_vccnz .LBB23_1206
; %bb.1204:
	v_cmp_lt_i16_e32 vcc_lo, 6, v3
	s_cbranch_vccz .LBB23_1207
; %bb.1205:
	global_load_b64 v[10:11], v[0:1], off
	s_mov_b32 s0, 0
	s_waitcnt vmcnt(0)
	v_cvt_f32_f64_e32 v6, v[10:11]
	s_delay_alu instid0(VALU_DEP_1)
	v_cvt_f16_f32_e32 v6, v6
	s_branch .LBB23_1208
.LBB23_1206:
	s_mov_b32 s0, -1
                                        ; implicit-def: $vgpr6
	s_branch .LBB23_1211
.LBB23_1207:
	s_mov_b32 s0, -1
                                        ; implicit-def: $vgpr6
.LBB23_1208:
	s_delay_alu instid0(SALU_CYCLE_1)
	s_and_not1_b32 vcc_lo, exec_lo, s0
	s_cbranch_vccnz .LBB23_1210
; %bb.1209:
	global_load_b32 v6, v[0:1], off
	s_waitcnt vmcnt(0)
	v_cvt_f16_f32_e32 v6, v6
.LBB23_1210:
	s_mov_b32 s0, 0
.LBB23_1211:
	s_delay_alu instid0(SALU_CYCLE_1)
	s_and_not1_b32 vcc_lo, exec_lo, s0
	s_cbranch_vccnz .LBB23_1213
; %bb.1212:
	global_load_u16 v6, v[0:1], off
.LBB23_1213:
	s_cbranch_execnz .LBB23_1233
.LBB23_1214:
	v_cmp_gt_i16_e32 vcc_lo, 2, v3
	s_cbranch_vccnz .LBB23_1218
; %bb.1215:
	v_cmp_gt_i16_e32 vcc_lo, 3, v3
	s_cbranch_vccnz .LBB23_1219
; %bb.1216:
	v_cmp_lt_i16_e32 vcc_lo, 3, v3
	s_cbranch_vccz .LBB23_1220
; %bb.1217:
	global_load_b64 v[10:11], v[0:1], off
	s_mov_b32 s0, 0
	s_waitcnt vmcnt(0)
	v_xor_b32_e32 v6, v10, v11
	v_cls_i32_e32 v8, v11
	s_delay_alu instid0(VALU_DEP_2) | instskip(NEXT) | instid1(VALU_DEP_2)
	v_ashrrev_i32_e32 v6, 31, v6
	v_add_nc_u32_e32 v8, -1, v8
	s_delay_alu instid0(VALU_DEP_2) | instskip(NEXT) | instid1(VALU_DEP_1)
	v_add_nc_u32_e32 v6, 32, v6
	v_min_u32_e32 v6, v8, v6
	s_delay_alu instid0(VALU_DEP_1) | instskip(SKIP_1) | instid1(VALU_DEP_2)
	v_lshlrev_b64 v[10:11], v6, v[10:11]
	v_sub_nc_u32_e32 v6, 32, v6
	v_min_u32_e32 v8, 1, v10
	s_delay_alu instid0(VALU_DEP_1) | instskip(NEXT) | instid1(VALU_DEP_1)
	v_or_b32_e32 v8, v11, v8
	v_cvt_f32_i32_e32 v8, v8
	s_delay_alu instid0(VALU_DEP_1) | instskip(NEXT) | instid1(VALU_DEP_1)
	v_ldexp_f32 v6, v8, v6
	v_cvt_f16_f32_e32 v6, v6
	s_branch .LBB23_1221
.LBB23_1218:
	s_mov_b32 s0, -1
                                        ; implicit-def: $vgpr6
	s_branch .LBB23_1227
.LBB23_1219:
	s_mov_b32 s0, -1
                                        ; implicit-def: $vgpr6
	s_branch .LBB23_1224
.LBB23_1220:
	s_mov_b32 s0, -1
                                        ; implicit-def: $vgpr6
.LBB23_1221:
	s_delay_alu instid0(SALU_CYCLE_1)
	s_and_not1_b32 vcc_lo, exec_lo, s0
	s_cbranch_vccnz .LBB23_1223
; %bb.1222:
	global_load_b32 v6, v[0:1], off
	s_waitcnt vmcnt(0)
	v_cvt_f32_i32_e32 v6, v6
	s_delay_alu instid0(VALU_DEP_1)
	v_cvt_f16_f32_e32 v6, v6
.LBB23_1223:
	s_mov_b32 s0, 0
.LBB23_1224:
	s_delay_alu instid0(SALU_CYCLE_1)
	s_and_not1_b32 vcc_lo, exec_lo, s0
	s_cbranch_vccnz .LBB23_1226
; %bb.1225:
	global_load_u16 v6, v[0:1], off
	s_waitcnt vmcnt(0)
	v_cvt_f16_i16_e32 v6, v6
.LBB23_1226:
	s_mov_b32 s0, 0
.LBB23_1227:
	s_delay_alu instid0(SALU_CYCLE_1)
	s_and_not1_b32 vcc_lo, exec_lo, s0
	s_cbranch_vccnz .LBB23_1233
; %bb.1228:
	v_cmp_lt_i16_e32 vcc_lo, 0, v3
	s_mov_b32 s0, 0
	s_cbranch_vccz .LBB23_1230
; %bb.1229:
	global_load_i8 v6, v[0:1], off
	s_waitcnt vmcnt(0)
	v_cvt_f16_i16_e32 v6, v6
	s_branch .LBB23_1231
.LBB23_1230:
	s_mov_b32 s0, -1
                                        ; implicit-def: $vgpr6
.LBB23_1231:
	s_delay_alu instid0(SALU_CYCLE_1)
	s_and_not1_b32 vcc_lo, exec_lo, s0
	s_cbranch_vccnz .LBB23_1233
; %bb.1232:
	global_load_u8 v0, v[0:1], off
	s_waitcnt vmcnt(0)
	v_cvt_f16_u16_e32 v6, v0
.LBB23_1233:
	s_branch .LBB23_1306
.LBB23_1234:
	s_trap 2
	s_sendmsg_rtn_b32 s0, sendmsg(MSG_RTN_GET_DOORBELL)
	s_mov_b32 ttmp2, m0
	s_waitcnt lgkmcnt(0)
	s_and_b32 s0, s0, 0x3ff
	s_delay_alu instid0(SALU_CYCLE_1) | instskip(NEXT) | instid1(SALU_CYCLE_1)
	s_bitset1_b32 s0, 10
	s_mov_b32 m0, s0
	s_sendmsg sendmsg(MSG_INTERRUPT)
	s_mov_b32 m0, ttmp2
.LBB23_1235:                            ; =>This Inner Loop Header: Depth=1
	s_sethalt 5
	s_branch .LBB23_1235
.LBB23_1236:
	s_or_saveexec_b32 s20, s20
                                        ; implicit-def: $sgpr21
	s_delay_alu instid0(SALU_CYCLE_1)
	s_xor_b32 exec_lo, exec_lo, s20
	s_cbranch_execz .LBB23_964
.LBB23_1237:
	v_add_f32_e64 v5, 0x42800000, |v2|
	s_and_not1_b32 s19, s19, exec_lo
	s_mov_b32 s21, 0
	s_delay_alu instid0(VALU_DEP_1) | instskip(NEXT) | instid1(VALU_DEP_1)
	v_and_b32_e32 v5, 0xff, v5
	v_cmp_ne_u32_e32 vcc_lo, 0, v5
	s_and_b32 s22, vcc_lo, exec_lo
	s_delay_alu instid0(SALU_CYCLE_1)
	s_or_b32 s19, s19, s22
	s_or_b32 exec_lo, exec_lo, s20
	v_mov_b32_e32 v6, s21
	s_and_saveexec_b32 s20, s19
	s_cbranch_execnz .LBB23_965
	s_branch .LBB23_966
.LBB23_1238:
	s_mov_b32 s0, -1
	s_mov_b32 s16, 0
.LBB23_1239:
                                        ; implicit-def: $vgpr6
.LBB23_1240:
	s_and_b32 vcc_lo, exec_lo, s17
	s_cbranch_vccz .LBB23_1244
; %bb.1241:
	v_cmp_eq_u16_e32 vcc_lo, 44, v3
	s_cbranch_vccz .LBB23_1243
; %bb.1242:
	global_load_u8 v6, v[0:1], off
	s_mov_b32 s0, 0
	s_mov_b32 s16, -1
	s_waitcnt vmcnt(0)
	v_lshlrev_b32_e32 v8, 23, v6
	v_cmp_ne_u32_e32 vcc_lo, 0xff, v6
	s_delay_alu instid0(VALU_DEP_2) | instskip(NEXT) | instid1(VALU_DEP_1)
	v_cvt_f16_f32_e32 v8, v8
	v_cndmask_b32_e32 v8, 0x7e00, v8, vcc_lo
	v_cmp_ne_u32_e32 vcc_lo, 0, v6
	s_delay_alu instid0(VALU_DEP_2)
	v_cndmask_b32_e32 v6, 0, v8, vcc_lo
	s_branch .LBB23_1244
.LBB23_1243:
	s_mov_b32 s0, -1
                                        ; implicit-def: $vgpr6
.LBB23_1244:
	s_mov_b32 s17, 0
.LBB23_1245:
	s_delay_alu instid0(SALU_CYCLE_1)
	s_and_b32 vcc_lo, exec_lo, s17
	s_cbranch_vccz .LBB23_1249
; %bb.1246:
	v_cmp_eq_u16_e32 vcc_lo, 29, v3
	s_cbranch_vccz .LBB23_1248
; %bb.1247:
	global_load_b64 v[10:11], v[0:1], off
	s_mov_b32 s0, 0
	s_mov_b32 s16, -1
	s_mov_b32 s17, 0
	s_waitcnt vmcnt(0)
	v_clz_i32_u32_e32 v6, v11
	s_delay_alu instid0(VALU_DEP_1) | instskip(NEXT) | instid1(VALU_DEP_1)
	v_min_u32_e32 v6, 32, v6
	v_lshlrev_b64 v[10:11], v6, v[10:11]
	v_sub_nc_u32_e32 v6, 32, v6
	s_delay_alu instid0(VALU_DEP_2) | instskip(NEXT) | instid1(VALU_DEP_1)
	v_min_u32_e32 v8, 1, v10
	v_or_b32_e32 v8, v11, v8
	s_delay_alu instid0(VALU_DEP_1) | instskip(NEXT) | instid1(VALU_DEP_1)
	v_cvt_f32_u32_e32 v8, v8
	v_ldexp_f32 v6, v8, v6
	s_delay_alu instid0(VALU_DEP_1)
	v_cvt_f16_f32_e32 v6, v6
	s_branch .LBB23_1250
.LBB23_1248:
	s_mov_b32 s0, -1
                                        ; implicit-def: $vgpr6
.LBB23_1249:
	s_mov_b32 s17, 0
.LBB23_1250:
	s_delay_alu instid0(SALU_CYCLE_1)
	s_and_b32 vcc_lo, exec_lo, s17
	s_cbranch_vccz .LBB23_1268
; %bb.1251:
	v_cmp_gt_i16_e32 vcc_lo, 27, v3
	s_cbranch_vccnz .LBB23_1254
; %bb.1252:
	v_cmp_lt_i16_e32 vcc_lo, 27, v3
	s_cbranch_vccz .LBB23_1255
; %bb.1253:
	global_load_b32 v6, v[0:1], off
	s_mov_b32 s16, 0
	s_waitcnt vmcnt(0)
	v_cvt_f32_u32_e32 v6, v6
	s_delay_alu instid0(VALU_DEP_1)
	v_cvt_f16_f32_e32 v6, v6
	s_branch .LBB23_1256
.LBB23_1254:
	s_mov_b32 s16, -1
                                        ; implicit-def: $vgpr6
	s_branch .LBB23_1259
.LBB23_1255:
	s_mov_b32 s16, -1
                                        ; implicit-def: $vgpr6
.LBB23_1256:
	s_delay_alu instid0(SALU_CYCLE_1)
	s_and_not1_b32 vcc_lo, exec_lo, s16
	s_cbranch_vccnz .LBB23_1258
; %bb.1257:
	global_load_u16 v6, v[0:1], off
	s_waitcnt vmcnt(0)
	v_cvt_f16_u16_e32 v6, v6
.LBB23_1258:
	s_mov_b32 s16, 0
.LBB23_1259:
	s_delay_alu instid0(SALU_CYCLE_1)
	s_and_not1_b32 vcc_lo, exec_lo, s16
	s_cbranch_vccnz .LBB23_1267
; %bb.1260:
	global_load_u8 v8, v[0:1], off
	s_mov_b32 s16, 0
	s_mov_b32 s18, exec_lo
                                        ; implicit-def: $sgpr17
	s_waitcnt vmcnt(0)
	v_cmpx_lt_i16_e32 0x7f, v8
	s_xor_b32 s18, exec_lo, s18
	s_cbranch_execz .LBB23_1280
; %bb.1261:
	s_mov_b32 s16, -1
	s_mov_b32 s19, exec_lo
                                        ; implicit-def: $sgpr17
	v_cmpx_eq_u16_e32 0x80, v8
; %bb.1262:
	s_movk_i32 s17, 0x7e00
	s_xor_b32 s16, exec_lo, -1
; %bb.1263:
	s_or_b32 exec_lo, exec_lo, s19
	s_delay_alu instid0(SALU_CYCLE_1)
	s_and_b32 s16, s16, exec_lo
	s_or_saveexec_b32 s18, s18
	v_mov_b32_e32 v6, s17
	s_xor_b32 exec_lo, exec_lo, s18
	s_cbranch_execnz .LBB23_1281
.LBB23_1264:
	s_or_b32 exec_lo, exec_lo, s18
	s_and_saveexec_b32 s17, s16
	s_cbranch_execz .LBB23_1266
.LBB23_1265:
	v_and_b32_e32 v6, 0xffff, v8
	v_lshlrev_b32_e32 v8, 24, v8
	s_delay_alu instid0(VALU_DEP_2) | instskip(NEXT) | instid1(VALU_DEP_2)
	v_and_b32_e32 v10, 7, v6
	v_and_b32_e32 v8, 0x80000000, v8
	s_delay_alu instid0(VALU_DEP_2) | instskip(NEXT) | instid1(VALU_DEP_1)
	v_clz_i32_u32_e32 v11, v10
	v_min_u32_e32 v11, 32, v11
	s_delay_alu instid0(VALU_DEP_1) | instskip(SKIP_1) | instid1(VALU_DEP_2)
	v_subrev_nc_u32_e32 v12, 28, v11
	v_sub_nc_u32_e32 v11, 29, v11
	v_lshlrev_b32_e32 v12, v12, v6
	v_bfe_u32 v6, v6, 3, 4
	s_delay_alu instid0(VALU_DEP_2) | instskip(NEXT) | instid1(VALU_DEP_2)
	v_and_b32_e32 v12, 7, v12
	v_cmp_eq_u32_e32 vcc_lo, 0, v6
	v_cndmask_b32_e32 v6, v6, v11, vcc_lo
	s_delay_alu instid0(VALU_DEP_3) | instskip(NEXT) | instid1(VALU_DEP_2)
	v_cndmask_b32_e32 v10, v10, v12, vcc_lo
	v_lshl_add_u32 v6, v6, 23, 0x3b800000
	s_delay_alu instid0(VALU_DEP_2) | instskip(NEXT) | instid1(VALU_DEP_1)
	v_lshlrev_b32_e32 v10, 20, v10
	v_or3_b32 v6, v8, v6, v10
	s_delay_alu instid0(VALU_DEP_1)
	v_cvt_f16_f32_e32 v6, v6
.LBB23_1266:
	s_or_b32 exec_lo, exec_lo, s17
.LBB23_1267:
	s_mov_b32 s16, -1
.LBB23_1268:
	s_branch .LBB23_1301
.LBB23_1269:
	v_cmp_lt_i16_e32 vcc_lo, 22, v3
	s_cbranch_vccz .LBB23_1279
; %bb.1270:
	v_cmp_gt_i16_e32 vcc_lo, 24, v3
	s_cbranch_vccnz .LBB23_1282
; %bb.1271:
	v_cmp_lt_i16_e32 vcc_lo, 24, v3
	s_cbranch_vccz .LBB23_1283
; %bb.1272:
	global_load_u8 v8, v[0:1], off
	s_mov_b32 s17, exec_lo
                                        ; implicit-def: $sgpr16
	s_waitcnt vmcnt(0)
	v_cmpx_lt_i16_e32 0x7f, v8
	s_xor_b32 s17, exec_lo, s17
	s_cbranch_execz .LBB23_1295
; %bb.1273:
	s_mov_b32 s15, -1
	s_mov_b32 s18, exec_lo
                                        ; implicit-def: $sgpr16
	v_cmpx_eq_u16_e32 0x80, v8
; %bb.1274:
	s_movk_i32 s16, 0x7e00
	s_xor_b32 s15, exec_lo, -1
; %bb.1275:
	s_or_b32 exec_lo, exec_lo, s18
	s_delay_alu instid0(SALU_CYCLE_1)
	s_and_b32 s15, s15, exec_lo
	s_or_saveexec_b32 s17, s17
	v_mov_b32_e32 v6, s16
	s_xor_b32 exec_lo, exec_lo, s17
	s_cbranch_execnz .LBB23_1296
.LBB23_1276:
	s_or_b32 exec_lo, exec_lo, s17
	s_and_saveexec_b32 s16, s15
	s_cbranch_execz .LBB23_1278
.LBB23_1277:
	v_and_b32_e32 v6, 0xffff, v8
	v_lshlrev_b32_e32 v8, 24, v8
	s_delay_alu instid0(VALU_DEP_2) | instskip(NEXT) | instid1(VALU_DEP_2)
	v_and_b32_e32 v10, 3, v6
	v_and_b32_e32 v8, 0x80000000, v8
	s_delay_alu instid0(VALU_DEP_2) | instskip(NEXT) | instid1(VALU_DEP_1)
	v_clz_i32_u32_e32 v11, v10
	v_min_u32_e32 v11, 32, v11
	s_delay_alu instid0(VALU_DEP_1) | instskip(SKIP_1) | instid1(VALU_DEP_2)
	v_subrev_nc_u32_e32 v12, 29, v11
	v_sub_nc_u32_e32 v11, 30, v11
	v_lshlrev_b32_e32 v12, v12, v6
	v_bfe_u32 v6, v6, 2, 5
	s_delay_alu instid0(VALU_DEP_2) | instskip(NEXT) | instid1(VALU_DEP_2)
	v_and_b32_e32 v12, 3, v12
	v_cmp_eq_u32_e32 vcc_lo, 0, v6
	v_cndmask_b32_e32 v6, v6, v11, vcc_lo
	s_delay_alu instid0(VALU_DEP_3) | instskip(NEXT) | instid1(VALU_DEP_2)
	v_cndmask_b32_e32 v10, v10, v12, vcc_lo
	v_lshl_add_u32 v6, v6, 23, 0x37800000
	s_delay_alu instid0(VALU_DEP_2) | instskip(NEXT) | instid1(VALU_DEP_1)
	v_lshlrev_b32_e32 v10, 21, v10
	v_or3_b32 v6, v8, v6, v10
	s_delay_alu instid0(VALU_DEP_1)
	v_cvt_f16_f32_e32 v6, v6
.LBB23_1278:
	s_or_b32 exec_lo, exec_lo, s16
	s_mov_b32 s15, 0
	s_branch .LBB23_1284
.LBB23_1279:
	s_mov_b32 s15, -1
                                        ; implicit-def: $vgpr6
	s_branch .LBB23_1290
.LBB23_1280:
	s_or_saveexec_b32 s18, s18
	v_mov_b32_e32 v6, s17
	s_xor_b32 exec_lo, exec_lo, s18
	s_cbranch_execz .LBB23_1264
.LBB23_1281:
	v_cmp_ne_u16_e32 vcc_lo, 0, v8
	v_mov_b32_e32 v6, v8
	s_and_not1_b32 s16, s16, exec_lo
	s_and_b32 s17, vcc_lo, exec_lo
	s_delay_alu instid0(SALU_CYCLE_1)
	s_or_b32 s16, s16, s17
	s_or_b32 exec_lo, exec_lo, s18
	s_and_saveexec_b32 s17, s16
	s_cbranch_execnz .LBB23_1265
	s_branch .LBB23_1266
.LBB23_1282:
	s_mov_b32 s15, -1
                                        ; implicit-def: $vgpr6
	s_branch .LBB23_1287
.LBB23_1283:
	s_mov_b32 s15, -1
                                        ; implicit-def: $vgpr6
.LBB23_1284:
	s_delay_alu instid0(SALU_CYCLE_1)
	s_and_b32 vcc_lo, exec_lo, s15
	s_cbranch_vccz .LBB23_1286
; %bb.1285:
	global_load_u8 v6, v[0:1], off
	s_waitcnt vmcnt(0)
	v_lshlrev_b32_e32 v6, 24, v6
	s_delay_alu instid0(VALU_DEP_1) | instskip(NEXT) | instid1(VALU_DEP_1)
	v_and_b32_e32 v8, 0x7f000000, v6
	v_clz_i32_u32_e32 v10, v8
	v_cmp_ne_u32_e32 vcc_lo, 0, v8
	v_add_nc_u32_e32 v12, 0x1000000, v8
	s_delay_alu instid0(VALU_DEP_3) | instskip(NEXT) | instid1(VALU_DEP_1)
	v_min_u32_e32 v10, 32, v10
	v_sub_nc_u32_e64 v10, v10, 4 clamp
	s_delay_alu instid0(VALU_DEP_1) | instskip(SKIP_1) | instid1(VALU_DEP_2)
	v_lshlrev_b32_e32 v11, v10, v8
	v_lshlrev_b32_e32 v10, 23, v10
	v_lshrrev_b32_e32 v11, 4, v11
	s_delay_alu instid0(VALU_DEP_1) | instskip(SKIP_1) | instid1(VALU_DEP_2)
	v_sub_nc_u32_e32 v10, v11, v10
	v_ashrrev_i32_e32 v11, 8, v12
	v_add_nc_u32_e32 v10, 0x3c000000, v10
	s_delay_alu instid0(VALU_DEP_1) | instskip(NEXT) | instid1(VALU_DEP_1)
	v_and_or_b32 v10, 0x7f800000, v11, v10
	v_cndmask_b32_e32 v8, 0, v10, vcc_lo
	s_delay_alu instid0(VALU_DEP_1) | instskip(NEXT) | instid1(VALU_DEP_1)
	v_and_or_b32 v6, 0x80000000, v6, v8
	v_cvt_f16_f32_e32 v6, v6
.LBB23_1286:
	s_mov_b32 s15, 0
.LBB23_1287:
	s_delay_alu instid0(SALU_CYCLE_1)
	s_and_not1_b32 vcc_lo, exec_lo, s15
	s_cbranch_vccnz .LBB23_1289
; %bb.1288:
	global_load_u8 v6, v[0:1], off
	s_waitcnt vmcnt(0)
	v_lshlrev_b32_e32 v8, 25, v6
	v_lshlrev_b16 v6, 8, v6
	s_delay_alu instid0(VALU_DEP_1) | instskip(SKIP_1) | instid1(VALU_DEP_2)
	v_and_or_b32 v11, 0x7f00, v6, 0.5
	v_bfe_i32 v6, v6, 0, 16
	v_add_f32_e32 v11, -0.5, v11
	v_lshrrev_b32_e32 v10, 4, v8
	v_cmp_gt_u32_e32 vcc_lo, 0x8000000, v8
	s_delay_alu instid0(VALU_DEP_2) | instskip(NEXT) | instid1(VALU_DEP_1)
	v_or_b32_e32 v10, 0x70000000, v10
	v_mul_f32_e32 v10, 0x7800000, v10
	s_delay_alu instid0(VALU_DEP_1) | instskip(NEXT) | instid1(VALU_DEP_1)
	v_cndmask_b32_e32 v8, v10, v11, vcc_lo
	v_and_or_b32 v6, 0x80000000, v6, v8
	s_delay_alu instid0(VALU_DEP_1)
	v_cvt_f16_f32_e32 v6, v6
.LBB23_1289:
	s_mov_b32 s15, 0
	s_mov_b32 s16, -1
.LBB23_1290:
	s_and_not1_b32 vcc_lo, exec_lo, s15
	s_mov_b32 s15, 0
	s_cbranch_vccnz .LBB23_1301
; %bb.1291:
	v_cmp_lt_i16_e32 vcc_lo, 14, v3
	s_cbranch_vccz .LBB23_1294
; %bb.1292:
	v_cmp_eq_u16_e32 vcc_lo, 15, v3
	s_cbranch_vccz .LBB23_1297
; %bb.1293:
	global_load_u16 v6, v[0:1], off
	s_mov_b32 s0, 0
	s_mov_b32 s16, -1
	s_waitcnt vmcnt(0)
	v_lshlrev_b32_e32 v6, 16, v6
	s_delay_alu instid0(VALU_DEP_1)
	v_cvt_f16_f32_e32 v6, v6
	s_branch .LBB23_1299
.LBB23_1294:
	s_mov_b32 s15, -1
	s_branch .LBB23_1298
.LBB23_1295:
	s_or_saveexec_b32 s17, s17
	v_mov_b32_e32 v6, s16
	s_xor_b32 exec_lo, exec_lo, s17
	s_cbranch_execz .LBB23_1276
.LBB23_1296:
	v_cmp_ne_u16_e32 vcc_lo, 0, v8
	v_mov_b32_e32 v6, v8
	s_and_not1_b32 s15, s15, exec_lo
	s_and_b32 s16, vcc_lo, exec_lo
	s_delay_alu instid0(SALU_CYCLE_1)
	s_or_b32 s15, s15, s16
	s_or_b32 exec_lo, exec_lo, s17
	s_and_saveexec_b32 s16, s15
	s_cbranch_execnz .LBB23_1277
	s_branch .LBB23_1278
.LBB23_1297:
	s_mov_b32 s0, -1
.LBB23_1298:
                                        ; implicit-def: $vgpr6
.LBB23_1299:
	s_and_b32 vcc_lo, exec_lo, s15
	s_mov_b32 s15, 0
	s_cbranch_vccz .LBB23_1301
; %bb.1300:
	v_cmp_ne_u16_e64 s0, 11, v3
	s_mov_b32 s15, -1
                                        ; implicit-def: $vgpr6
.LBB23_1301:
	s_delay_alu instid0(VALU_DEP_1)
	s_and_b32 vcc_lo, exec_lo, s0
	s_cbranch_vccnz .LBB23_1327
; %bb.1302:
	s_and_not1_b32 vcc_lo, exec_lo, s15
	s_cbranch_vccnz .LBB23_1304
.LBB23_1303:
	global_load_u8 v6, v[0:1], off
	s_mov_b32 s16, -1
	s_waitcnt vmcnt(0)
	v_cmp_ne_u16_e32 vcc_lo, 0, v6
	v_cndmask_b32_e64 v6, 0, 0x3c00, vcc_lo
.LBB23_1304:
.LBB23_1305:
	s_and_not1_b32 vcc_lo, exec_lo, s16
	s_cbranch_vccnz .LBB23_2012
.LBB23_1306:
	s_waitcnt vmcnt(0)
	s_delay_alu instid0(VALU_DEP_1) | instskip(SKIP_2) | instid1(VALU_DEP_2)
	v_cvt_f32_f16_e32 v11, v6
	v_mov_b32_e32 v10, v9
	s_mov_b32 s0, exec_lo
	v_cmpx_nlg_f32_e64 0x7f800000, |v11|
	s_cbranch_execz .LBB23_1308
; %bb.1307:
	v_dual_mov_b32 v0, 0 :: v_dual_mov_b32 v1, 1.0
	global_store_b32 v0, v1, s[8:9]
	global_load_b32 v10, v0, s[10:11]
.LBB23_1308:
	s_or_b32 exec_lo, exec_lo, s0
	v_add_nc_u32_e32 v8, s3, v7
	v_cmp_gt_i16_e32 vcc_lo, 11, v3
	s_delay_alu instid0(VALU_DEP_2) | instskip(SKIP_1) | instid1(VALU_DEP_1)
	v_ashrrev_i32_e32 v1, 31, v8
	v_add_co_u32 v0, s0, s6, v8
	v_add_co_ci_u32_e64 v1, s0, s7, v1, s0
	s_cbranch_vccnz .LBB23_1315
; %bb.1309:
	v_cmp_lt_i16_e32 vcc_lo, 25, v3
	s_mov_b32 s15, 0
	s_cbranch_vccz .LBB23_1321
; %bb.1310:
	v_cmp_lt_i16_e32 vcc_lo, 28, v3
	s_cbranch_vccz .LBB23_1323
; %bb.1311:
	v_cmp_lt_i16_e32 vcc_lo, 43, v3
	;; [unrolled: 3-line block ×3, first 2 shown]
	s_cbranch_vccz .LBB23_1329
; %bb.1313:
	v_cmp_eq_u16_e32 vcc_lo, 46, v3
	s_mov_b32 s17, 0
	s_cbranch_vccz .LBB23_1372
; %bb.1314:
	global_load_b32 v7, v[0:1], off
	s_mov_b32 s0, 0
	s_mov_b32 s16, -1
	s_waitcnt vmcnt(0)
	v_lshlrev_b32_e32 v7, 16, v7
	s_delay_alu instid0(VALU_DEP_1)
	v_cvt_f16_f32_e32 v7, v7
	s_branch .LBB23_1374
.LBB23_1315:
	s_mov_b32 s16, 0
                                        ; implicit-def: $vgpr7
	s_cbranch_execz .LBB23_1440
; %bb.1316:
	v_cmp_gt_i16_e32 vcc_lo, 5, v3
	s_cbranch_vccnz .LBB23_1322
; %bb.1317:
	v_cmp_gt_i16_e32 vcc_lo, 8, v3
	s_cbranch_vccnz .LBB23_1324
	;; [unrolled: 3-line block ×3, first 2 shown]
; %bb.1319:
	v_cmp_lt_i16_e32 vcc_lo, 9, v3
	s_cbranch_vccz .LBB23_1330
; %bb.1320:
	global_load_b64 v[12:13], v[0:1], off
	s_mov_b32 s0, 0
	s_waitcnt vmcnt(0)
	v_cvt_f32_f64_e32 v7, v[12:13]
	s_delay_alu instid0(VALU_DEP_1)
	v_cvt_f16_f32_e32 v7, v7
	s_branch .LBB23_1331
.LBB23_1321:
	s_mov_b32 s17, -1
	s_mov_b32 s16, 0
	s_mov_b32 s0, 0
                                        ; implicit-def: $vgpr7
	s_branch .LBB23_1403
.LBB23_1322:
	s_mov_b32 s0, -1
                                        ; implicit-def: $vgpr7
	s_branch .LBB23_1349
.LBB23_1323:
	s_mov_b32 s17, -1
	s_mov_b32 s16, 0
	s_mov_b32 s0, 0
                                        ; implicit-def: $vgpr7
	s_branch .LBB23_1384
.LBB23_1324:
	s_mov_b32 s0, -1
                                        ; implicit-def: $vgpr7
	s_branch .LBB23_1337
.LBB23_1325:
	s_mov_b32 s17, -1
	s_mov_b32 s16, 0
	s_mov_b32 s0, 0
                                        ; implicit-def: $vgpr7
	s_branch .LBB23_1379
.LBB23_1326:
	s_mov_b32 s0, -1
                                        ; implicit-def: $vgpr7
	s_branch .LBB23_1334
.LBB23_1327:
	s_cbranch_execnz .LBB23_1370
; %bb.1328:
	s_or_b32 s1, s1, exec_lo
                                        ; implicit-def: $vgpr6
	s_cbranch_execz .LBB23_1303
	s_branch .LBB23_1304
.LBB23_1329:
	s_mov_b32 s17, -1
	s_mov_b32 s16, 0
	s_mov_b32 s0, 0
	s_branch .LBB23_1373
.LBB23_1330:
	s_mov_b32 s0, -1
                                        ; implicit-def: $vgpr7
.LBB23_1331:
	s_delay_alu instid0(SALU_CYCLE_1)
	s_and_not1_b32 vcc_lo, exec_lo, s0
	s_cbranch_vccnz .LBB23_1333
; %bb.1332:
	global_load_b32 v7, v[0:1], off
	s_waitcnt vmcnt(0)
	v_cvt_f16_f32_e32 v7, v7
.LBB23_1333:
	s_mov_b32 s0, 0
.LBB23_1334:
	s_delay_alu instid0(SALU_CYCLE_1)
	s_and_not1_b32 vcc_lo, exec_lo, s0
	s_cbranch_vccnz .LBB23_1336
; %bb.1335:
	global_load_b32 v7, v[0:1], off
.LBB23_1336:
	s_mov_b32 s0, 0
.LBB23_1337:
	s_delay_alu instid0(SALU_CYCLE_1)
	s_and_not1_b32 vcc_lo, exec_lo, s0
	s_cbranch_vccnz .LBB23_1348
; %bb.1338:
	v_cmp_gt_i16_e32 vcc_lo, 6, v3
	s_cbranch_vccnz .LBB23_1341
; %bb.1339:
	v_cmp_lt_i16_e32 vcc_lo, 6, v3
	s_cbranch_vccz .LBB23_1342
; %bb.1340:
	global_load_b64 v[12:13], v[0:1], off
	s_mov_b32 s0, 0
	s_waitcnt vmcnt(0)
	v_cvt_f32_f64_e32 v7, v[12:13]
	s_delay_alu instid0(VALU_DEP_1)
	v_cvt_f16_f32_e32 v7, v7
	s_branch .LBB23_1343
.LBB23_1341:
	s_mov_b32 s0, -1
                                        ; implicit-def: $vgpr7
	s_branch .LBB23_1346
.LBB23_1342:
	s_mov_b32 s0, -1
                                        ; implicit-def: $vgpr7
.LBB23_1343:
	s_delay_alu instid0(SALU_CYCLE_1)
	s_and_not1_b32 vcc_lo, exec_lo, s0
	s_cbranch_vccnz .LBB23_1345
; %bb.1344:
	global_load_b32 v7, v[0:1], off
	s_waitcnt vmcnt(0)
	v_cvt_f16_f32_e32 v7, v7
.LBB23_1345:
	s_mov_b32 s0, 0
.LBB23_1346:
	s_delay_alu instid0(SALU_CYCLE_1)
	s_and_not1_b32 vcc_lo, exec_lo, s0
	s_cbranch_vccnz .LBB23_1348
; %bb.1347:
	global_load_u16 v7, v[0:1], off
.LBB23_1348:
	s_mov_b32 s0, 0
.LBB23_1349:
	s_delay_alu instid0(SALU_CYCLE_1)
	s_and_not1_b32 vcc_lo, exec_lo, s0
	s_cbranch_vccnz .LBB23_1369
; %bb.1350:
	v_cmp_gt_i16_e32 vcc_lo, 2, v3
	s_cbranch_vccnz .LBB23_1354
; %bb.1351:
	v_cmp_gt_i16_e32 vcc_lo, 3, v3
	s_cbranch_vccnz .LBB23_1355
; %bb.1352:
	v_cmp_lt_i16_e32 vcc_lo, 3, v3
	s_cbranch_vccz .LBB23_1356
; %bb.1353:
	global_load_b64 v[12:13], v[0:1], off
	s_mov_b32 s0, 0
	s_waitcnt vmcnt(0)
	v_xor_b32_e32 v7, v12, v13
	v_cls_i32_e32 v14, v13
	s_delay_alu instid0(VALU_DEP_2) | instskip(NEXT) | instid1(VALU_DEP_2)
	v_ashrrev_i32_e32 v7, 31, v7
	v_add_nc_u32_e32 v14, -1, v14
	s_delay_alu instid0(VALU_DEP_2) | instskip(NEXT) | instid1(VALU_DEP_1)
	v_add_nc_u32_e32 v7, 32, v7
	v_min_u32_e32 v7, v14, v7
	s_delay_alu instid0(VALU_DEP_1) | instskip(SKIP_1) | instid1(VALU_DEP_2)
	v_lshlrev_b64 v[12:13], v7, v[12:13]
	v_sub_nc_u32_e32 v7, 32, v7
	v_min_u32_e32 v12, 1, v12
	s_delay_alu instid0(VALU_DEP_1) | instskip(NEXT) | instid1(VALU_DEP_1)
	v_or_b32_e32 v12, v13, v12
	v_cvt_f32_i32_e32 v12, v12
	s_delay_alu instid0(VALU_DEP_1) | instskip(NEXT) | instid1(VALU_DEP_1)
	v_ldexp_f32 v7, v12, v7
	v_cvt_f16_f32_e32 v7, v7
	s_branch .LBB23_1357
.LBB23_1354:
	s_mov_b32 s0, -1
                                        ; implicit-def: $vgpr7
	s_branch .LBB23_1363
.LBB23_1355:
	s_mov_b32 s0, -1
                                        ; implicit-def: $vgpr7
	s_branch .LBB23_1360
.LBB23_1356:
	s_mov_b32 s0, -1
                                        ; implicit-def: $vgpr7
.LBB23_1357:
	s_delay_alu instid0(SALU_CYCLE_1)
	s_and_not1_b32 vcc_lo, exec_lo, s0
	s_cbranch_vccnz .LBB23_1359
; %bb.1358:
	global_load_b32 v7, v[0:1], off
	s_waitcnt vmcnt(0)
	v_cvt_f32_i32_e32 v7, v7
	s_delay_alu instid0(VALU_DEP_1)
	v_cvt_f16_f32_e32 v7, v7
.LBB23_1359:
	s_mov_b32 s0, 0
.LBB23_1360:
	s_delay_alu instid0(SALU_CYCLE_1)
	s_and_not1_b32 vcc_lo, exec_lo, s0
	s_cbranch_vccnz .LBB23_1362
; %bb.1361:
	global_load_u16 v7, v[0:1], off
	s_waitcnt vmcnt(0)
	v_cvt_f16_i16_e32 v7, v7
.LBB23_1362:
	s_mov_b32 s0, 0
.LBB23_1363:
	s_delay_alu instid0(SALU_CYCLE_1)
	s_and_not1_b32 vcc_lo, exec_lo, s0
	s_cbranch_vccnz .LBB23_1369
; %bb.1364:
	v_cmp_lt_i16_e32 vcc_lo, 0, v3
	s_mov_b32 s0, 0
	s_cbranch_vccz .LBB23_1366
; %bb.1365:
	global_load_i8 v7, v[0:1], off
	s_waitcnt vmcnt(0)
	v_cvt_f16_i16_e32 v7, v7
	s_branch .LBB23_1367
.LBB23_1366:
	s_mov_b32 s0, -1
                                        ; implicit-def: $vgpr7
.LBB23_1367:
	s_delay_alu instid0(SALU_CYCLE_1)
	s_and_not1_b32 vcc_lo, exec_lo, s0
	s_cbranch_vccnz .LBB23_1369
; %bb.1368:
	global_load_u8 v0, v[0:1], off
	s_waitcnt vmcnt(0)
	v_cvt_f16_u16_e32 v7, v0
.LBB23_1369:
	s_branch .LBB23_1441
.LBB23_1370:
	s_trap 2
	s_sendmsg_rtn_b32 s0, sendmsg(MSG_RTN_GET_DOORBELL)
	s_mov_b32 ttmp2, m0
	s_waitcnt lgkmcnt(0)
	s_and_b32 s0, s0, 0x3ff
	s_delay_alu instid0(SALU_CYCLE_1) | instskip(NEXT) | instid1(SALU_CYCLE_1)
	s_bitset1_b32 s0, 10
	s_mov_b32 m0, s0
	s_sendmsg sendmsg(MSG_INTERRUPT)
	s_mov_b32 m0, ttmp2
.LBB23_1371:                            ; =>This Inner Loop Header: Depth=1
	s_sethalt 5
	s_branch .LBB23_1371
.LBB23_1372:
	s_mov_b32 s0, -1
	s_mov_b32 s16, 0
.LBB23_1373:
                                        ; implicit-def: $vgpr7
.LBB23_1374:
	s_and_b32 vcc_lo, exec_lo, s17
	s_cbranch_vccz .LBB23_1378
; %bb.1375:
	v_cmp_eq_u16_e32 vcc_lo, 44, v3
	s_cbranch_vccz .LBB23_1377
; %bb.1376:
	global_load_u8 v7, v[0:1], off
	s_mov_b32 s0, 0
	s_mov_b32 s16, -1
	s_waitcnt vmcnt(0)
	v_lshlrev_b32_e32 v12, 23, v7
	v_cmp_ne_u32_e32 vcc_lo, 0xff, v7
	s_delay_alu instid0(VALU_DEP_2) | instskip(NEXT) | instid1(VALU_DEP_1)
	v_cvt_f16_f32_e32 v12, v12
	v_cndmask_b32_e32 v12, 0x7e00, v12, vcc_lo
	v_cmp_ne_u32_e32 vcc_lo, 0, v7
	s_delay_alu instid0(VALU_DEP_2)
	v_cndmask_b32_e32 v7, 0, v12, vcc_lo
	s_branch .LBB23_1378
.LBB23_1377:
	s_mov_b32 s0, -1
                                        ; implicit-def: $vgpr7
.LBB23_1378:
	s_mov_b32 s17, 0
.LBB23_1379:
	s_delay_alu instid0(SALU_CYCLE_1)
	s_and_b32 vcc_lo, exec_lo, s17
	s_cbranch_vccz .LBB23_1383
; %bb.1380:
	v_cmp_eq_u16_e32 vcc_lo, 29, v3
	s_cbranch_vccz .LBB23_1382
; %bb.1381:
	global_load_b64 v[12:13], v[0:1], off
	s_mov_b32 s0, 0
	s_mov_b32 s16, -1
	s_mov_b32 s17, 0
	s_waitcnt vmcnt(0)
	v_clz_i32_u32_e32 v7, v13
	s_delay_alu instid0(VALU_DEP_1) | instskip(NEXT) | instid1(VALU_DEP_1)
	v_min_u32_e32 v7, 32, v7
	v_lshlrev_b64 v[12:13], v7, v[12:13]
	v_sub_nc_u32_e32 v7, 32, v7
	s_delay_alu instid0(VALU_DEP_2) | instskip(NEXT) | instid1(VALU_DEP_1)
	v_min_u32_e32 v12, 1, v12
	v_or_b32_e32 v12, v13, v12
	s_delay_alu instid0(VALU_DEP_1) | instskip(NEXT) | instid1(VALU_DEP_1)
	v_cvt_f32_u32_e32 v12, v12
	v_ldexp_f32 v7, v12, v7
	s_delay_alu instid0(VALU_DEP_1)
	v_cvt_f16_f32_e32 v7, v7
	s_branch .LBB23_1384
.LBB23_1382:
	s_mov_b32 s0, -1
                                        ; implicit-def: $vgpr7
.LBB23_1383:
	s_mov_b32 s17, 0
.LBB23_1384:
	s_delay_alu instid0(SALU_CYCLE_1)
	s_and_b32 vcc_lo, exec_lo, s17
	s_cbranch_vccz .LBB23_1402
; %bb.1385:
	v_cmp_gt_i16_e32 vcc_lo, 27, v3
	s_cbranch_vccnz .LBB23_1388
; %bb.1386:
	v_cmp_lt_i16_e32 vcc_lo, 27, v3
	s_cbranch_vccz .LBB23_1389
; %bb.1387:
	global_load_b32 v7, v[0:1], off
	s_mov_b32 s16, 0
	s_waitcnt vmcnt(0)
	v_cvt_f32_u32_e32 v7, v7
	s_delay_alu instid0(VALU_DEP_1)
	v_cvt_f16_f32_e32 v7, v7
	s_branch .LBB23_1390
.LBB23_1388:
	s_mov_b32 s16, -1
                                        ; implicit-def: $vgpr7
	s_branch .LBB23_1393
.LBB23_1389:
	s_mov_b32 s16, -1
                                        ; implicit-def: $vgpr7
.LBB23_1390:
	s_delay_alu instid0(SALU_CYCLE_1)
	s_and_not1_b32 vcc_lo, exec_lo, s16
	s_cbranch_vccnz .LBB23_1392
; %bb.1391:
	global_load_u16 v7, v[0:1], off
	s_waitcnt vmcnt(0)
	v_cvt_f16_u16_e32 v7, v7
.LBB23_1392:
	s_mov_b32 s16, 0
.LBB23_1393:
	s_delay_alu instid0(SALU_CYCLE_1)
	s_and_not1_b32 vcc_lo, exec_lo, s16
	s_cbranch_vccnz .LBB23_1401
; %bb.1394:
	global_load_u8 v12, v[0:1], off
	s_mov_b32 s16, 0
	s_mov_b32 s18, exec_lo
                                        ; implicit-def: $sgpr17
	s_waitcnt vmcnt(0)
	v_cmpx_lt_i16_e32 0x7f, v12
	s_xor_b32 s18, exec_lo, s18
	s_cbranch_execz .LBB23_1415
; %bb.1395:
	s_mov_b32 s16, -1
	s_mov_b32 s19, exec_lo
                                        ; implicit-def: $sgpr17
	v_cmpx_eq_u16_e32 0x80, v12
; %bb.1396:
	s_movk_i32 s17, 0x7e00
	s_xor_b32 s16, exec_lo, -1
; %bb.1397:
	s_or_b32 exec_lo, exec_lo, s19
	s_delay_alu instid0(SALU_CYCLE_1)
	s_and_b32 s16, s16, exec_lo
	s_or_saveexec_b32 s18, s18
	v_mov_b32_e32 v7, s17
	s_xor_b32 exec_lo, exec_lo, s18
	s_cbranch_execnz .LBB23_1416
.LBB23_1398:
	s_or_b32 exec_lo, exec_lo, s18
	s_and_saveexec_b32 s17, s16
	s_cbranch_execz .LBB23_1400
.LBB23_1399:
	v_and_b32_e32 v7, 0xffff, v12
	s_delay_alu instid0(VALU_DEP_1) | instskip(NEXT) | instid1(VALU_DEP_1)
	v_and_b32_e32 v13, 7, v7
	v_clz_i32_u32_e32 v14, v13
	s_delay_alu instid0(VALU_DEP_1) | instskip(NEXT) | instid1(VALU_DEP_1)
	v_min_u32_e32 v14, 32, v14
	v_subrev_nc_u32_e32 v15, 28, v14
	v_sub_nc_u32_e32 v14, 29, v14
	s_delay_alu instid0(VALU_DEP_2) | instskip(SKIP_1) | instid1(VALU_DEP_2)
	v_lshlrev_b32_e32 v15, v15, v7
	v_bfe_u32 v7, v7, 3, 4
	v_and_b32_e32 v15, 7, v15
	s_delay_alu instid0(VALU_DEP_2) | instskip(SKIP_1) | instid1(VALU_DEP_1)
	v_cmp_eq_u32_e32 vcc_lo, 0, v7
	v_dual_cndmask_b32 v7, v7, v14 :: v_dual_lshlrev_b32 v12, 24, v12
	v_dual_cndmask_b32 v13, v13, v15 :: v_dual_and_b32 v12, 0x80000000, v12
	s_delay_alu instid0(VALU_DEP_2) | instskip(NEXT) | instid1(VALU_DEP_2)
	v_lshl_add_u32 v7, v7, 23, 0x3b800000
	v_lshlrev_b32_e32 v13, 20, v13
	s_delay_alu instid0(VALU_DEP_1) | instskip(NEXT) | instid1(VALU_DEP_1)
	v_or3_b32 v7, v12, v7, v13
	v_cvt_f16_f32_e32 v7, v7
.LBB23_1400:
	s_or_b32 exec_lo, exec_lo, s17
.LBB23_1401:
	s_mov_b32 s16, -1
.LBB23_1402:
	s_mov_b32 s17, 0
.LBB23_1403:
	s_delay_alu instid0(SALU_CYCLE_1)
	s_and_b32 vcc_lo, exec_lo, s17
	s_cbranch_vccz .LBB23_1436
; %bb.1404:
	v_cmp_lt_i16_e32 vcc_lo, 22, v3
	s_cbranch_vccz .LBB23_1414
; %bb.1405:
	v_cmp_gt_i16_e32 vcc_lo, 24, v3
	s_cbranch_vccnz .LBB23_1417
; %bb.1406:
	v_cmp_lt_i16_e32 vcc_lo, 24, v3
	s_cbranch_vccz .LBB23_1418
; %bb.1407:
	global_load_u8 v12, v[0:1], off
	s_mov_b32 s17, exec_lo
                                        ; implicit-def: $sgpr16
	s_waitcnt vmcnt(0)
	v_cmpx_lt_i16_e32 0x7f, v12
	s_xor_b32 s17, exec_lo, s17
	s_cbranch_execz .LBB23_1430
; %bb.1408:
	s_mov_b32 s15, -1
	s_mov_b32 s18, exec_lo
                                        ; implicit-def: $sgpr16
	v_cmpx_eq_u16_e32 0x80, v12
; %bb.1409:
	s_movk_i32 s16, 0x7e00
	s_xor_b32 s15, exec_lo, -1
; %bb.1410:
	s_or_b32 exec_lo, exec_lo, s18
	s_delay_alu instid0(SALU_CYCLE_1)
	s_and_b32 s15, s15, exec_lo
	s_or_saveexec_b32 s17, s17
	v_mov_b32_e32 v7, s16
	s_xor_b32 exec_lo, exec_lo, s17
	s_cbranch_execnz .LBB23_1431
.LBB23_1411:
	s_or_b32 exec_lo, exec_lo, s17
	s_and_saveexec_b32 s16, s15
	s_cbranch_execz .LBB23_1413
.LBB23_1412:
	v_and_b32_e32 v7, 0xffff, v12
	s_delay_alu instid0(VALU_DEP_1) | instskip(NEXT) | instid1(VALU_DEP_1)
	v_and_b32_e32 v13, 3, v7
	v_clz_i32_u32_e32 v14, v13
	s_delay_alu instid0(VALU_DEP_1) | instskip(NEXT) | instid1(VALU_DEP_1)
	v_min_u32_e32 v14, 32, v14
	v_subrev_nc_u32_e32 v15, 29, v14
	v_sub_nc_u32_e32 v14, 30, v14
	s_delay_alu instid0(VALU_DEP_2) | instskip(SKIP_1) | instid1(VALU_DEP_2)
	v_lshlrev_b32_e32 v15, v15, v7
	v_bfe_u32 v7, v7, 2, 5
	v_and_b32_e32 v15, 3, v15
	s_delay_alu instid0(VALU_DEP_2) | instskip(SKIP_1) | instid1(VALU_DEP_1)
	v_cmp_eq_u32_e32 vcc_lo, 0, v7
	v_dual_cndmask_b32 v7, v7, v14 :: v_dual_lshlrev_b32 v12, 24, v12
	v_dual_cndmask_b32 v13, v13, v15 :: v_dual_and_b32 v12, 0x80000000, v12
	s_delay_alu instid0(VALU_DEP_2) | instskip(NEXT) | instid1(VALU_DEP_2)
	v_lshl_add_u32 v7, v7, 23, 0x37800000
	v_lshlrev_b32_e32 v13, 21, v13
	s_delay_alu instid0(VALU_DEP_1) | instskip(NEXT) | instid1(VALU_DEP_1)
	v_or3_b32 v7, v12, v7, v13
	v_cvt_f16_f32_e32 v7, v7
.LBB23_1413:
	s_or_b32 exec_lo, exec_lo, s16
	s_mov_b32 s15, 0
	s_branch .LBB23_1419
.LBB23_1414:
	s_mov_b32 s15, -1
                                        ; implicit-def: $vgpr7
	s_branch .LBB23_1425
.LBB23_1415:
	s_or_saveexec_b32 s18, s18
	v_mov_b32_e32 v7, s17
	s_xor_b32 exec_lo, exec_lo, s18
	s_cbranch_execz .LBB23_1398
.LBB23_1416:
	v_cmp_ne_u16_e32 vcc_lo, 0, v12
	v_mov_b32_e32 v7, v12
	s_and_not1_b32 s16, s16, exec_lo
	s_and_b32 s17, vcc_lo, exec_lo
	s_delay_alu instid0(SALU_CYCLE_1)
	s_or_b32 s16, s16, s17
	s_or_b32 exec_lo, exec_lo, s18
	s_and_saveexec_b32 s17, s16
	s_cbranch_execnz .LBB23_1399
	s_branch .LBB23_1400
.LBB23_1417:
	s_mov_b32 s15, -1
                                        ; implicit-def: $vgpr7
	s_branch .LBB23_1422
.LBB23_1418:
	s_mov_b32 s15, -1
                                        ; implicit-def: $vgpr7
.LBB23_1419:
	s_delay_alu instid0(SALU_CYCLE_1)
	s_and_b32 vcc_lo, exec_lo, s15
	s_cbranch_vccz .LBB23_1421
; %bb.1420:
	global_load_u8 v7, v[0:1], off
	s_waitcnt vmcnt(0)
	v_lshlrev_b32_e32 v7, 24, v7
	s_delay_alu instid0(VALU_DEP_1) | instskip(NEXT) | instid1(VALU_DEP_1)
	v_and_b32_e32 v12, 0x7f000000, v7
	v_clz_i32_u32_e32 v13, v12
	v_add_nc_u32_e32 v15, 0x1000000, v12
	v_cmp_ne_u32_e32 vcc_lo, 0, v12
	s_delay_alu instid0(VALU_DEP_3) | instskip(NEXT) | instid1(VALU_DEP_1)
	v_min_u32_e32 v13, 32, v13
	v_sub_nc_u32_e64 v13, v13, 4 clamp
	s_delay_alu instid0(VALU_DEP_1) | instskip(SKIP_1) | instid1(VALU_DEP_2)
	v_lshlrev_b32_e32 v14, v13, v12
	v_lshlrev_b32_e32 v13, 23, v13
	v_lshrrev_b32_e32 v14, 4, v14
	s_delay_alu instid0(VALU_DEP_1) | instskip(SKIP_1) | instid1(VALU_DEP_2)
	v_sub_nc_u32_e32 v13, v14, v13
	v_ashrrev_i32_e32 v14, 8, v15
	v_add_nc_u32_e32 v13, 0x3c000000, v13
	s_delay_alu instid0(VALU_DEP_1) | instskip(NEXT) | instid1(VALU_DEP_1)
	v_and_or_b32 v13, 0x7f800000, v14, v13
	v_cndmask_b32_e32 v12, 0, v13, vcc_lo
	s_delay_alu instid0(VALU_DEP_1) | instskip(NEXT) | instid1(VALU_DEP_1)
	v_and_or_b32 v7, 0x80000000, v7, v12
	v_cvt_f16_f32_e32 v7, v7
.LBB23_1421:
	s_mov_b32 s15, 0
.LBB23_1422:
	s_delay_alu instid0(SALU_CYCLE_1)
	s_and_not1_b32 vcc_lo, exec_lo, s15
	s_cbranch_vccnz .LBB23_1424
; %bb.1423:
	global_load_u8 v7, v[0:1], off
	s_waitcnt vmcnt(0)
	v_lshlrev_b32_e32 v12, 25, v7
	v_lshlrev_b16 v7, 8, v7
	s_delay_alu instid0(VALU_DEP_2) | instskip(NEXT) | instid1(VALU_DEP_2)
	v_lshrrev_b32_e32 v13, 4, v12
	v_and_or_b32 v14, 0x7f00, v7, 0.5
	v_bfe_i32 v7, v7, 0, 16
	s_delay_alu instid0(VALU_DEP_3) | instskip(NEXT) | instid1(VALU_DEP_1)
	v_or_b32_e32 v13, 0x70000000, v13
	v_dual_add_f32 v14, -0.5, v14 :: v_dual_mul_f32 v13, 0x7800000, v13
	v_cmp_gt_u32_e32 vcc_lo, 0x8000000, v12
	s_delay_alu instid0(VALU_DEP_2) | instskip(NEXT) | instid1(VALU_DEP_1)
	v_cndmask_b32_e32 v12, v13, v14, vcc_lo
	v_and_or_b32 v7, 0x80000000, v7, v12
	s_delay_alu instid0(VALU_DEP_1)
	v_cvt_f16_f32_e32 v7, v7
.LBB23_1424:
	s_mov_b32 s15, 0
	s_mov_b32 s16, -1
.LBB23_1425:
	s_and_not1_b32 vcc_lo, exec_lo, s15
	s_mov_b32 s15, 0
	s_cbranch_vccnz .LBB23_1436
; %bb.1426:
	v_cmp_lt_i16_e32 vcc_lo, 14, v3
	s_cbranch_vccz .LBB23_1429
; %bb.1427:
	v_cmp_eq_u16_e32 vcc_lo, 15, v3
	s_cbranch_vccz .LBB23_1432
; %bb.1428:
	global_load_u16 v7, v[0:1], off
	s_mov_b32 s0, 0
	s_mov_b32 s16, -1
	s_waitcnt vmcnt(0)
	v_lshlrev_b32_e32 v7, 16, v7
	s_delay_alu instid0(VALU_DEP_1)
	v_cvt_f16_f32_e32 v7, v7
	s_branch .LBB23_1434
.LBB23_1429:
	s_mov_b32 s15, -1
	s_branch .LBB23_1433
.LBB23_1430:
	s_or_saveexec_b32 s17, s17
	v_mov_b32_e32 v7, s16
	s_xor_b32 exec_lo, exec_lo, s17
	s_cbranch_execz .LBB23_1411
.LBB23_1431:
	v_cmp_ne_u16_e32 vcc_lo, 0, v12
	v_mov_b32_e32 v7, v12
	s_and_not1_b32 s15, s15, exec_lo
	s_and_b32 s16, vcc_lo, exec_lo
	s_delay_alu instid0(SALU_CYCLE_1)
	s_or_b32 s15, s15, s16
	s_or_b32 exec_lo, exec_lo, s17
	s_and_saveexec_b32 s16, s15
	s_cbranch_execnz .LBB23_1412
	s_branch .LBB23_1413
.LBB23_1432:
	s_mov_b32 s0, -1
.LBB23_1433:
                                        ; implicit-def: $vgpr7
.LBB23_1434:
	s_and_b32 vcc_lo, exec_lo, s15
	s_mov_b32 s15, 0
	s_cbranch_vccz .LBB23_1436
; %bb.1435:
	v_cmp_ne_u16_e64 s0, 11, v3
	s_mov_b32 s15, -1
                                        ; implicit-def: $vgpr7
.LBB23_1436:
	s_delay_alu instid0(VALU_DEP_1)
	s_and_b32 vcc_lo, exec_lo, s0
	s_cbranch_vccnz .LBB23_1454
; %bb.1437:
	s_and_not1_b32 vcc_lo, exec_lo, s15
	s_cbranch_vccnz .LBB23_1439
.LBB23_1438:
	global_load_u8 v7, v[0:1], off
	s_mov_b32 s16, -1
	s_waitcnt vmcnt(0)
	v_cmp_ne_u16_e32 vcc_lo, 0, v7
	v_cndmask_b32_e64 v7, 0, 0x3c00, vcc_lo
.LBB23_1439:
.LBB23_1440:
	s_and_not1_b32 vcc_lo, exec_lo, s16
	s_cbranch_vccnz .LBB23_2012
.LBB23_1441:
	s_waitcnt vmcnt(0)
	s_delay_alu instid0(VALU_DEP_1) | instskip(SKIP_2) | instid1(VALU_DEP_2)
	v_cvt_f32_f16_e32 v13, v7
	v_mov_b32_e32 v12, v10
	s_mov_b32 s0, exec_lo
	v_cmpx_nlg_f32_e64 0x7f800000, |v13|
	s_cbranch_execz .LBB23_1443
; %bb.1442:
	v_dual_mov_b32 v0, 0 :: v_dual_mov_b32 v1, 1.0
	global_store_b32 v0, v1, s[8:9]
	global_load_b32 v12, v0, s[10:11]
.LBB23_1443:
	s_or_b32 exec_lo, exec_lo, s0
	v_add_nc_u32_e32 v0, s3, v8
	v_cmp_gt_i16_e32 vcc_lo, 11, v3
	s_delay_alu instid0(VALU_DEP_2) | instskip(SKIP_1) | instid1(VALU_DEP_1)
	v_ashrrev_i32_e32 v1, 31, v0
	v_add_co_u32 v0, s0, s6, v0
	v_add_co_ci_u32_e64 v1, s0, s7, v1, s0
	s_cbranch_vccnz .LBB23_1450
; %bb.1444:
	v_cmp_lt_i16_e32 vcc_lo, 25, v3
	s_mov_b32 s3, 0
	s_cbranch_vccz .LBB23_1451
; %bb.1445:
	v_cmp_lt_i16_e32 vcc_lo, 28, v3
	s_cbranch_vccz .LBB23_1452
; %bb.1446:
	v_cmp_lt_i16_e32 vcc_lo, 43, v3
	;; [unrolled: 3-line block ×3, first 2 shown]
	s_cbranch_vccz .LBB23_1456
; %bb.1448:
	v_cmp_eq_u16_e32 vcc_lo, 46, v3
	s_mov_b32 s7, 0
	s_cbranch_vccz .LBB23_1459
; %bb.1449:
	global_load_b32 v8, v[0:1], off
	s_mov_b32 s0, 0
	s_mov_b32 s6, -1
	s_waitcnt vmcnt(0)
	v_lshlrev_b32_e32 v8, 16, v8
	s_delay_alu instid0(VALU_DEP_1)
	v_cvt_f16_f32_e32 v8, v8
	s_branch .LBB23_1461
.LBB23_1450:
	s_mov_b32 s0, -1
	s_mov_b32 s6, 0
                                        ; implicit-def: $vgpr8
	s_branch .LBB23_1527
.LBB23_1451:
	s_mov_b32 s7, -1
	s_mov_b32 s6, 0
	s_mov_b32 s0, 0
                                        ; implicit-def: $vgpr8
	s_branch .LBB23_1490
.LBB23_1452:
	s_mov_b32 s7, -1
	s_mov_b32 s6, 0
	s_mov_b32 s0, 0
                                        ; implicit-def: $vgpr8
	s_branch .LBB23_1471
.LBB23_1453:
	s_mov_b32 s7, -1
	s_mov_b32 s6, 0
	s_mov_b32 s0, 0
                                        ; implicit-def: $vgpr8
	s_branch .LBB23_1466
.LBB23_1454:
	s_cbranch_execnz .LBB23_1457
; %bb.1455:
	s_or_b32 s1, s1, exec_lo
                                        ; implicit-def: $vgpr7
	s_cbranch_execz .LBB23_1438
	s_branch .LBB23_1439
.LBB23_1456:
	s_mov_b32 s7, -1
	s_mov_b32 s6, 0
	s_mov_b32 s0, 0
	s_branch .LBB23_1460
.LBB23_1457:
	s_trap 2
	s_sendmsg_rtn_b32 s0, sendmsg(MSG_RTN_GET_DOORBELL)
	s_mov_b32 ttmp2, m0
	s_waitcnt lgkmcnt(0)
	s_and_b32 s0, s0, 0x3ff
	s_delay_alu instid0(SALU_CYCLE_1) | instskip(NEXT) | instid1(SALU_CYCLE_1)
	s_bitset1_b32 s0, 10
	s_mov_b32 m0, s0
	s_sendmsg sendmsg(MSG_INTERRUPT)
	s_mov_b32 m0, ttmp2
.LBB23_1458:                            ; =>This Inner Loop Header: Depth=1
	s_sethalt 5
	s_branch .LBB23_1458
.LBB23_1459:
	s_mov_b32 s0, -1
	s_mov_b32 s6, 0
.LBB23_1460:
                                        ; implicit-def: $vgpr8
.LBB23_1461:
	s_and_b32 vcc_lo, exec_lo, s7
	s_cbranch_vccz .LBB23_1465
; %bb.1462:
	v_cmp_eq_u16_e32 vcc_lo, 44, v3
	s_cbranch_vccz .LBB23_1464
; %bb.1463:
	global_load_u8 v8, v[0:1], off
	s_mov_b32 s0, 0
	s_mov_b32 s6, -1
	s_waitcnt vmcnt(0)
	v_lshlrev_b32_e32 v14, 23, v8
	v_cmp_ne_u32_e32 vcc_lo, 0xff, v8
	s_delay_alu instid0(VALU_DEP_2) | instskip(NEXT) | instid1(VALU_DEP_1)
	v_cvt_f16_f32_e32 v14, v14
	v_cndmask_b32_e32 v14, 0x7e00, v14, vcc_lo
	v_cmp_ne_u32_e32 vcc_lo, 0, v8
	s_delay_alu instid0(VALU_DEP_2)
	v_cndmask_b32_e32 v8, 0, v14, vcc_lo
	s_branch .LBB23_1465
.LBB23_1464:
	s_mov_b32 s0, -1
                                        ; implicit-def: $vgpr8
.LBB23_1465:
	s_mov_b32 s7, 0
.LBB23_1466:
	s_delay_alu instid0(SALU_CYCLE_1)
	s_and_b32 vcc_lo, exec_lo, s7
	s_cbranch_vccz .LBB23_1470
; %bb.1467:
	v_cmp_eq_u16_e32 vcc_lo, 29, v3
	s_cbranch_vccz .LBB23_1469
; %bb.1468:
	global_load_b64 v[14:15], v[0:1], off
	s_mov_b32 s0, 0
	s_mov_b32 s6, -1
	s_mov_b32 s7, 0
	s_waitcnt vmcnt(0)
	v_clz_i32_u32_e32 v8, v15
	s_delay_alu instid0(VALU_DEP_1) | instskip(NEXT) | instid1(VALU_DEP_1)
	v_min_u32_e32 v8, 32, v8
	v_lshlrev_b64 v[14:15], v8, v[14:15]
	v_sub_nc_u32_e32 v8, 32, v8
	s_delay_alu instid0(VALU_DEP_2) | instskip(NEXT) | instid1(VALU_DEP_1)
	v_min_u32_e32 v14, 1, v14
	v_or_b32_e32 v14, v15, v14
	s_delay_alu instid0(VALU_DEP_1) | instskip(NEXT) | instid1(VALU_DEP_1)
	v_cvt_f32_u32_e32 v14, v14
	v_ldexp_f32 v8, v14, v8
	s_delay_alu instid0(VALU_DEP_1)
	v_cvt_f16_f32_e32 v8, v8
	s_branch .LBB23_1471
.LBB23_1469:
	s_mov_b32 s0, -1
                                        ; implicit-def: $vgpr8
.LBB23_1470:
	s_mov_b32 s7, 0
.LBB23_1471:
	s_delay_alu instid0(SALU_CYCLE_1)
	s_and_b32 vcc_lo, exec_lo, s7
	s_cbranch_vccz .LBB23_1489
; %bb.1472:
	v_cmp_gt_i16_e32 vcc_lo, 27, v3
	s_cbranch_vccnz .LBB23_1475
; %bb.1473:
	v_cmp_lt_i16_e32 vcc_lo, 27, v3
	s_cbranch_vccz .LBB23_1476
; %bb.1474:
	global_load_b32 v8, v[0:1], off
	s_mov_b32 s6, 0
	s_waitcnt vmcnt(0)
	v_cvt_f32_u32_e32 v8, v8
	s_delay_alu instid0(VALU_DEP_1)
	v_cvt_f16_f32_e32 v8, v8
	s_branch .LBB23_1477
.LBB23_1475:
	s_mov_b32 s6, -1
                                        ; implicit-def: $vgpr8
	s_branch .LBB23_1480
.LBB23_1476:
	s_mov_b32 s6, -1
                                        ; implicit-def: $vgpr8
.LBB23_1477:
	s_delay_alu instid0(SALU_CYCLE_1)
	s_and_not1_b32 vcc_lo, exec_lo, s6
	s_cbranch_vccnz .LBB23_1479
; %bb.1478:
	global_load_u16 v8, v[0:1], off
	s_waitcnt vmcnt(0)
	v_cvt_f16_u16_e32 v8, v8
.LBB23_1479:
	s_mov_b32 s6, 0
.LBB23_1480:
	s_delay_alu instid0(SALU_CYCLE_1)
	s_and_not1_b32 vcc_lo, exec_lo, s6
	s_cbranch_vccnz .LBB23_1488
; %bb.1481:
	global_load_u8 v14, v[0:1], off
	s_mov_b32 s6, 0
	s_mov_b32 s15, exec_lo
                                        ; implicit-def: $sgpr7
	s_waitcnt vmcnt(0)
	v_cmpx_lt_i16_e32 0x7f, v14
	s_xor_b32 s15, exec_lo, s15
	s_cbranch_execz .LBB23_1502
; %bb.1482:
	s_mov_b32 s6, -1
	s_mov_b32 s16, exec_lo
                                        ; implicit-def: $sgpr7
	v_cmpx_eq_u16_e32 0x80, v14
; %bb.1483:
	s_movk_i32 s7, 0x7e00
	s_xor_b32 s6, exec_lo, -1
; %bb.1484:
	s_or_b32 exec_lo, exec_lo, s16
	s_delay_alu instid0(SALU_CYCLE_1)
	s_and_b32 s6, s6, exec_lo
	s_or_saveexec_b32 s15, s15
	v_mov_b32_e32 v8, s7
	s_xor_b32 exec_lo, exec_lo, s15
	s_cbranch_execnz .LBB23_1503
.LBB23_1485:
	s_or_b32 exec_lo, exec_lo, s15
	s_and_saveexec_b32 s7, s6
	s_cbranch_execz .LBB23_1487
.LBB23_1486:
	v_and_b32_e32 v8, 0xffff, v14
	v_lshlrev_b32_e32 v14, 24, v14
	s_delay_alu instid0(VALU_DEP_2) | instskip(NEXT) | instid1(VALU_DEP_2)
	v_and_b32_e32 v15, 7, v8
	v_and_b32_e32 v14, 0x80000000, v14
	s_delay_alu instid0(VALU_DEP_2) | instskip(NEXT) | instid1(VALU_DEP_1)
	v_clz_i32_u32_e32 v16, v15
	v_min_u32_e32 v16, 32, v16
	s_delay_alu instid0(VALU_DEP_1) | instskip(SKIP_1) | instid1(VALU_DEP_2)
	v_subrev_nc_u32_e32 v17, 28, v16
	v_sub_nc_u32_e32 v16, 29, v16
	v_lshlrev_b32_e32 v17, v17, v8
	v_bfe_u32 v8, v8, 3, 4
	s_delay_alu instid0(VALU_DEP_1) | instskip(NEXT) | instid1(VALU_DEP_3)
	v_cmp_eq_u32_e32 vcc_lo, 0, v8
	v_dual_cndmask_b32 v8, v8, v16 :: v_dual_and_b32 v17, 7, v17
	s_delay_alu instid0(VALU_DEP_1) | instskip(NEXT) | instid1(VALU_DEP_2)
	v_cndmask_b32_e32 v15, v15, v17, vcc_lo
	v_lshl_add_u32 v8, v8, 23, 0x3b800000
	s_delay_alu instid0(VALU_DEP_2) | instskip(NEXT) | instid1(VALU_DEP_1)
	v_lshlrev_b32_e32 v15, 20, v15
	v_or3_b32 v8, v14, v8, v15
	s_delay_alu instid0(VALU_DEP_1)
	v_cvt_f16_f32_e32 v8, v8
.LBB23_1487:
	s_or_b32 exec_lo, exec_lo, s7
.LBB23_1488:
	s_mov_b32 s6, -1
.LBB23_1489:
	s_mov_b32 s7, 0
.LBB23_1490:
	s_delay_alu instid0(SALU_CYCLE_1)
	s_and_b32 vcc_lo, exec_lo, s7
	s_cbranch_vccz .LBB23_1523
; %bb.1491:
	v_cmp_lt_i16_e32 vcc_lo, 22, v3
	s_cbranch_vccz .LBB23_1501
; %bb.1492:
	v_cmp_gt_i16_e32 vcc_lo, 24, v3
	s_cbranch_vccnz .LBB23_1504
; %bb.1493:
	v_cmp_lt_i16_e32 vcc_lo, 24, v3
	s_cbranch_vccz .LBB23_1505
; %bb.1494:
	global_load_u8 v14, v[0:1], off
	s_mov_b32 s7, exec_lo
                                        ; implicit-def: $sgpr6
	s_waitcnt vmcnt(0)
	v_cmpx_lt_i16_e32 0x7f, v14
	s_xor_b32 s7, exec_lo, s7
	s_cbranch_execz .LBB23_1517
; %bb.1495:
	s_mov_b32 s3, -1
	s_mov_b32 s15, exec_lo
                                        ; implicit-def: $sgpr6
	v_cmpx_eq_u16_e32 0x80, v14
; %bb.1496:
	s_movk_i32 s6, 0x7e00
	s_xor_b32 s3, exec_lo, -1
; %bb.1497:
	s_or_b32 exec_lo, exec_lo, s15
	s_delay_alu instid0(SALU_CYCLE_1)
	s_and_b32 s3, s3, exec_lo
	s_or_saveexec_b32 s7, s7
	v_mov_b32_e32 v8, s6
	s_xor_b32 exec_lo, exec_lo, s7
	s_cbranch_execnz .LBB23_1518
.LBB23_1498:
	s_or_b32 exec_lo, exec_lo, s7
	s_and_saveexec_b32 s6, s3
	s_cbranch_execz .LBB23_1500
.LBB23_1499:
	v_and_b32_e32 v8, 0xffff, v14
	v_lshlrev_b32_e32 v14, 24, v14
	s_delay_alu instid0(VALU_DEP_2) | instskip(NEXT) | instid1(VALU_DEP_2)
	v_and_b32_e32 v15, 3, v8
	v_and_b32_e32 v14, 0x80000000, v14
	s_delay_alu instid0(VALU_DEP_2) | instskip(NEXT) | instid1(VALU_DEP_1)
	v_clz_i32_u32_e32 v16, v15
	v_min_u32_e32 v16, 32, v16
	s_delay_alu instid0(VALU_DEP_1) | instskip(SKIP_1) | instid1(VALU_DEP_2)
	v_subrev_nc_u32_e32 v17, 29, v16
	v_sub_nc_u32_e32 v16, 30, v16
	v_lshlrev_b32_e32 v17, v17, v8
	v_bfe_u32 v8, v8, 2, 5
	s_delay_alu instid0(VALU_DEP_1) | instskip(NEXT) | instid1(VALU_DEP_3)
	v_cmp_eq_u32_e32 vcc_lo, 0, v8
	v_dual_cndmask_b32 v8, v8, v16 :: v_dual_and_b32 v17, 3, v17
	s_delay_alu instid0(VALU_DEP_1) | instskip(NEXT) | instid1(VALU_DEP_2)
	v_cndmask_b32_e32 v15, v15, v17, vcc_lo
	v_lshl_add_u32 v8, v8, 23, 0x37800000
	s_delay_alu instid0(VALU_DEP_2) | instskip(NEXT) | instid1(VALU_DEP_1)
	v_lshlrev_b32_e32 v15, 21, v15
	v_or3_b32 v8, v14, v8, v15
	s_delay_alu instid0(VALU_DEP_1)
	v_cvt_f16_f32_e32 v8, v8
.LBB23_1500:
	s_or_b32 exec_lo, exec_lo, s6
	s_mov_b32 s3, 0
	s_branch .LBB23_1506
.LBB23_1501:
	s_mov_b32 s3, -1
                                        ; implicit-def: $vgpr8
	s_branch .LBB23_1512
.LBB23_1502:
	s_or_saveexec_b32 s15, s15
	v_mov_b32_e32 v8, s7
	s_xor_b32 exec_lo, exec_lo, s15
	s_cbranch_execz .LBB23_1485
.LBB23_1503:
	v_cmp_ne_u16_e32 vcc_lo, 0, v14
	v_mov_b32_e32 v8, v14
	s_and_not1_b32 s6, s6, exec_lo
	s_and_b32 s7, vcc_lo, exec_lo
	s_delay_alu instid0(SALU_CYCLE_1)
	s_or_b32 s6, s6, s7
	s_or_b32 exec_lo, exec_lo, s15
	s_and_saveexec_b32 s7, s6
	s_cbranch_execnz .LBB23_1486
	s_branch .LBB23_1487
.LBB23_1504:
	s_mov_b32 s3, -1
                                        ; implicit-def: $vgpr8
	s_branch .LBB23_1509
.LBB23_1505:
	s_mov_b32 s3, -1
                                        ; implicit-def: $vgpr8
.LBB23_1506:
	s_delay_alu instid0(SALU_CYCLE_1)
	s_and_b32 vcc_lo, exec_lo, s3
	s_cbranch_vccz .LBB23_1508
; %bb.1507:
	global_load_u8 v8, v[0:1], off
	s_waitcnt vmcnt(0)
	v_lshlrev_b32_e32 v8, 24, v8
	s_delay_alu instid0(VALU_DEP_1) | instskip(NEXT) | instid1(VALU_DEP_1)
	v_and_b32_e32 v14, 0x7f000000, v8
	v_clz_i32_u32_e32 v15, v14
	v_cmp_ne_u32_e32 vcc_lo, 0, v14
	v_add_nc_u32_e32 v17, 0x1000000, v14
	s_delay_alu instid0(VALU_DEP_3) | instskip(NEXT) | instid1(VALU_DEP_1)
	v_min_u32_e32 v15, 32, v15
	v_sub_nc_u32_e64 v15, v15, 4 clamp
	s_delay_alu instid0(VALU_DEP_1) | instskip(SKIP_1) | instid1(VALU_DEP_2)
	v_lshlrev_b32_e32 v16, v15, v14
	v_lshlrev_b32_e32 v15, 23, v15
	v_lshrrev_b32_e32 v16, 4, v16
	s_delay_alu instid0(VALU_DEP_1) | instskip(SKIP_1) | instid1(VALU_DEP_2)
	v_sub_nc_u32_e32 v15, v16, v15
	v_ashrrev_i32_e32 v16, 8, v17
	v_add_nc_u32_e32 v15, 0x3c000000, v15
	s_delay_alu instid0(VALU_DEP_1) | instskip(NEXT) | instid1(VALU_DEP_1)
	v_and_or_b32 v15, 0x7f800000, v16, v15
	v_cndmask_b32_e32 v14, 0, v15, vcc_lo
	s_delay_alu instid0(VALU_DEP_1) | instskip(NEXT) | instid1(VALU_DEP_1)
	v_and_or_b32 v8, 0x80000000, v8, v14
	v_cvt_f16_f32_e32 v8, v8
.LBB23_1508:
	s_mov_b32 s3, 0
.LBB23_1509:
	s_delay_alu instid0(SALU_CYCLE_1)
	s_and_not1_b32 vcc_lo, exec_lo, s3
	s_cbranch_vccnz .LBB23_1511
; %bb.1510:
	global_load_u8 v8, v[0:1], off
	s_waitcnt vmcnt(0)
	v_lshlrev_b32_e32 v14, 25, v8
	v_lshlrev_b16 v8, 8, v8
	s_delay_alu instid0(VALU_DEP_2) | instskip(NEXT) | instid1(VALU_DEP_2)
	v_lshrrev_b32_e32 v15, 4, v14
	v_and_or_b32 v16, 0x7f00, v8, 0.5
	v_bfe_i32 v8, v8, 0, 16
	s_delay_alu instid0(VALU_DEP_3) | instskip(NEXT) | instid1(VALU_DEP_1)
	v_or_b32_e32 v15, 0x70000000, v15
	v_dual_add_f32 v16, -0.5, v16 :: v_dual_mul_f32 v15, 0x7800000, v15
	v_cmp_gt_u32_e32 vcc_lo, 0x8000000, v14
	s_delay_alu instid0(VALU_DEP_2) | instskip(NEXT) | instid1(VALU_DEP_1)
	v_cndmask_b32_e32 v14, v15, v16, vcc_lo
	v_and_or_b32 v8, 0x80000000, v8, v14
	s_delay_alu instid0(VALU_DEP_1)
	v_cvt_f16_f32_e32 v8, v8
.LBB23_1511:
	s_mov_b32 s3, 0
	s_mov_b32 s6, -1
.LBB23_1512:
	s_and_not1_b32 vcc_lo, exec_lo, s3
	s_mov_b32 s3, 0
	s_cbranch_vccnz .LBB23_1523
; %bb.1513:
	v_cmp_lt_i16_e32 vcc_lo, 14, v3
	s_cbranch_vccz .LBB23_1516
; %bb.1514:
	v_cmp_eq_u16_e32 vcc_lo, 15, v3
	s_cbranch_vccz .LBB23_1519
; %bb.1515:
	global_load_u16 v8, v[0:1], off
	s_mov_b32 s0, 0
	s_mov_b32 s6, -1
	s_waitcnt vmcnt(0)
	v_lshlrev_b32_e32 v8, 16, v8
	s_delay_alu instid0(VALU_DEP_1)
	v_cvt_f16_f32_e32 v8, v8
	s_branch .LBB23_1521
.LBB23_1516:
	s_mov_b32 s3, -1
	s_branch .LBB23_1520
.LBB23_1517:
	s_or_saveexec_b32 s7, s7
	v_mov_b32_e32 v8, s6
	s_xor_b32 exec_lo, exec_lo, s7
	s_cbranch_execz .LBB23_1498
.LBB23_1518:
	v_cmp_ne_u16_e32 vcc_lo, 0, v14
	v_mov_b32_e32 v8, v14
	s_and_not1_b32 s3, s3, exec_lo
	s_and_b32 s6, vcc_lo, exec_lo
	s_delay_alu instid0(SALU_CYCLE_1)
	s_or_b32 s3, s3, s6
	s_or_b32 exec_lo, exec_lo, s7
	s_and_saveexec_b32 s6, s3
	s_cbranch_execnz .LBB23_1499
	s_branch .LBB23_1500
.LBB23_1519:
	s_mov_b32 s0, -1
.LBB23_1520:
                                        ; implicit-def: $vgpr8
.LBB23_1521:
	s_and_b32 vcc_lo, exec_lo, s3
	s_mov_b32 s3, 0
	s_cbranch_vccz .LBB23_1523
; %bb.1522:
	v_cmp_ne_u16_e64 s0, 11, v3
	s_mov_b32 s3, -1
                                        ; implicit-def: $vgpr8
.LBB23_1523:
	s_delay_alu instid0(VALU_DEP_1)
	s_and_b32 vcc_lo, exec_lo, s0
	s_cbranch_vccnz .LBB23_2058
; %bb.1524:
	s_and_not1_b32 vcc_lo, exec_lo, s3
	s_cbranch_vccnz .LBB23_1526
.LBB23_1525:
	global_load_u8 v8, v[0:1], off
	s_mov_b32 s6, -1
	s_waitcnt vmcnt(0)
	v_cmp_ne_u16_e32 vcc_lo, 0, v8
	v_cndmask_b32_e64 v8, 0, 0x3c00, vcc_lo
.LBB23_1526:
	s_mov_b32 s0, 0
.LBB23_1527:
	s_delay_alu instid0(SALU_CYCLE_1)
	s_and_b32 vcc_lo, exec_lo, s0
	s_cbranch_vccz .LBB23_1576
; %bb.1528:
	v_cmp_gt_i16_e32 vcc_lo, 5, v3
	s_cbranch_vccnz .LBB23_1533
; %bb.1529:
	v_cmp_gt_i16_e32 vcc_lo, 8, v3
	s_cbranch_vccnz .LBB23_1534
	;; [unrolled: 3-line block ×3, first 2 shown]
; %bb.1531:
	v_cmp_lt_i16_e32 vcc_lo, 9, v3
	s_cbranch_vccz .LBB23_1536
; %bb.1532:
	global_load_b64 v[14:15], v[0:1], off
	s_mov_b32 s0, 0
	s_waitcnt vmcnt(0)
	v_cvt_f32_f64_e32 v8, v[14:15]
	s_delay_alu instid0(VALU_DEP_1)
	v_cvt_f16_f32_e32 v8, v8
	s_branch .LBB23_1537
.LBB23_1533:
	s_mov_b32 s0, -1
                                        ; implicit-def: $vgpr8
	s_branch .LBB23_1555
.LBB23_1534:
	s_mov_b32 s0, -1
                                        ; implicit-def: $vgpr8
	s_branch .LBB23_1543
.LBB23_1535:
	s_mov_b32 s0, -1
                                        ; implicit-def: $vgpr8
	s_branch .LBB23_1540
.LBB23_1536:
	s_mov_b32 s0, -1
                                        ; implicit-def: $vgpr8
.LBB23_1537:
	s_delay_alu instid0(SALU_CYCLE_1)
	s_and_not1_b32 vcc_lo, exec_lo, s0
	s_cbranch_vccnz .LBB23_1539
; %bb.1538:
	global_load_b32 v8, v[0:1], off
	s_waitcnt vmcnt(0)
	v_cvt_f16_f32_e32 v8, v8
.LBB23_1539:
	s_mov_b32 s0, 0
.LBB23_1540:
	s_delay_alu instid0(SALU_CYCLE_1)
	s_and_not1_b32 vcc_lo, exec_lo, s0
	s_cbranch_vccnz .LBB23_1542
; %bb.1541:
	global_load_b32 v8, v[0:1], off
.LBB23_1542:
	s_mov_b32 s0, 0
.LBB23_1543:
	s_delay_alu instid0(SALU_CYCLE_1)
	s_and_not1_b32 vcc_lo, exec_lo, s0
	s_cbranch_vccnz .LBB23_1554
; %bb.1544:
	v_cmp_gt_i16_e32 vcc_lo, 6, v3
	s_cbranch_vccnz .LBB23_1547
; %bb.1545:
	v_cmp_lt_i16_e32 vcc_lo, 6, v3
	s_cbranch_vccz .LBB23_1548
; %bb.1546:
	global_load_b64 v[14:15], v[0:1], off
	s_mov_b32 s0, 0
	s_waitcnt vmcnt(0)
	v_cvt_f32_f64_e32 v8, v[14:15]
	s_delay_alu instid0(VALU_DEP_1)
	v_cvt_f16_f32_e32 v8, v8
	s_branch .LBB23_1549
.LBB23_1547:
	s_mov_b32 s0, -1
                                        ; implicit-def: $vgpr8
	s_branch .LBB23_1552
.LBB23_1548:
	s_mov_b32 s0, -1
                                        ; implicit-def: $vgpr8
.LBB23_1549:
	s_delay_alu instid0(SALU_CYCLE_1)
	s_and_not1_b32 vcc_lo, exec_lo, s0
	s_cbranch_vccnz .LBB23_1551
; %bb.1550:
	global_load_b32 v8, v[0:1], off
	s_waitcnt vmcnt(0)
	v_cvt_f16_f32_e32 v8, v8
.LBB23_1551:
	s_mov_b32 s0, 0
.LBB23_1552:
	s_delay_alu instid0(SALU_CYCLE_1)
	s_and_not1_b32 vcc_lo, exec_lo, s0
	s_cbranch_vccnz .LBB23_1554
; %bb.1553:
	global_load_u16 v8, v[0:1], off
.LBB23_1554:
	s_mov_b32 s0, 0
.LBB23_1555:
	s_delay_alu instid0(SALU_CYCLE_1)
	s_and_not1_b32 vcc_lo, exec_lo, s0
	s_cbranch_vccnz .LBB23_1575
; %bb.1556:
	v_cmp_gt_i16_e32 vcc_lo, 2, v3
	s_cbranch_vccnz .LBB23_1560
; %bb.1557:
	v_cmp_gt_i16_e32 vcc_lo, 3, v3
	s_cbranch_vccnz .LBB23_1561
; %bb.1558:
	v_cmp_lt_i16_e32 vcc_lo, 3, v3
	s_cbranch_vccz .LBB23_1562
; %bb.1559:
	global_load_b64 v[14:15], v[0:1], off
	s_mov_b32 s0, 0
	s_waitcnt vmcnt(0)
	v_xor_b32_e32 v8, v14, v15
	v_cls_i32_e32 v16, v15
	s_delay_alu instid0(VALU_DEP_2) | instskip(NEXT) | instid1(VALU_DEP_2)
	v_ashrrev_i32_e32 v8, 31, v8
	v_add_nc_u32_e32 v16, -1, v16
	s_delay_alu instid0(VALU_DEP_2) | instskip(NEXT) | instid1(VALU_DEP_1)
	v_add_nc_u32_e32 v8, 32, v8
	v_min_u32_e32 v8, v16, v8
	s_delay_alu instid0(VALU_DEP_1) | instskip(SKIP_1) | instid1(VALU_DEP_2)
	v_lshlrev_b64 v[14:15], v8, v[14:15]
	v_sub_nc_u32_e32 v8, 32, v8
	v_min_u32_e32 v14, 1, v14
	s_delay_alu instid0(VALU_DEP_1) | instskip(NEXT) | instid1(VALU_DEP_1)
	v_or_b32_e32 v14, v15, v14
	v_cvt_f32_i32_e32 v14, v14
	s_delay_alu instid0(VALU_DEP_1) | instskip(NEXT) | instid1(VALU_DEP_1)
	v_ldexp_f32 v8, v14, v8
	v_cvt_f16_f32_e32 v8, v8
	s_branch .LBB23_1563
.LBB23_1560:
	s_mov_b32 s0, -1
                                        ; implicit-def: $vgpr8
	s_branch .LBB23_1569
.LBB23_1561:
	s_mov_b32 s0, -1
                                        ; implicit-def: $vgpr8
	s_branch .LBB23_1566
.LBB23_1562:
	s_mov_b32 s0, -1
                                        ; implicit-def: $vgpr8
.LBB23_1563:
	s_delay_alu instid0(SALU_CYCLE_1)
	s_and_not1_b32 vcc_lo, exec_lo, s0
	s_cbranch_vccnz .LBB23_1565
; %bb.1564:
	global_load_b32 v8, v[0:1], off
	s_waitcnt vmcnt(0)
	v_cvt_f32_i32_e32 v8, v8
	s_delay_alu instid0(VALU_DEP_1)
	v_cvt_f16_f32_e32 v8, v8
.LBB23_1565:
	s_mov_b32 s0, 0
.LBB23_1566:
	s_delay_alu instid0(SALU_CYCLE_1)
	s_and_not1_b32 vcc_lo, exec_lo, s0
	s_cbranch_vccnz .LBB23_1568
; %bb.1567:
	global_load_u16 v8, v[0:1], off
	s_waitcnt vmcnt(0)
	v_cvt_f16_i16_e32 v8, v8
.LBB23_1568:
	s_mov_b32 s0, 0
.LBB23_1569:
	s_delay_alu instid0(SALU_CYCLE_1)
	s_and_not1_b32 vcc_lo, exec_lo, s0
	s_cbranch_vccnz .LBB23_1575
; %bb.1570:
	v_cmp_lt_i16_e32 vcc_lo, 0, v3
	s_mov_b32 s0, 0
	s_cbranch_vccz .LBB23_1572
; %bb.1571:
	global_load_i8 v3, v[0:1], off
	s_waitcnt vmcnt(0)
	v_cvt_f16_i16_e32 v8, v3
	s_branch .LBB23_1573
.LBB23_1572:
	s_mov_b32 s0, -1
                                        ; implicit-def: $vgpr8
.LBB23_1573:
	s_delay_alu instid0(SALU_CYCLE_1)
	s_and_not1_b32 vcc_lo, exec_lo, s0
	s_cbranch_vccnz .LBB23_1575
; %bb.1574:
	global_load_u8 v0, v[0:1], off
	s_waitcnt vmcnt(0)
	v_cvt_f16_u16_e32 v8, v0
.LBB23_1575:
	s_mov_b32 s6, -1
.LBB23_1576:
	s_delay_alu instid0(SALU_CYCLE_1)
	s_and_not1_b32 vcc_lo, exec_lo, s6
	s_cbranch_vccnz .LBB23_2012
; %bb.1577:
	s_waitcnt vmcnt(0)
	v_cvt_f32_f16_e32 v14, v8
	v_mov_b32_e32 v3, v12
	s_mov_b32 s0, exec_lo
	s_delay_alu instid0(VALU_DEP_2)
	v_cmpx_nlg_f32_e64 0x7f800000, |v14|
	s_cbranch_execz .LBB23_1579
; %bb.1578:
	v_dual_mov_b32 v0, 0 :: v_dual_mov_b32 v1, 1.0
	global_store_b32 v0, v1, s[8:9]
	global_load_b32 v3, v0, s[10:11]
.LBB23_1579:
	s_or_b32 exec_lo, exec_lo, s0
	v_mul_lo_u32 v2, s2, v2
	v_fma_mixlo_f16 v0, v9, v4, 0
	v_and_b32_e64 v4, 0xff, s12
	v_cmp_eq_f32_e32 vcc_lo, 1.0, v9
	s_delay_alu instid0(VALU_DEP_3) | instskip(SKIP_1) | instid1(VALU_DEP_4)
	v_cndmask_b32_e32 v5, v0, v5, vcc_lo
	v_ashrrev_i32_e32 v1, 31, v2
	v_cmp_gt_i16_e32 vcc_lo, 11, v4
	v_add_co_u32 v0, s0, s4, v2
	s_delay_alu instid0(VALU_DEP_1)
	v_add_co_ci_u32_e64 v1, s0, s5, v1, s0
	s_cbranch_vccnz .LBB23_1657
; %bb.1580:
	v_cmp_lt_i16_e32 vcc_lo, 25, v4
	s_mov_b32 s7, -1
	s_mov_b32 s3, 0
	s_mov_b32 s6, 0
	;; [unrolled: 1-line block ×3, first 2 shown]
	s_cbranch_vccz .LBB23_1613
; %bb.1581:
	v_cmp_lt_i16_e32 vcc_lo, 28, v4
	s_cbranch_vccz .LBB23_1596
; %bb.1582:
	v_cmp_lt_i16_e32 vcc_lo, 43, v4
	s_cbranch_vccz .LBB23_1592
; %bb.1583:
	v_cmp_lt_i16_e32 vcc_lo, 45, v4
	s_cbranch_vccz .LBB23_1586
; %bb.1584:
	v_cmp_eq_u16_e32 vcc_lo, 46, v4
	s_mov_b32 s0, -1
	s_mov_b32 s7, 0
	s_cbranch_vccz .LBB23_1586
; %bb.1585:
	v_cvt_f32_f16_e32 v9, v5
	v_cmp_o_f16_e32 vcc_lo, v5, v5
	s_mov_b32 s0, 0
	s_mov_b32 s6, -1
	s_delay_alu instid0(VALU_DEP_2) | instskip(NEXT) | instid1(VALU_DEP_1)
	v_bfe_u32 v15, v9, 16, 1
	v_add3_u32 v9, v9, v15, 0x7fff
	s_delay_alu instid0(VALU_DEP_1) | instskip(NEXT) | instid1(VALU_DEP_1)
	v_lshrrev_b32_e32 v9, 16, v9
	v_cndmask_b32_e32 v9, 0x7fc0, v9, vcc_lo
	global_store_b32 v[0:1], v9, off
.LBB23_1586:
	s_and_b32 vcc_lo, exec_lo, s7
	s_cbranch_vccz .LBB23_1591
; %bb.1587:
	v_cmp_eq_u16_e32 vcc_lo, 44, v4
	s_mov_b32 s0, -1
	s_cbranch_vccz .LBB23_1591
; %bb.1588:
	v_cvt_f32_f16_e32 v9, v5
	v_mov_b32_e32 v15, 0xff
	s_mov_b32 s6, exec_lo
	s_delay_alu instid0(VALU_DEP_2) | instskip(NEXT) | instid1(VALU_DEP_1)
	v_bfe_u32 v16, v9, 23, 8
	v_cmpx_ne_u32_e32 0xff, v16
; %bb.1589:
	v_and_b32_e32 v15, 0x400000, v9
	v_and_or_b32 v16, 0x3fffff, v9, v16
	v_lshrrev_b32_e32 v9, 23, v9
	s_delay_alu instid0(VALU_DEP_3) | instskip(NEXT) | instid1(VALU_DEP_3)
	v_cmp_ne_u32_e32 vcc_lo, 0, v15
	v_cmp_ne_u32_e64 s0, 0, v16
	s_delay_alu instid0(VALU_DEP_1) | instskip(NEXT) | instid1(SALU_CYCLE_1)
	s_and_b32 s0, vcc_lo, s0
	v_cndmask_b32_e64 v15, 0, 1, s0
	s_delay_alu instid0(VALU_DEP_1)
	v_add_nc_u32_e32 v15, v9, v15
; %bb.1590:
	s_or_b32 exec_lo, exec_lo, s6
	s_mov_b32 s0, 0
	s_mov_b32 s6, -1
	global_store_b8 v[0:1], v15, off
.LBB23_1591:
	s_mov_b32 s7, 0
.LBB23_1592:
	s_delay_alu instid0(SALU_CYCLE_1)
	s_and_b32 vcc_lo, exec_lo, s7
	s_cbranch_vccz .LBB23_1595
; %bb.1593:
	v_cmp_eq_u16_e32 vcc_lo, 29, v4
	s_mov_b32 s0, -1
	s_cbranch_vccz .LBB23_1595
; %bb.1594:
	v_cvt_f32_f16_e32 v9, v5
	v_mov_b32_e32 v16, 0
	s_mov_b32 s0, 0
	s_mov_b32 s6, -1
	s_delay_alu instid0(VALU_DEP_2)
	v_cvt_u32_f32_e32 v15, v9
	global_store_b64 v[0:1], v[15:16], off
.LBB23_1595:
	s_mov_b32 s7, 0
.LBB23_1596:
	s_delay_alu instid0(SALU_CYCLE_1)
	s_and_b32 vcc_lo, exec_lo, s7
	s_cbranch_vccz .LBB23_1612
; %bb.1597:
	v_cmp_gt_i16_e32 vcc_lo, 27, v4
	s_mov_b32 s6, -1
	s_cbranch_vccnz .LBB23_1603
; %bb.1598:
	v_cmp_lt_i16_e32 vcc_lo, 27, v4
	s_cbranch_vccz .LBB23_1600
; %bb.1599:
	v_cvt_f32_f16_e32 v9, v5
	s_mov_b32 s6, 0
	s_delay_alu instid0(VALU_DEP_1)
	v_cvt_u32_f32_e32 v9, v9
	global_store_b32 v[0:1], v9, off
.LBB23_1600:
	s_and_not1_b32 vcc_lo, exec_lo, s6
	s_cbranch_vccnz .LBB23_1602
; %bb.1601:
	v_cvt_u16_f16_e32 v9, v5
	global_store_b16 v[0:1], v9, off
.LBB23_1602:
	s_mov_b32 s6, 0
.LBB23_1603:
	s_delay_alu instid0(SALU_CYCLE_1)
	s_and_not1_b32 vcc_lo, exec_lo, s6
	s_cbranch_vccnz .LBB23_1611
; %bb.1604:
	v_cvt_f32_f16_e32 v9, v5
	v_mov_b32_e32 v16, 0x80
	s_mov_b32 s6, exec_lo
	s_delay_alu instid0(VALU_DEP_2) | instskip(NEXT) | instid1(VALU_DEP_1)
	v_and_b32_e32 v15, 0x7fffffff, v9
	v_cmpx_gt_u32_e32 0x43800000, v15
	s_cbranch_execz .LBB23_1610
; %bb.1605:
	v_cmp_lt_u32_e32 vcc_lo, 0x3bffffff, v15
	s_mov_b32 s7, 0
                                        ; implicit-def: $vgpr15
	s_and_saveexec_b32 s8, vcc_lo
	s_delay_alu instid0(SALU_CYCLE_1)
	s_xor_b32 s8, exec_lo, s8
	s_cbranch_execz .LBB23_2060
; %bb.1606:
	v_bfe_u32 v15, v9, 20, 1
	s_mov_b32 s7, exec_lo
	s_delay_alu instid0(VALU_DEP_1) | instskip(NEXT) | instid1(VALU_DEP_1)
	v_add3_u32 v15, v9, v15, 0x487ffff
	v_lshrrev_b32_e32 v15, 20, v15
	s_or_saveexec_b32 s8, s8
                                        ; implicit-def: $sgpr9
	s_delay_alu instid0(SALU_CYCLE_1)
	s_xor_b32 exec_lo, exec_lo, s8
	s_cbranch_execnz .LBB23_2061
.LBB23_1607:
	s_or_b32 exec_lo, exec_lo, s8
	v_mov_b32_e32 v16, s9
	s_and_saveexec_b32 s8, s7
.LBB23_1608:
	v_lshrrev_b32_e32 v9, 24, v9
	s_delay_alu instid0(VALU_DEP_1)
	v_and_or_b32 v16, 0x80, v9, v15
.LBB23_1609:
	s_or_b32 exec_lo, exec_lo, s8
.LBB23_1610:
	s_delay_alu instid0(SALU_CYCLE_1)
	s_or_b32 exec_lo, exec_lo, s6
	global_store_b8 v[0:1], v16, off
.LBB23_1611:
	s_mov_b32 s6, -1
.LBB23_1612:
	s_mov_b32 s7, 0
.LBB23_1613:
	s_delay_alu instid0(SALU_CYCLE_1)
	s_and_b32 vcc_lo, exec_lo, s7
	s_cbranch_vccz .LBB23_1653
; %bb.1614:
	v_cmp_lt_i16_e32 vcc_lo, 22, v4
	s_mov_b32 s3, -1
	s_cbranch_vccz .LBB23_1646
; %bb.1615:
	v_cmp_gt_i16_e32 vcc_lo, 24, v4
	s_cbranch_vccnz .LBB23_1635
; %bb.1616:
	v_cmp_lt_i16_e32 vcc_lo, 24, v4
	s_cbranch_vccz .LBB23_1624
; %bb.1617:
	v_cvt_f32_f16_e32 v9, v5
	v_mov_b32_e32 v16, 0x80
	s_mov_b32 s3, exec_lo
	s_delay_alu instid0(VALU_DEP_2) | instskip(NEXT) | instid1(VALU_DEP_1)
	v_and_b32_e32 v15, 0x7fffffff, v9
	v_cmpx_gt_u32_e32 0x47800000, v15
	s_cbranch_execz .LBB23_1623
; %bb.1618:
	v_cmp_lt_u32_e32 vcc_lo, 0x37ffffff, v15
	s_mov_b32 s6, 0
                                        ; implicit-def: $vgpr15
	s_and_saveexec_b32 s7, vcc_lo
	s_delay_alu instid0(SALU_CYCLE_1)
	s_xor_b32 s7, exec_lo, s7
	s_cbranch_execz .LBB23_2066
; %bb.1619:
	v_bfe_u32 v15, v9, 21, 1
	s_mov_b32 s6, exec_lo
	s_delay_alu instid0(VALU_DEP_1) | instskip(NEXT) | instid1(VALU_DEP_1)
	v_add3_u32 v15, v9, v15, 0x88fffff
	v_lshrrev_b32_e32 v15, 21, v15
	s_or_saveexec_b32 s7, s7
                                        ; implicit-def: $sgpr8
	s_delay_alu instid0(SALU_CYCLE_1)
	s_xor_b32 exec_lo, exec_lo, s7
	s_cbranch_execnz .LBB23_2067
.LBB23_1620:
	s_or_b32 exec_lo, exec_lo, s7
	v_mov_b32_e32 v16, s8
	s_and_saveexec_b32 s7, s6
.LBB23_1621:
	v_lshrrev_b32_e32 v9, 24, v9
	s_delay_alu instid0(VALU_DEP_1)
	v_and_or_b32 v16, 0x80, v9, v15
.LBB23_1622:
	s_or_b32 exec_lo, exec_lo, s7
.LBB23_1623:
	s_delay_alu instid0(SALU_CYCLE_1)
	s_or_b32 exec_lo, exec_lo, s3
	s_mov_b32 s3, 0
	global_store_b8 v[0:1], v16, off
.LBB23_1624:
	s_and_b32 vcc_lo, exec_lo, s3
	s_cbranch_vccz .LBB23_1634
; %bb.1625:
	v_cvt_f32_f16_e32 v9, v5
	s_mov_b32 s3, exec_lo
                                        ; implicit-def: $vgpr15
	s_delay_alu instid0(VALU_DEP_1) | instskip(NEXT) | instid1(VALU_DEP_1)
	v_and_b32_e32 v16, 0x7fffffff, v9
	v_cmpx_gt_u32_e32 0x43f00000, v16
	s_xor_b32 s3, exec_lo, s3
	s_cbranch_execz .LBB23_1631
; %bb.1626:
	s_mov_b32 s6, exec_lo
                                        ; implicit-def: $vgpr15
	v_cmpx_lt_u32_e32 0x3c7fffff, v16
	s_xor_b32 s6, exec_lo, s6
; %bb.1627:
	v_bfe_u32 v15, v9, 20, 1
	s_delay_alu instid0(VALU_DEP_1) | instskip(NEXT) | instid1(VALU_DEP_1)
	v_add3_u32 v15, v9, v15, 0x407ffff
	v_and_b32_e32 v16, 0xff00000, v15
	v_lshrrev_b32_e32 v15, 20, v15
	s_delay_alu instid0(VALU_DEP_2) | instskip(NEXT) | instid1(VALU_DEP_2)
	v_cmp_ne_u32_e32 vcc_lo, 0x7f00000, v16
	v_cndmask_b32_e32 v15, 0x7e, v15, vcc_lo
; %bb.1628:
	s_and_not1_saveexec_b32 s6, s6
; %bb.1629:
	v_add_f32_e64 v15, 0x46800000, |v9|
; %bb.1630:
	s_or_b32 exec_lo, exec_lo, s6
                                        ; implicit-def: $vgpr16
.LBB23_1631:
	s_and_not1_saveexec_b32 s3, s3
; %bb.1632:
	v_mov_b32_e32 v15, 0x7f
	v_cmp_lt_u32_e32 vcc_lo, 0x7f800000, v16
	s_delay_alu instid0(VALU_DEP_2)
	v_cndmask_b32_e32 v15, 0x7e, v15, vcc_lo
; %bb.1633:
	s_or_b32 exec_lo, exec_lo, s3
	v_lshrrev_b32_e32 v9, 24, v9
	s_delay_alu instid0(VALU_DEP_1)
	v_and_or_b32 v9, 0x80, v9, v15
	global_store_b8 v[0:1], v9, off
.LBB23_1634:
	s_mov_b32 s3, 0
.LBB23_1635:
	s_delay_alu instid0(SALU_CYCLE_1)
	s_and_not1_b32 vcc_lo, exec_lo, s3
	s_cbranch_vccnz .LBB23_1645
; %bb.1636:
	v_cvt_f32_f16_e32 v9, v5
	s_mov_b32 s3, exec_lo
                                        ; implicit-def: $vgpr15
	s_delay_alu instid0(VALU_DEP_1) | instskip(NEXT) | instid1(VALU_DEP_1)
	v_and_b32_e32 v16, 0x7fffffff, v9
	v_cmpx_gt_u32_e32 0x47800000, v16
	s_xor_b32 s3, exec_lo, s3
	s_cbranch_execz .LBB23_1642
; %bb.1637:
	s_mov_b32 s6, exec_lo
                                        ; implicit-def: $vgpr15
	v_cmpx_lt_u32_e32 0x387fffff, v16
	s_xor_b32 s6, exec_lo, s6
; %bb.1638:
	v_bfe_u32 v15, v9, 21, 1
	s_delay_alu instid0(VALU_DEP_1) | instskip(NEXT) | instid1(VALU_DEP_1)
	v_add3_u32 v15, v9, v15, 0x80fffff
	v_lshrrev_b32_e32 v15, 21, v15
; %bb.1639:
	s_and_not1_saveexec_b32 s6, s6
; %bb.1640:
	v_add_f32_e64 v15, 0x43000000, |v9|
; %bb.1641:
	s_or_b32 exec_lo, exec_lo, s6
                                        ; implicit-def: $vgpr16
.LBB23_1642:
	s_and_not1_saveexec_b32 s3, s3
; %bb.1643:
	v_mov_b32_e32 v15, 0x7f
	v_cmp_lt_u32_e32 vcc_lo, 0x7f800000, v16
	s_delay_alu instid0(VALU_DEP_2)
	v_cndmask_b32_e32 v15, 0x7c, v15, vcc_lo
; %bb.1644:
	s_or_b32 exec_lo, exec_lo, s3
	v_lshrrev_b32_e32 v9, 24, v9
	s_delay_alu instid0(VALU_DEP_1)
	v_and_or_b32 v9, 0x80, v9, v15
	global_store_b8 v[0:1], v9, off
.LBB23_1645:
	s_mov_b32 s3, 0
	s_mov_b32 s6, -1
.LBB23_1646:
	s_and_not1_b32 vcc_lo, exec_lo, s3
	s_mov_b32 s3, 0
	s_cbranch_vccnz .LBB23_1653
; %bb.1647:
	v_cmp_lt_i16_e32 vcc_lo, 14, v4
	s_mov_b32 s3, -1
	s_cbranch_vccz .LBB23_1651
; %bb.1648:
	v_cmp_eq_u16_e32 vcc_lo, 15, v4
	s_mov_b32 s0, -1
	s_cbranch_vccz .LBB23_1650
; %bb.1649:
	v_cvt_f32_f16_e32 v9, v5
	v_cmp_o_f16_e32 vcc_lo, v5, v5
	s_mov_b32 s0, 0
	s_mov_b32 s6, -1
	s_delay_alu instid0(VALU_DEP_2) | instskip(NEXT) | instid1(VALU_DEP_1)
	v_bfe_u32 v15, v9, 16, 1
	v_add3_u32 v9, v9, v15, 0x7fff
	s_delay_alu instid0(VALU_DEP_1) | instskip(NEXT) | instid1(VALU_DEP_1)
	v_lshrrev_b32_e32 v9, 16, v9
	v_cndmask_b32_e32 v9, 0x7fc0, v9, vcc_lo
	global_store_b16 v[0:1], v9, off
.LBB23_1650:
	s_mov_b32 s3, 0
.LBB23_1651:
	s_delay_alu instid0(SALU_CYCLE_1)
	s_and_b32 vcc_lo, exec_lo, s3
	s_mov_b32 s3, 0
	s_cbranch_vccz .LBB23_1653
; %bb.1652:
	v_cmp_ne_u16_e64 s0, 11, v4
	s_mov_b32 s3, -1
.LBB23_1653:
	s_delay_alu instid0(VALU_DEP_1)
	s_and_b32 vcc_lo, exec_lo, s0
	s_cbranch_vccnz .LBB23_2064
; %bb.1654:
	s_and_not1_b32 vcc_lo, exec_lo, s3
	s_cbranch_vccnz .LBB23_1656
.LBB23_1655:
	v_cmp_neq_f16_e32 vcc_lo, 0, v5
	s_mov_b32 s6, -1
	v_cndmask_b32_e64 v9, 0, 1, vcc_lo
	global_store_b8 v[0:1], v9, off
.LBB23_1656:
	s_mov_b32 s0, 0
	s_branch .LBB23_1658
.LBB23_1657:
	s_mov_b32 s0, -1
	s_mov_b32 s6, 0
.LBB23_1658:
	s_and_b32 vcc_lo, exec_lo, s0
	s_cbranch_vccz .LBB23_1697
; %bb.1659:
	v_cmp_gt_i16_e32 vcc_lo, 5, v4
	s_mov_b32 s0, -1
	s_cbranch_vccnz .LBB23_1680
; %bb.1660:
	v_cmp_gt_i16_e32 vcc_lo, 8, v4
	s_cbranch_vccnz .LBB23_1670
; %bb.1661:
	v_cmp_gt_i16_e32 vcc_lo, 9, v4
	s_cbranch_vccnz .LBB23_1667
; %bb.1662:
	v_cmp_lt_i16_e32 vcc_lo, 9, v4
	s_cbranch_vccz .LBB23_1664
; %bb.1663:
	v_cvt_f32_f16_e32 v9, v5
	v_mov_b32_e32 v17, 0
	s_mov_b32 s0, 0
	s_delay_alu instid0(VALU_DEP_2) | instskip(NEXT) | instid1(VALU_DEP_2)
	v_cvt_f64_f32_e32 v[15:16], v9
	v_mov_b32_e32 v18, v17
	global_store_b128 v[0:1], v[15:18], off
.LBB23_1664:
	s_and_not1_b32 vcc_lo, exec_lo, s0
	s_cbranch_vccnz .LBB23_1666
; %bb.1665:
	v_cvt_f32_f16_e32 v15, v5
	v_mov_b32_e32 v16, 0
	global_store_b64 v[0:1], v[15:16], off
.LBB23_1666:
	s_mov_b32 s0, 0
.LBB23_1667:
	s_delay_alu instid0(SALU_CYCLE_1)
	s_and_not1_b32 vcc_lo, exec_lo, s0
	s_cbranch_vccnz .LBB23_1669
; %bb.1668:
	v_and_b32_e32 v9, 0xffff, v5
	global_store_b32 v[0:1], v9, off
.LBB23_1669:
	s_mov_b32 s0, 0
.LBB23_1670:
	s_delay_alu instid0(SALU_CYCLE_1)
	s_and_not1_b32 vcc_lo, exec_lo, s0
	s_cbranch_vccnz .LBB23_1679
; %bb.1671:
	v_cmp_gt_i16_e32 vcc_lo, 6, v4
	s_mov_b32 s0, -1
	s_cbranch_vccnz .LBB23_1677
; %bb.1672:
	v_cmp_lt_i16_e32 vcc_lo, 6, v4
	s_cbranch_vccz .LBB23_1674
; %bb.1673:
	v_cvt_f32_f16_e32 v9, v5
	s_mov_b32 s0, 0
	s_delay_alu instid0(VALU_DEP_1)
	v_cvt_f64_f32_e32 v[15:16], v9
	global_store_b64 v[0:1], v[15:16], off
.LBB23_1674:
	s_and_not1_b32 vcc_lo, exec_lo, s0
	s_cbranch_vccnz .LBB23_1676
; %bb.1675:
	v_cvt_f32_f16_e32 v9, v5
	global_store_b32 v[0:1], v9, off
.LBB23_1676:
	s_mov_b32 s0, 0
.LBB23_1677:
	s_delay_alu instid0(SALU_CYCLE_1)
	s_and_not1_b32 vcc_lo, exec_lo, s0
	s_cbranch_vccnz .LBB23_1679
; %bb.1678:
	global_store_b16 v[0:1], v5, off
.LBB23_1679:
	s_mov_b32 s0, 0
.LBB23_1680:
	s_delay_alu instid0(SALU_CYCLE_1)
	s_and_not1_b32 vcc_lo, exec_lo, s0
	s_cbranch_vccnz .LBB23_1696
; %bb.1681:
	v_cmp_gt_i16_e32 vcc_lo, 2, v4
	s_mov_b32 s0, -1
	s_cbranch_vccnz .LBB23_1691
; %bb.1682:
	v_cmp_gt_i16_e32 vcc_lo, 3, v4
	s_cbranch_vccnz .LBB23_1688
; %bb.1683:
	v_cmp_lt_i16_e32 vcc_lo, 3, v4
	s_cbranch_vccz .LBB23_1685
; %bb.1684:
	v_cvt_f32_f16_e32 v9, v5
	s_mov_b32 s0, 0
	s_delay_alu instid0(VALU_DEP_1) | instskip(NEXT) | instid1(VALU_DEP_1)
	v_cvt_i32_f32_e32 v15, v9
	v_ashrrev_i32_e32 v16, 31, v15
	global_store_b64 v[0:1], v[15:16], off
.LBB23_1685:
	s_and_not1_b32 vcc_lo, exec_lo, s0
	s_cbranch_vccnz .LBB23_1687
; %bb.1686:
	v_cvt_f32_f16_e32 v9, v5
	s_delay_alu instid0(VALU_DEP_1)
	v_cvt_i32_f32_e32 v9, v9
	global_store_b32 v[0:1], v9, off
.LBB23_1687:
	s_mov_b32 s0, 0
.LBB23_1688:
	s_delay_alu instid0(SALU_CYCLE_1)
	s_and_not1_b32 vcc_lo, exec_lo, s0
	s_cbranch_vccnz .LBB23_1690
; %bb.1689:
	v_cvt_i16_f16_e32 v9, v5
	global_store_b16 v[0:1], v9, off
.LBB23_1690:
	s_mov_b32 s0, 0
.LBB23_1691:
	s_delay_alu instid0(SALU_CYCLE_1)
	s_and_not1_b32 vcc_lo, exec_lo, s0
	s_cbranch_vccnz .LBB23_1696
; %bb.1692:
	v_cmp_lt_i16_e32 vcc_lo, 0, v4
	s_mov_b32 s0, -1
	s_cbranch_vccz .LBB23_1694
; %bb.1693:
	v_cvt_i16_f16_e32 v9, v5
	s_mov_b32 s0, 0
	global_store_b8 v[0:1], v9, off
.LBB23_1694:
	s_and_not1_b32 vcc_lo, exec_lo, s0
	s_cbranch_vccnz .LBB23_1696
; %bb.1695:
	v_cvt_f32_f16_e32 v5, v5
	s_delay_alu instid0(VALU_DEP_1)
	v_cvt_i32_f32_e32 v5, v5
	global_store_b8 v[0:1], v5, off
.LBB23_1696:
	s_mov_b32 s6, -1
.LBB23_1697:
	s_delay_alu instid0(SALU_CYCLE_1)
	s_and_not1_b32 vcc_lo, exec_lo, s6
	s_cbranch_vccnz .LBB23_2012
; %bb.1698:
	s_lshl_b32 s2, s2, 7
	v_fma_mixlo_f16 v0, v10, v11, 0
	v_add_nc_u32_e32 v2, s2, v2
	v_cmp_eq_f32_e64 s0, 1.0, v10
	v_cmp_gt_i16_e32 vcc_lo, 11, v4
	s_delay_alu instid0(VALU_DEP_3) | instskip(NEXT) | instid1(VALU_DEP_3)
	v_ashrrev_i32_e32 v1, 31, v2
	v_cndmask_b32_e64 v5, v0, v6, s0
	v_add_co_u32 v0, s0, s4, v2
	s_delay_alu instid0(VALU_DEP_1)
	v_add_co_ci_u32_e64 v1, s0, s5, v1, s0
	s_cbranch_vccnz .LBB23_1776
; %bb.1699:
	v_cmp_lt_i16_e32 vcc_lo, 25, v4
	s_mov_b32 s7, -1
	s_mov_b32 s3, 0
	s_mov_b32 s6, 0
	;; [unrolled: 1-line block ×3, first 2 shown]
	s_cbranch_vccz .LBB23_1732
; %bb.1700:
	v_cmp_lt_i16_e32 vcc_lo, 28, v4
	s_cbranch_vccz .LBB23_1715
; %bb.1701:
	v_cmp_lt_i16_e32 vcc_lo, 43, v4
	;; [unrolled: 3-line block ×3, first 2 shown]
	s_cbranch_vccz .LBB23_1705
; %bb.1703:
	v_cmp_eq_u16_e32 vcc_lo, 46, v4
	s_mov_b32 s0, -1
	s_mov_b32 s7, 0
	s_cbranch_vccz .LBB23_1705
; %bb.1704:
	v_cvt_f32_f16_e32 v6, v5
	v_cmp_o_f16_e32 vcc_lo, v5, v5
	s_mov_b32 s0, 0
	s_mov_b32 s6, -1
	s_delay_alu instid0(VALU_DEP_2) | instskip(NEXT) | instid1(VALU_DEP_1)
	v_bfe_u32 v9, v6, 16, 1
	v_add3_u32 v6, v6, v9, 0x7fff
	s_delay_alu instid0(VALU_DEP_1) | instskip(NEXT) | instid1(VALU_DEP_1)
	v_lshrrev_b32_e32 v6, 16, v6
	v_cndmask_b32_e32 v6, 0x7fc0, v6, vcc_lo
	global_store_b32 v[0:1], v6, off
.LBB23_1705:
	s_and_b32 vcc_lo, exec_lo, s7
	s_cbranch_vccz .LBB23_1710
; %bb.1706:
	v_cmp_eq_u16_e32 vcc_lo, 44, v4
	s_mov_b32 s0, -1
	s_cbranch_vccz .LBB23_1710
; %bb.1707:
	v_cvt_f32_f16_e32 v6, v5
	v_mov_b32_e32 v9, 0xff
	s_mov_b32 s6, exec_lo
	s_delay_alu instid0(VALU_DEP_2) | instskip(NEXT) | instid1(VALU_DEP_1)
	v_bfe_u32 v10, v6, 23, 8
	v_cmpx_ne_u32_e32 0xff, v10
; %bb.1708:
	v_and_b32_e32 v9, 0x400000, v6
	v_and_or_b32 v10, 0x3fffff, v6, v10
	v_lshrrev_b32_e32 v6, 23, v6
	s_delay_alu instid0(VALU_DEP_3) | instskip(NEXT) | instid1(VALU_DEP_3)
	v_cmp_ne_u32_e32 vcc_lo, 0, v9
	v_cmp_ne_u32_e64 s0, 0, v10
	s_delay_alu instid0(VALU_DEP_1) | instskip(NEXT) | instid1(SALU_CYCLE_1)
	s_and_b32 s0, vcc_lo, s0
	v_cndmask_b32_e64 v9, 0, 1, s0
	s_delay_alu instid0(VALU_DEP_1)
	v_add_nc_u32_e32 v9, v6, v9
; %bb.1709:
	s_or_b32 exec_lo, exec_lo, s6
	s_mov_b32 s0, 0
	s_mov_b32 s6, -1
	global_store_b8 v[0:1], v9, off
.LBB23_1710:
	s_mov_b32 s7, 0
.LBB23_1711:
	s_delay_alu instid0(SALU_CYCLE_1)
	s_and_b32 vcc_lo, exec_lo, s7
	s_cbranch_vccz .LBB23_1714
; %bb.1712:
	v_cmp_eq_u16_e32 vcc_lo, 29, v4
	s_mov_b32 s0, -1
	s_cbranch_vccz .LBB23_1714
; %bb.1713:
	v_cvt_f32_f16_e32 v6, v5
	v_mov_b32_e32 v10, 0
	s_mov_b32 s0, 0
	s_mov_b32 s6, -1
	s_delay_alu instid0(VALU_DEP_2)
	v_cvt_u32_f32_e32 v9, v6
	global_store_b64 v[0:1], v[9:10], off
.LBB23_1714:
	s_mov_b32 s7, 0
.LBB23_1715:
	s_delay_alu instid0(SALU_CYCLE_1)
	s_and_b32 vcc_lo, exec_lo, s7
	s_cbranch_vccz .LBB23_1731
; %bb.1716:
	v_cmp_gt_i16_e32 vcc_lo, 27, v4
	s_mov_b32 s6, -1
	s_cbranch_vccnz .LBB23_1722
; %bb.1717:
	v_cmp_lt_i16_e32 vcc_lo, 27, v4
	s_cbranch_vccz .LBB23_1719
; %bb.1718:
	v_cvt_f32_f16_e32 v6, v5
	s_mov_b32 s6, 0
	s_delay_alu instid0(VALU_DEP_1)
	v_cvt_u32_f32_e32 v6, v6
	global_store_b32 v[0:1], v6, off
.LBB23_1719:
	s_and_not1_b32 vcc_lo, exec_lo, s6
	s_cbranch_vccnz .LBB23_1721
; %bb.1720:
	v_cvt_u16_f16_e32 v6, v5
	global_store_b16 v[0:1], v6, off
.LBB23_1721:
	s_mov_b32 s6, 0
.LBB23_1722:
	s_delay_alu instid0(SALU_CYCLE_1)
	s_and_not1_b32 vcc_lo, exec_lo, s6
	s_cbranch_vccnz .LBB23_1730
; %bb.1723:
	v_cvt_f32_f16_e32 v6, v5
	v_mov_b32_e32 v10, 0x80
	s_mov_b32 s6, exec_lo
	s_delay_alu instid0(VALU_DEP_2) | instskip(NEXT) | instid1(VALU_DEP_1)
	v_and_b32_e32 v9, 0x7fffffff, v6
	v_cmpx_gt_u32_e32 0x43800000, v9
	s_cbranch_execz .LBB23_1729
; %bb.1724:
	v_cmp_lt_u32_e32 vcc_lo, 0x3bffffff, v9
	s_mov_b32 s7, 0
                                        ; implicit-def: $vgpr9
	s_and_saveexec_b32 s8, vcc_lo
	s_delay_alu instid0(SALU_CYCLE_1)
	s_xor_b32 s8, exec_lo, s8
	s_cbranch_execz .LBB23_2068
; %bb.1725:
	v_bfe_u32 v9, v6, 20, 1
	s_mov_b32 s7, exec_lo
	s_delay_alu instid0(VALU_DEP_1) | instskip(NEXT) | instid1(VALU_DEP_1)
	v_add3_u32 v9, v6, v9, 0x487ffff
	v_lshrrev_b32_e32 v9, 20, v9
	s_or_saveexec_b32 s8, s8
                                        ; implicit-def: $sgpr9
	s_delay_alu instid0(SALU_CYCLE_1)
	s_xor_b32 exec_lo, exec_lo, s8
	s_cbranch_execnz .LBB23_2069
.LBB23_1726:
	s_or_b32 exec_lo, exec_lo, s8
	v_mov_b32_e32 v10, s9
	s_and_saveexec_b32 s8, s7
.LBB23_1727:
	v_lshrrev_b32_e32 v6, 24, v6
	s_delay_alu instid0(VALU_DEP_1)
	v_and_or_b32 v10, 0x80, v6, v9
.LBB23_1728:
	s_or_b32 exec_lo, exec_lo, s8
.LBB23_1729:
	s_delay_alu instid0(SALU_CYCLE_1)
	s_or_b32 exec_lo, exec_lo, s6
	global_store_b8 v[0:1], v10, off
.LBB23_1730:
	s_mov_b32 s6, -1
.LBB23_1731:
	s_mov_b32 s7, 0
.LBB23_1732:
	s_delay_alu instid0(SALU_CYCLE_1)
	s_and_b32 vcc_lo, exec_lo, s7
	s_cbranch_vccz .LBB23_1772
; %bb.1733:
	v_cmp_lt_i16_e32 vcc_lo, 22, v4
	s_mov_b32 s3, -1
	s_cbranch_vccz .LBB23_1765
; %bb.1734:
	v_cmp_gt_i16_e32 vcc_lo, 24, v4
	s_cbranch_vccnz .LBB23_1754
; %bb.1735:
	v_cmp_lt_i16_e32 vcc_lo, 24, v4
	s_cbranch_vccz .LBB23_1743
; %bb.1736:
	v_cvt_f32_f16_e32 v6, v5
	v_mov_b32_e32 v10, 0x80
	s_mov_b32 s3, exec_lo
	s_delay_alu instid0(VALU_DEP_2) | instskip(NEXT) | instid1(VALU_DEP_1)
	v_and_b32_e32 v9, 0x7fffffff, v6
	v_cmpx_gt_u32_e32 0x47800000, v9
	s_cbranch_execz .LBB23_1742
; %bb.1737:
	v_cmp_lt_u32_e32 vcc_lo, 0x37ffffff, v9
	s_mov_b32 s6, 0
                                        ; implicit-def: $vgpr9
	s_and_saveexec_b32 s7, vcc_lo
	s_delay_alu instid0(SALU_CYCLE_1)
	s_xor_b32 s7, exec_lo, s7
	s_cbranch_execz .LBB23_2074
; %bb.1738:
	v_bfe_u32 v9, v6, 21, 1
	s_mov_b32 s6, exec_lo
	s_delay_alu instid0(VALU_DEP_1) | instskip(NEXT) | instid1(VALU_DEP_1)
	v_add3_u32 v9, v6, v9, 0x88fffff
	v_lshrrev_b32_e32 v9, 21, v9
	s_or_saveexec_b32 s7, s7
                                        ; implicit-def: $sgpr8
	s_delay_alu instid0(SALU_CYCLE_1)
	s_xor_b32 exec_lo, exec_lo, s7
	s_cbranch_execnz .LBB23_2075
.LBB23_1739:
	s_or_b32 exec_lo, exec_lo, s7
	v_mov_b32_e32 v10, s8
	s_and_saveexec_b32 s7, s6
.LBB23_1740:
	v_lshrrev_b32_e32 v6, 24, v6
	s_delay_alu instid0(VALU_DEP_1)
	v_and_or_b32 v10, 0x80, v6, v9
.LBB23_1741:
	s_or_b32 exec_lo, exec_lo, s7
.LBB23_1742:
	s_delay_alu instid0(SALU_CYCLE_1)
	s_or_b32 exec_lo, exec_lo, s3
	s_mov_b32 s3, 0
	global_store_b8 v[0:1], v10, off
.LBB23_1743:
	s_and_b32 vcc_lo, exec_lo, s3
	s_cbranch_vccz .LBB23_1753
; %bb.1744:
	v_cvt_f32_f16_e32 v6, v5
	s_mov_b32 s3, exec_lo
                                        ; implicit-def: $vgpr9
	s_delay_alu instid0(VALU_DEP_1) | instskip(NEXT) | instid1(VALU_DEP_1)
	v_and_b32_e32 v10, 0x7fffffff, v6
	v_cmpx_gt_u32_e32 0x43f00000, v10
	s_xor_b32 s3, exec_lo, s3
	s_cbranch_execz .LBB23_1750
; %bb.1745:
	s_mov_b32 s6, exec_lo
                                        ; implicit-def: $vgpr9
	v_cmpx_lt_u32_e32 0x3c7fffff, v10
	s_xor_b32 s6, exec_lo, s6
; %bb.1746:
	v_bfe_u32 v9, v6, 20, 1
	s_delay_alu instid0(VALU_DEP_1) | instskip(NEXT) | instid1(VALU_DEP_1)
	v_add3_u32 v9, v6, v9, 0x407ffff
	v_and_b32_e32 v10, 0xff00000, v9
	v_lshrrev_b32_e32 v9, 20, v9
	s_delay_alu instid0(VALU_DEP_2) | instskip(NEXT) | instid1(VALU_DEP_2)
	v_cmp_ne_u32_e32 vcc_lo, 0x7f00000, v10
	v_cndmask_b32_e32 v9, 0x7e, v9, vcc_lo
; %bb.1747:
	s_and_not1_saveexec_b32 s6, s6
; %bb.1748:
	v_add_f32_e64 v9, 0x46800000, |v6|
; %bb.1749:
	s_or_b32 exec_lo, exec_lo, s6
                                        ; implicit-def: $vgpr10
.LBB23_1750:
	s_and_not1_saveexec_b32 s3, s3
; %bb.1751:
	v_mov_b32_e32 v9, 0x7f
	v_cmp_lt_u32_e32 vcc_lo, 0x7f800000, v10
	s_delay_alu instid0(VALU_DEP_2)
	v_cndmask_b32_e32 v9, 0x7e, v9, vcc_lo
; %bb.1752:
	s_or_b32 exec_lo, exec_lo, s3
	v_lshrrev_b32_e32 v6, 24, v6
	s_delay_alu instid0(VALU_DEP_1)
	v_and_or_b32 v6, 0x80, v6, v9
	global_store_b8 v[0:1], v6, off
.LBB23_1753:
	s_mov_b32 s3, 0
.LBB23_1754:
	s_delay_alu instid0(SALU_CYCLE_1)
	s_and_not1_b32 vcc_lo, exec_lo, s3
	s_cbranch_vccnz .LBB23_1764
; %bb.1755:
	v_cvt_f32_f16_e32 v6, v5
	s_mov_b32 s3, exec_lo
                                        ; implicit-def: $vgpr9
	s_delay_alu instid0(VALU_DEP_1) | instskip(NEXT) | instid1(VALU_DEP_1)
	v_and_b32_e32 v10, 0x7fffffff, v6
	v_cmpx_gt_u32_e32 0x47800000, v10
	s_xor_b32 s3, exec_lo, s3
	s_cbranch_execz .LBB23_1761
; %bb.1756:
	s_mov_b32 s6, exec_lo
                                        ; implicit-def: $vgpr9
	v_cmpx_lt_u32_e32 0x387fffff, v10
	s_xor_b32 s6, exec_lo, s6
; %bb.1757:
	v_bfe_u32 v9, v6, 21, 1
	s_delay_alu instid0(VALU_DEP_1) | instskip(NEXT) | instid1(VALU_DEP_1)
	v_add3_u32 v9, v6, v9, 0x80fffff
	v_lshrrev_b32_e32 v9, 21, v9
; %bb.1758:
	s_and_not1_saveexec_b32 s6, s6
; %bb.1759:
	v_add_f32_e64 v9, 0x43000000, |v6|
; %bb.1760:
	s_or_b32 exec_lo, exec_lo, s6
                                        ; implicit-def: $vgpr10
.LBB23_1761:
	s_and_not1_saveexec_b32 s3, s3
; %bb.1762:
	v_mov_b32_e32 v9, 0x7f
	v_cmp_lt_u32_e32 vcc_lo, 0x7f800000, v10
	s_delay_alu instid0(VALU_DEP_2)
	v_cndmask_b32_e32 v9, 0x7c, v9, vcc_lo
; %bb.1763:
	s_or_b32 exec_lo, exec_lo, s3
	v_lshrrev_b32_e32 v6, 24, v6
	s_delay_alu instid0(VALU_DEP_1)
	v_and_or_b32 v6, 0x80, v6, v9
	global_store_b8 v[0:1], v6, off
.LBB23_1764:
	s_mov_b32 s3, 0
	s_mov_b32 s6, -1
.LBB23_1765:
	s_and_not1_b32 vcc_lo, exec_lo, s3
	s_mov_b32 s3, 0
	s_cbranch_vccnz .LBB23_1772
; %bb.1766:
	v_cmp_lt_i16_e32 vcc_lo, 14, v4
	s_mov_b32 s3, -1
	s_cbranch_vccz .LBB23_1770
; %bb.1767:
	v_cmp_eq_u16_e32 vcc_lo, 15, v4
	s_mov_b32 s0, -1
	s_cbranch_vccz .LBB23_1769
; %bb.1768:
	v_cvt_f32_f16_e32 v6, v5
	v_cmp_o_f16_e32 vcc_lo, v5, v5
	s_mov_b32 s0, 0
	s_mov_b32 s6, -1
	s_delay_alu instid0(VALU_DEP_2) | instskip(NEXT) | instid1(VALU_DEP_1)
	v_bfe_u32 v9, v6, 16, 1
	v_add3_u32 v6, v6, v9, 0x7fff
	s_delay_alu instid0(VALU_DEP_1) | instskip(NEXT) | instid1(VALU_DEP_1)
	v_lshrrev_b32_e32 v6, 16, v6
	v_cndmask_b32_e32 v6, 0x7fc0, v6, vcc_lo
	global_store_b16 v[0:1], v6, off
.LBB23_1769:
	s_mov_b32 s3, 0
.LBB23_1770:
	s_delay_alu instid0(SALU_CYCLE_1)
	s_and_b32 vcc_lo, exec_lo, s3
	s_mov_b32 s3, 0
	s_cbranch_vccz .LBB23_1772
; %bb.1771:
	v_cmp_ne_u16_e64 s0, 11, v4
	s_mov_b32 s3, -1
.LBB23_1772:
	s_delay_alu instid0(VALU_DEP_1)
	s_and_b32 vcc_lo, exec_lo, s0
	s_cbranch_vccnz .LBB23_2072
; %bb.1773:
	s_and_not1_b32 vcc_lo, exec_lo, s3
	s_cbranch_vccnz .LBB23_1775
.LBB23_1774:
	v_cmp_neq_f16_e32 vcc_lo, 0, v5
	s_mov_b32 s6, -1
	v_cndmask_b32_e64 v6, 0, 1, vcc_lo
	global_store_b8 v[0:1], v6, off
.LBB23_1775:
	s_mov_b32 s0, 0
	s_branch .LBB23_1777
.LBB23_1776:
	s_mov_b32 s0, -1
	s_mov_b32 s6, 0
.LBB23_1777:
	s_and_b32 vcc_lo, exec_lo, s0
	s_cbranch_vccz .LBB23_1816
; %bb.1778:
	v_cmp_gt_i16_e32 vcc_lo, 5, v4
	s_mov_b32 s0, -1
	s_cbranch_vccnz .LBB23_1799
; %bb.1779:
	v_cmp_gt_i16_e32 vcc_lo, 8, v4
	s_cbranch_vccnz .LBB23_1789
; %bb.1780:
	v_cmp_gt_i16_e32 vcc_lo, 9, v4
	s_cbranch_vccnz .LBB23_1786
; %bb.1781:
	v_cmp_lt_i16_e32 vcc_lo, 9, v4
	s_cbranch_vccz .LBB23_1783
; %bb.1782:
	v_cvt_f32_f16_e32 v6, v5
	v_mov_b32_e32 v17, 0
	s_mov_b32 s0, 0
	s_delay_alu instid0(VALU_DEP_2) | instskip(NEXT) | instid1(VALU_DEP_2)
	v_cvt_f64_f32_e32 v[15:16], v6
	v_mov_b32_e32 v18, v17
	global_store_b128 v[0:1], v[15:18], off
.LBB23_1783:
	s_and_not1_b32 vcc_lo, exec_lo, s0
	s_cbranch_vccnz .LBB23_1785
; %bb.1784:
	v_cvt_f32_f16_e32 v9, v5
	v_mov_b32_e32 v10, 0
	global_store_b64 v[0:1], v[9:10], off
.LBB23_1785:
	s_mov_b32 s0, 0
.LBB23_1786:
	s_delay_alu instid0(SALU_CYCLE_1)
	s_and_not1_b32 vcc_lo, exec_lo, s0
	s_cbranch_vccnz .LBB23_1788
; %bb.1787:
	v_and_b32_e32 v6, 0xffff, v5
	global_store_b32 v[0:1], v6, off
.LBB23_1788:
	s_mov_b32 s0, 0
.LBB23_1789:
	s_delay_alu instid0(SALU_CYCLE_1)
	s_and_not1_b32 vcc_lo, exec_lo, s0
	s_cbranch_vccnz .LBB23_1798
; %bb.1790:
	v_cmp_gt_i16_e32 vcc_lo, 6, v4
	s_mov_b32 s0, -1
	s_cbranch_vccnz .LBB23_1796
; %bb.1791:
	v_cmp_lt_i16_e32 vcc_lo, 6, v4
	s_cbranch_vccz .LBB23_1793
; %bb.1792:
	v_cvt_f32_f16_e32 v6, v5
	s_mov_b32 s0, 0
	s_delay_alu instid0(VALU_DEP_1)
	v_cvt_f64_f32_e32 v[9:10], v6
	global_store_b64 v[0:1], v[9:10], off
.LBB23_1793:
	s_and_not1_b32 vcc_lo, exec_lo, s0
	s_cbranch_vccnz .LBB23_1795
; %bb.1794:
	v_cvt_f32_f16_e32 v6, v5
	global_store_b32 v[0:1], v6, off
.LBB23_1795:
	s_mov_b32 s0, 0
.LBB23_1796:
	s_delay_alu instid0(SALU_CYCLE_1)
	s_and_not1_b32 vcc_lo, exec_lo, s0
	s_cbranch_vccnz .LBB23_1798
; %bb.1797:
	global_store_b16 v[0:1], v5, off
.LBB23_1798:
	s_mov_b32 s0, 0
.LBB23_1799:
	s_delay_alu instid0(SALU_CYCLE_1)
	s_and_not1_b32 vcc_lo, exec_lo, s0
	s_cbranch_vccnz .LBB23_1815
; %bb.1800:
	v_cmp_gt_i16_e32 vcc_lo, 2, v4
	s_mov_b32 s0, -1
	s_cbranch_vccnz .LBB23_1810
; %bb.1801:
	v_cmp_gt_i16_e32 vcc_lo, 3, v4
	s_cbranch_vccnz .LBB23_1807
; %bb.1802:
	v_cmp_lt_i16_e32 vcc_lo, 3, v4
	s_cbranch_vccz .LBB23_1804
; %bb.1803:
	v_cvt_f32_f16_e32 v6, v5
	s_mov_b32 s0, 0
	s_delay_alu instid0(VALU_DEP_1) | instskip(NEXT) | instid1(VALU_DEP_1)
	v_cvt_i32_f32_e32 v9, v6
	v_ashrrev_i32_e32 v10, 31, v9
	global_store_b64 v[0:1], v[9:10], off
.LBB23_1804:
	s_and_not1_b32 vcc_lo, exec_lo, s0
	s_cbranch_vccnz .LBB23_1806
; %bb.1805:
	v_cvt_f32_f16_e32 v6, v5
	s_delay_alu instid0(VALU_DEP_1)
	v_cvt_i32_f32_e32 v6, v6
	global_store_b32 v[0:1], v6, off
.LBB23_1806:
	s_mov_b32 s0, 0
.LBB23_1807:
	s_delay_alu instid0(SALU_CYCLE_1)
	s_and_not1_b32 vcc_lo, exec_lo, s0
	s_cbranch_vccnz .LBB23_1809
; %bb.1808:
	v_cvt_i16_f16_e32 v6, v5
	global_store_b16 v[0:1], v6, off
.LBB23_1809:
	s_mov_b32 s0, 0
.LBB23_1810:
	s_delay_alu instid0(SALU_CYCLE_1)
	s_and_not1_b32 vcc_lo, exec_lo, s0
	s_cbranch_vccnz .LBB23_1815
; %bb.1811:
	v_cmp_lt_i16_e32 vcc_lo, 0, v4
	s_mov_b32 s0, -1
	s_cbranch_vccz .LBB23_1813
; %bb.1812:
	v_cvt_i16_f16_e32 v6, v5
	s_mov_b32 s0, 0
	global_store_b8 v[0:1], v6, off
.LBB23_1813:
	s_and_not1_b32 vcc_lo, exec_lo, s0
	s_cbranch_vccnz .LBB23_1815
; %bb.1814:
	v_cvt_f32_f16_e32 v5, v5
	s_delay_alu instid0(VALU_DEP_1)
	v_cvt_i32_f32_e32 v5, v5
	global_store_b8 v[0:1], v5, off
.LBB23_1815:
	s_mov_b32 s6, -1
.LBB23_1816:
	s_delay_alu instid0(SALU_CYCLE_1)
	s_and_not1_b32 vcc_lo, exec_lo, s6
	s_cbranch_vccnz .LBB23_2012
; %bb.1817:
	v_add_nc_u32_e32 v2, s2, v2
	v_fma_mixlo_f16 v0, v12, v13, 0
	v_cmp_eq_f32_e64 s0, 1.0, v12
	v_cmp_gt_i16_e32 vcc_lo, 11, v4
	s_delay_alu instid0(VALU_DEP_4) | instskip(NEXT) | instid1(VALU_DEP_3)
	v_ashrrev_i32_e32 v1, 31, v2
	v_cndmask_b32_e64 v5, v0, v7, s0
	v_add_co_u32 v0, s0, s4, v2
	s_delay_alu instid0(VALU_DEP_1)
	v_add_co_ci_u32_e64 v1, s0, s5, v1, s0
	s_cbranch_vccnz .LBB23_1895
; %bb.1818:
	v_cmp_lt_i16_e32 vcc_lo, 25, v4
	s_mov_b32 s7, -1
	s_mov_b32 s3, 0
	s_mov_b32 s6, 0
	;; [unrolled: 1-line block ×3, first 2 shown]
	s_cbranch_vccz .LBB23_1851
; %bb.1819:
	v_cmp_lt_i16_e32 vcc_lo, 28, v4
	s_cbranch_vccz .LBB23_1834
; %bb.1820:
	v_cmp_lt_i16_e32 vcc_lo, 43, v4
	;; [unrolled: 3-line block ×3, first 2 shown]
	s_cbranch_vccz .LBB23_1824
; %bb.1822:
	v_cmp_eq_u16_e32 vcc_lo, 46, v4
	s_mov_b32 s0, -1
	s_mov_b32 s7, 0
	s_cbranch_vccz .LBB23_1824
; %bb.1823:
	v_cvt_f32_f16_e32 v6, v5
	v_cmp_o_f16_e32 vcc_lo, v5, v5
	s_mov_b32 s0, 0
	s_mov_b32 s6, -1
	s_delay_alu instid0(VALU_DEP_2) | instskip(NEXT) | instid1(VALU_DEP_1)
	v_bfe_u32 v7, v6, 16, 1
	v_add3_u32 v6, v6, v7, 0x7fff
	s_delay_alu instid0(VALU_DEP_1) | instskip(NEXT) | instid1(VALU_DEP_1)
	v_lshrrev_b32_e32 v6, 16, v6
	v_cndmask_b32_e32 v6, 0x7fc0, v6, vcc_lo
	global_store_b32 v[0:1], v6, off
.LBB23_1824:
	s_and_b32 vcc_lo, exec_lo, s7
	s_cbranch_vccz .LBB23_1829
; %bb.1825:
	v_cmp_eq_u16_e32 vcc_lo, 44, v4
	s_mov_b32 s0, -1
	s_cbranch_vccz .LBB23_1829
; %bb.1826:
	v_cvt_f32_f16_e32 v6, v5
	v_mov_b32_e32 v7, 0xff
	s_mov_b32 s6, exec_lo
	s_delay_alu instid0(VALU_DEP_2) | instskip(NEXT) | instid1(VALU_DEP_1)
	v_bfe_u32 v9, v6, 23, 8
	v_cmpx_ne_u32_e32 0xff, v9
; %bb.1827:
	v_and_b32_e32 v7, 0x400000, v6
	v_and_or_b32 v9, 0x3fffff, v6, v9
	v_lshrrev_b32_e32 v6, 23, v6
	s_delay_alu instid0(VALU_DEP_3) | instskip(NEXT) | instid1(VALU_DEP_3)
	v_cmp_ne_u32_e32 vcc_lo, 0, v7
	v_cmp_ne_u32_e64 s0, 0, v9
	s_delay_alu instid0(VALU_DEP_1) | instskip(NEXT) | instid1(SALU_CYCLE_1)
	s_and_b32 s0, vcc_lo, s0
	v_cndmask_b32_e64 v7, 0, 1, s0
	s_delay_alu instid0(VALU_DEP_1)
	v_add_nc_u32_e32 v7, v6, v7
; %bb.1828:
	s_or_b32 exec_lo, exec_lo, s6
	s_mov_b32 s0, 0
	s_mov_b32 s6, -1
	global_store_b8 v[0:1], v7, off
.LBB23_1829:
	s_mov_b32 s7, 0
.LBB23_1830:
	s_delay_alu instid0(SALU_CYCLE_1)
	s_and_b32 vcc_lo, exec_lo, s7
	s_cbranch_vccz .LBB23_1833
; %bb.1831:
	v_cmp_eq_u16_e32 vcc_lo, 29, v4
	s_mov_b32 s0, -1
	s_cbranch_vccz .LBB23_1833
; %bb.1832:
	v_cvt_f32_f16_e32 v6, v5
	v_mov_b32_e32 v7, 0
	s_mov_b32 s0, 0
	s_mov_b32 s6, -1
	s_delay_alu instid0(VALU_DEP_2)
	v_cvt_u32_f32_e32 v6, v6
	global_store_b64 v[0:1], v[6:7], off
.LBB23_1833:
	s_mov_b32 s7, 0
.LBB23_1834:
	s_delay_alu instid0(SALU_CYCLE_1)
	s_and_b32 vcc_lo, exec_lo, s7
	s_cbranch_vccz .LBB23_1850
; %bb.1835:
	v_cmp_gt_i16_e32 vcc_lo, 27, v4
	s_mov_b32 s6, -1
	s_cbranch_vccnz .LBB23_1841
; %bb.1836:
	v_cmp_lt_i16_e32 vcc_lo, 27, v4
	s_cbranch_vccz .LBB23_1838
; %bb.1837:
	v_cvt_f32_f16_e32 v6, v5
	s_mov_b32 s6, 0
	s_delay_alu instid0(VALU_DEP_1)
	v_cvt_u32_f32_e32 v6, v6
	global_store_b32 v[0:1], v6, off
.LBB23_1838:
	s_and_not1_b32 vcc_lo, exec_lo, s6
	s_cbranch_vccnz .LBB23_1840
; %bb.1839:
	v_cvt_u16_f16_e32 v6, v5
	global_store_b16 v[0:1], v6, off
.LBB23_1840:
	s_mov_b32 s6, 0
.LBB23_1841:
	s_delay_alu instid0(SALU_CYCLE_1)
	s_and_not1_b32 vcc_lo, exec_lo, s6
	s_cbranch_vccnz .LBB23_1849
; %bb.1842:
	v_cvt_f32_f16_e32 v6, v5
	v_mov_b32_e32 v9, 0x80
	s_mov_b32 s6, exec_lo
	s_delay_alu instid0(VALU_DEP_2) | instskip(NEXT) | instid1(VALU_DEP_1)
	v_and_b32_e32 v7, 0x7fffffff, v6
	v_cmpx_gt_u32_e32 0x43800000, v7
	s_cbranch_execz .LBB23_1848
; %bb.1843:
	v_cmp_lt_u32_e32 vcc_lo, 0x3bffffff, v7
	s_mov_b32 s7, 0
                                        ; implicit-def: $vgpr7
	s_and_saveexec_b32 s8, vcc_lo
	s_delay_alu instid0(SALU_CYCLE_1)
	s_xor_b32 s8, exec_lo, s8
	s_cbranch_execz .LBB23_2076
; %bb.1844:
	v_bfe_u32 v7, v6, 20, 1
	s_mov_b32 s7, exec_lo
	s_delay_alu instid0(VALU_DEP_1) | instskip(NEXT) | instid1(VALU_DEP_1)
	v_add3_u32 v7, v6, v7, 0x487ffff
	v_lshrrev_b32_e32 v7, 20, v7
	s_or_saveexec_b32 s8, s8
                                        ; implicit-def: $sgpr9
	s_delay_alu instid0(SALU_CYCLE_1)
	s_xor_b32 exec_lo, exec_lo, s8
	s_cbranch_execnz .LBB23_2077
.LBB23_1845:
	s_or_b32 exec_lo, exec_lo, s8
	v_mov_b32_e32 v9, s9
	s_and_saveexec_b32 s8, s7
.LBB23_1846:
	v_lshrrev_b32_e32 v6, 24, v6
	s_delay_alu instid0(VALU_DEP_1)
	v_and_or_b32 v9, 0x80, v6, v7
.LBB23_1847:
	s_or_b32 exec_lo, exec_lo, s8
.LBB23_1848:
	s_delay_alu instid0(SALU_CYCLE_1)
	s_or_b32 exec_lo, exec_lo, s6
	global_store_b8 v[0:1], v9, off
.LBB23_1849:
	s_mov_b32 s6, -1
.LBB23_1850:
	s_mov_b32 s7, 0
.LBB23_1851:
	s_delay_alu instid0(SALU_CYCLE_1)
	s_and_b32 vcc_lo, exec_lo, s7
	s_cbranch_vccz .LBB23_1891
; %bb.1852:
	v_cmp_lt_i16_e32 vcc_lo, 22, v4
	s_mov_b32 s3, -1
	s_cbranch_vccz .LBB23_1884
; %bb.1853:
	v_cmp_gt_i16_e32 vcc_lo, 24, v4
	s_cbranch_vccnz .LBB23_1873
; %bb.1854:
	v_cmp_lt_i16_e32 vcc_lo, 24, v4
	s_cbranch_vccz .LBB23_1862
; %bb.1855:
	v_cvt_f32_f16_e32 v6, v5
	v_mov_b32_e32 v9, 0x80
	s_mov_b32 s3, exec_lo
	s_delay_alu instid0(VALU_DEP_2) | instskip(NEXT) | instid1(VALU_DEP_1)
	v_and_b32_e32 v7, 0x7fffffff, v6
	v_cmpx_gt_u32_e32 0x47800000, v7
	s_cbranch_execz .LBB23_1861
; %bb.1856:
	v_cmp_lt_u32_e32 vcc_lo, 0x37ffffff, v7
	s_mov_b32 s6, 0
                                        ; implicit-def: $vgpr7
	s_and_saveexec_b32 s7, vcc_lo
	s_delay_alu instid0(SALU_CYCLE_1)
	s_xor_b32 s7, exec_lo, s7
	s_cbranch_execz .LBB23_2082
; %bb.1857:
	v_bfe_u32 v7, v6, 21, 1
	s_mov_b32 s6, exec_lo
	s_delay_alu instid0(VALU_DEP_1) | instskip(NEXT) | instid1(VALU_DEP_1)
	v_add3_u32 v7, v6, v7, 0x88fffff
	v_lshrrev_b32_e32 v7, 21, v7
	s_or_saveexec_b32 s7, s7
                                        ; implicit-def: $sgpr8
	s_delay_alu instid0(SALU_CYCLE_1)
	s_xor_b32 exec_lo, exec_lo, s7
	s_cbranch_execnz .LBB23_2083
.LBB23_1858:
	s_or_b32 exec_lo, exec_lo, s7
	v_mov_b32_e32 v9, s8
	s_and_saveexec_b32 s7, s6
.LBB23_1859:
	v_lshrrev_b32_e32 v6, 24, v6
	s_delay_alu instid0(VALU_DEP_1)
	v_and_or_b32 v9, 0x80, v6, v7
.LBB23_1860:
	s_or_b32 exec_lo, exec_lo, s7
.LBB23_1861:
	s_delay_alu instid0(SALU_CYCLE_1)
	s_or_b32 exec_lo, exec_lo, s3
	s_mov_b32 s3, 0
	global_store_b8 v[0:1], v9, off
.LBB23_1862:
	s_and_b32 vcc_lo, exec_lo, s3
	s_cbranch_vccz .LBB23_1872
; %bb.1863:
	v_cvt_f32_f16_e32 v6, v5
	s_mov_b32 s3, exec_lo
                                        ; implicit-def: $vgpr7
	s_delay_alu instid0(VALU_DEP_1) | instskip(NEXT) | instid1(VALU_DEP_1)
	v_and_b32_e32 v9, 0x7fffffff, v6
	v_cmpx_gt_u32_e32 0x43f00000, v9
	s_xor_b32 s3, exec_lo, s3
	s_cbranch_execz .LBB23_1869
; %bb.1864:
	s_mov_b32 s6, exec_lo
                                        ; implicit-def: $vgpr7
	v_cmpx_lt_u32_e32 0x3c7fffff, v9
	s_xor_b32 s6, exec_lo, s6
; %bb.1865:
	v_bfe_u32 v7, v6, 20, 1
	s_delay_alu instid0(VALU_DEP_1) | instskip(NEXT) | instid1(VALU_DEP_1)
	v_add3_u32 v7, v6, v7, 0x407ffff
	v_and_b32_e32 v9, 0xff00000, v7
	v_lshrrev_b32_e32 v7, 20, v7
	s_delay_alu instid0(VALU_DEP_2) | instskip(NEXT) | instid1(VALU_DEP_2)
	v_cmp_ne_u32_e32 vcc_lo, 0x7f00000, v9
	v_cndmask_b32_e32 v7, 0x7e, v7, vcc_lo
; %bb.1866:
	s_and_not1_saveexec_b32 s6, s6
; %bb.1867:
	v_add_f32_e64 v7, 0x46800000, |v6|
; %bb.1868:
	s_or_b32 exec_lo, exec_lo, s6
                                        ; implicit-def: $vgpr9
.LBB23_1869:
	s_and_not1_saveexec_b32 s3, s3
; %bb.1870:
	v_mov_b32_e32 v7, 0x7f
	v_cmp_lt_u32_e32 vcc_lo, 0x7f800000, v9
	s_delay_alu instid0(VALU_DEP_2)
	v_cndmask_b32_e32 v7, 0x7e, v7, vcc_lo
; %bb.1871:
	s_or_b32 exec_lo, exec_lo, s3
	v_lshrrev_b32_e32 v6, 24, v6
	s_delay_alu instid0(VALU_DEP_1)
	v_and_or_b32 v6, 0x80, v6, v7
	global_store_b8 v[0:1], v6, off
.LBB23_1872:
	s_mov_b32 s3, 0
.LBB23_1873:
	s_delay_alu instid0(SALU_CYCLE_1)
	s_and_not1_b32 vcc_lo, exec_lo, s3
	s_cbranch_vccnz .LBB23_1883
; %bb.1874:
	v_cvt_f32_f16_e32 v6, v5
	s_mov_b32 s3, exec_lo
                                        ; implicit-def: $vgpr7
	s_delay_alu instid0(VALU_DEP_1) | instskip(NEXT) | instid1(VALU_DEP_1)
	v_and_b32_e32 v9, 0x7fffffff, v6
	v_cmpx_gt_u32_e32 0x47800000, v9
	s_xor_b32 s3, exec_lo, s3
	s_cbranch_execz .LBB23_1880
; %bb.1875:
	s_mov_b32 s6, exec_lo
                                        ; implicit-def: $vgpr7
	v_cmpx_lt_u32_e32 0x387fffff, v9
	s_xor_b32 s6, exec_lo, s6
; %bb.1876:
	v_bfe_u32 v7, v6, 21, 1
	s_delay_alu instid0(VALU_DEP_1) | instskip(NEXT) | instid1(VALU_DEP_1)
	v_add3_u32 v7, v6, v7, 0x80fffff
	v_lshrrev_b32_e32 v7, 21, v7
; %bb.1877:
	s_and_not1_saveexec_b32 s6, s6
; %bb.1878:
	v_add_f32_e64 v7, 0x43000000, |v6|
; %bb.1879:
	s_or_b32 exec_lo, exec_lo, s6
                                        ; implicit-def: $vgpr9
.LBB23_1880:
	s_and_not1_saveexec_b32 s3, s3
; %bb.1881:
	v_mov_b32_e32 v7, 0x7f
	v_cmp_lt_u32_e32 vcc_lo, 0x7f800000, v9
	s_delay_alu instid0(VALU_DEP_2)
	v_cndmask_b32_e32 v7, 0x7c, v7, vcc_lo
; %bb.1882:
	s_or_b32 exec_lo, exec_lo, s3
	v_lshrrev_b32_e32 v6, 24, v6
	s_delay_alu instid0(VALU_DEP_1)
	v_and_or_b32 v6, 0x80, v6, v7
	global_store_b8 v[0:1], v6, off
.LBB23_1883:
	s_mov_b32 s3, 0
	s_mov_b32 s6, -1
.LBB23_1884:
	s_and_not1_b32 vcc_lo, exec_lo, s3
	s_mov_b32 s3, 0
	s_cbranch_vccnz .LBB23_1891
; %bb.1885:
	v_cmp_lt_i16_e32 vcc_lo, 14, v4
	s_mov_b32 s3, -1
	s_cbranch_vccz .LBB23_1889
; %bb.1886:
	v_cmp_eq_u16_e32 vcc_lo, 15, v4
	s_mov_b32 s0, -1
	s_cbranch_vccz .LBB23_1888
; %bb.1887:
	v_cvt_f32_f16_e32 v6, v5
	v_cmp_o_f16_e32 vcc_lo, v5, v5
	s_mov_b32 s0, 0
	s_mov_b32 s6, -1
	s_delay_alu instid0(VALU_DEP_2) | instskip(NEXT) | instid1(VALU_DEP_1)
	v_bfe_u32 v7, v6, 16, 1
	v_add3_u32 v6, v6, v7, 0x7fff
	s_delay_alu instid0(VALU_DEP_1) | instskip(NEXT) | instid1(VALU_DEP_1)
	v_lshrrev_b32_e32 v6, 16, v6
	v_cndmask_b32_e32 v6, 0x7fc0, v6, vcc_lo
	global_store_b16 v[0:1], v6, off
.LBB23_1888:
	s_mov_b32 s3, 0
.LBB23_1889:
	s_delay_alu instid0(SALU_CYCLE_1)
	s_and_b32 vcc_lo, exec_lo, s3
	s_mov_b32 s3, 0
	s_cbranch_vccz .LBB23_1891
; %bb.1890:
	v_cmp_ne_u16_e64 s0, 11, v4
	s_mov_b32 s3, -1
.LBB23_1891:
	s_delay_alu instid0(VALU_DEP_1)
	s_and_b32 vcc_lo, exec_lo, s0
	s_cbranch_vccnz .LBB23_2080
; %bb.1892:
	s_and_not1_b32 vcc_lo, exec_lo, s3
	s_cbranch_vccnz .LBB23_1894
.LBB23_1893:
	v_cmp_neq_f16_e32 vcc_lo, 0, v5
	s_mov_b32 s6, -1
	v_cndmask_b32_e64 v6, 0, 1, vcc_lo
	global_store_b8 v[0:1], v6, off
.LBB23_1894:
	s_mov_b32 s0, 0
	s_branch .LBB23_1896
.LBB23_1895:
	s_mov_b32 s0, -1
	s_mov_b32 s6, 0
.LBB23_1896:
	s_and_b32 vcc_lo, exec_lo, s0
	s_cbranch_vccz .LBB23_1935
; %bb.1897:
	v_cmp_gt_i16_e32 vcc_lo, 5, v4
	s_mov_b32 s0, -1
	s_cbranch_vccnz .LBB23_1918
; %bb.1898:
	v_cmp_gt_i16_e32 vcc_lo, 8, v4
	s_cbranch_vccnz .LBB23_1908
; %bb.1899:
	v_cmp_gt_i16_e32 vcc_lo, 9, v4
	s_cbranch_vccnz .LBB23_1905
; %bb.1900:
	v_cmp_lt_i16_e32 vcc_lo, 9, v4
	s_cbranch_vccz .LBB23_1902
; %bb.1901:
	v_cvt_f32_f16_e32 v6, v5
	v_mov_b32_e32 v11, 0
	s_mov_b32 s0, 0
	s_delay_alu instid0(VALU_DEP_2) | instskip(NEXT) | instid1(VALU_DEP_2)
	v_cvt_f64_f32_e32 v[9:10], v6
	v_mov_b32_e32 v12, v11
	global_store_b128 v[0:1], v[9:12], off
.LBB23_1902:
	s_and_not1_b32 vcc_lo, exec_lo, s0
	s_cbranch_vccnz .LBB23_1904
; %bb.1903:
	v_cvt_f32_f16_e32 v6, v5
	v_mov_b32_e32 v7, 0
	global_store_b64 v[0:1], v[6:7], off
.LBB23_1904:
	s_mov_b32 s0, 0
.LBB23_1905:
	s_delay_alu instid0(SALU_CYCLE_1)
	s_and_not1_b32 vcc_lo, exec_lo, s0
	s_cbranch_vccnz .LBB23_1907
; %bb.1906:
	v_and_b32_e32 v6, 0xffff, v5
	global_store_b32 v[0:1], v6, off
.LBB23_1907:
	s_mov_b32 s0, 0
.LBB23_1908:
	s_delay_alu instid0(SALU_CYCLE_1)
	s_and_not1_b32 vcc_lo, exec_lo, s0
	s_cbranch_vccnz .LBB23_1917
; %bb.1909:
	v_cmp_gt_i16_e32 vcc_lo, 6, v4
	s_mov_b32 s0, -1
	s_cbranch_vccnz .LBB23_1915
; %bb.1910:
	v_cmp_lt_i16_e32 vcc_lo, 6, v4
	s_cbranch_vccz .LBB23_1912
; %bb.1911:
	v_cvt_f32_f16_e32 v6, v5
	s_mov_b32 s0, 0
	s_delay_alu instid0(VALU_DEP_1)
	v_cvt_f64_f32_e32 v[6:7], v6
	global_store_b64 v[0:1], v[6:7], off
.LBB23_1912:
	s_and_not1_b32 vcc_lo, exec_lo, s0
	s_cbranch_vccnz .LBB23_1914
; %bb.1913:
	v_cvt_f32_f16_e32 v6, v5
	global_store_b32 v[0:1], v6, off
.LBB23_1914:
	s_mov_b32 s0, 0
.LBB23_1915:
	s_delay_alu instid0(SALU_CYCLE_1)
	s_and_not1_b32 vcc_lo, exec_lo, s0
	s_cbranch_vccnz .LBB23_1917
; %bb.1916:
	global_store_b16 v[0:1], v5, off
.LBB23_1917:
	s_mov_b32 s0, 0
.LBB23_1918:
	s_delay_alu instid0(SALU_CYCLE_1)
	s_and_not1_b32 vcc_lo, exec_lo, s0
	s_cbranch_vccnz .LBB23_1934
; %bb.1919:
	v_cmp_gt_i16_e32 vcc_lo, 2, v4
	s_mov_b32 s0, -1
	s_cbranch_vccnz .LBB23_1929
; %bb.1920:
	v_cmp_gt_i16_e32 vcc_lo, 3, v4
	s_cbranch_vccnz .LBB23_1926
; %bb.1921:
	v_cmp_lt_i16_e32 vcc_lo, 3, v4
	s_cbranch_vccz .LBB23_1923
; %bb.1922:
	v_cvt_f32_f16_e32 v6, v5
	s_mov_b32 s0, 0
	s_delay_alu instid0(VALU_DEP_1) | instskip(NEXT) | instid1(VALU_DEP_1)
	v_cvt_i32_f32_e32 v6, v6
	v_ashrrev_i32_e32 v7, 31, v6
	global_store_b64 v[0:1], v[6:7], off
.LBB23_1923:
	s_and_not1_b32 vcc_lo, exec_lo, s0
	s_cbranch_vccnz .LBB23_1925
; %bb.1924:
	v_cvt_f32_f16_e32 v6, v5
	s_delay_alu instid0(VALU_DEP_1)
	v_cvt_i32_f32_e32 v6, v6
	global_store_b32 v[0:1], v6, off
.LBB23_1925:
	s_mov_b32 s0, 0
.LBB23_1926:
	s_delay_alu instid0(SALU_CYCLE_1)
	s_and_not1_b32 vcc_lo, exec_lo, s0
	s_cbranch_vccnz .LBB23_1928
; %bb.1927:
	v_cvt_i16_f16_e32 v6, v5
	global_store_b16 v[0:1], v6, off
.LBB23_1928:
	s_mov_b32 s0, 0
.LBB23_1929:
	s_delay_alu instid0(SALU_CYCLE_1)
	s_and_not1_b32 vcc_lo, exec_lo, s0
	s_cbranch_vccnz .LBB23_1934
; %bb.1930:
	v_cmp_lt_i16_e32 vcc_lo, 0, v4
	s_mov_b32 s0, -1
	s_cbranch_vccz .LBB23_1932
; %bb.1931:
	v_cvt_i16_f16_e32 v6, v5
	s_mov_b32 s0, 0
	global_store_b8 v[0:1], v6, off
.LBB23_1932:
	s_and_not1_b32 vcc_lo, exec_lo, s0
	s_cbranch_vccnz .LBB23_1934
; %bb.1933:
	v_cvt_f32_f16_e32 v5, v5
	s_delay_alu instid0(VALU_DEP_1)
	v_cvt_i32_f32_e32 v5, v5
	global_store_b8 v[0:1], v5, off
.LBB23_1934:
	s_mov_b32 s6, -1
.LBB23_1935:
	s_delay_alu instid0(SALU_CYCLE_1)
	s_and_not1_b32 vcc_lo, exec_lo, s6
	s_cbranch_vccnz .LBB23_2012
; %bb.1936:
	v_add_nc_u32_e32 v0, s2, v2
	s_waitcnt vmcnt(0)
	v_fma_mixlo_f16 v1, v3, v14, 0
	v_cmp_eq_f32_e64 s0, 1.0, v3
	v_cmp_gt_i16_e32 vcc_lo, 11, v4
	v_ashrrev_i32_e32 v2, 31, v0
	s_delay_alu instid0(VALU_DEP_3) | instskip(SKIP_1) | instid1(VALU_DEP_1)
	v_cndmask_b32_e64 v5, v1, v8, s0
	v_add_co_u32 v0, s0, s4, v0
	v_add_co_ci_u32_e64 v1, s0, s5, v2, s0
	s_cbranch_vccnz .LBB23_2057
; %bb.1937:
	v_cmp_lt_i16_e32 vcc_lo, 25, v4
	s_mov_b32 s3, -1
	s_mov_b32 s2, 0
	s_mov_b32 s0, 0
	s_cbranch_vccz .LBB23_1970
; %bb.1938:
	v_cmp_lt_i16_e32 vcc_lo, 28, v4
	s_cbranch_vccz .LBB23_1954
; %bb.1939:
	v_cmp_lt_i16_e32 vcc_lo, 43, v4
	;; [unrolled: 3-line block ×3, first 2 shown]
	s_cbranch_vccz .LBB23_1944
; %bb.1941:
	v_cmp_eq_u16_e32 vcc_lo, 46, v4
	s_mov_b32 s0, -1
	s_cbranch_vccz .LBB23_1943
; %bb.1942:
	v_cvt_f32_f16_e32 v2, v5
	v_cmp_o_f16_e32 vcc_lo, v5, v5
	s_mov_b32 s0, 0
	s_delay_alu instid0(VALU_DEP_2) | instskip(NEXT) | instid1(VALU_DEP_1)
	v_bfe_u32 v3, v2, 16, 1
	v_add3_u32 v2, v2, v3, 0x7fff
	s_delay_alu instid0(VALU_DEP_1) | instskip(NEXT) | instid1(VALU_DEP_1)
	v_lshrrev_b32_e32 v2, 16, v2
	v_cndmask_b32_e32 v2, 0x7fc0, v2, vcc_lo
	global_store_b32 v[0:1], v2, off
.LBB23_1943:
	s_mov_b32 s3, 0
.LBB23_1944:
	s_delay_alu instid0(SALU_CYCLE_1)
	s_and_b32 vcc_lo, exec_lo, s3
	s_cbranch_vccz .LBB23_1949
; %bb.1945:
	v_cmp_eq_u16_e32 vcc_lo, 44, v4
	s_mov_b32 s0, -1
	s_cbranch_vccz .LBB23_1949
; %bb.1946:
	v_cvt_f32_f16_e32 v2, v5
	v_mov_b32_e32 v3, 0xff
	s_mov_b32 s3, exec_lo
	s_delay_alu instid0(VALU_DEP_2) | instskip(NEXT) | instid1(VALU_DEP_1)
	v_bfe_u32 v6, v2, 23, 8
	v_cmpx_ne_u32_e32 0xff, v6
; %bb.1947:
	v_and_b32_e32 v3, 0x400000, v2
	v_and_or_b32 v6, 0x3fffff, v2, v6
	v_lshrrev_b32_e32 v2, 23, v2
	s_delay_alu instid0(VALU_DEP_3) | instskip(NEXT) | instid1(VALU_DEP_3)
	v_cmp_ne_u32_e32 vcc_lo, 0, v3
	v_cmp_ne_u32_e64 s0, 0, v6
	s_delay_alu instid0(VALU_DEP_1) | instskip(NEXT) | instid1(SALU_CYCLE_1)
	s_and_b32 s0, vcc_lo, s0
	v_cndmask_b32_e64 v3, 0, 1, s0
	s_delay_alu instid0(VALU_DEP_1)
	v_add_nc_u32_e32 v3, v2, v3
; %bb.1948:
	s_or_b32 exec_lo, exec_lo, s3
	s_mov_b32 s0, 0
	global_store_b8 v[0:1], v3, off
.LBB23_1949:
	s_mov_b32 s3, 0
.LBB23_1950:
	s_delay_alu instid0(SALU_CYCLE_1)
	s_and_b32 vcc_lo, exec_lo, s3
	s_cbranch_vccz .LBB23_1953
; %bb.1951:
	v_cmp_eq_u16_e32 vcc_lo, 29, v4
	s_mov_b32 s0, -1
	s_cbranch_vccz .LBB23_1953
; %bb.1952:
	v_cvt_f32_f16_e32 v2, v5
	v_mov_b32_e32 v3, 0
	s_mov_b32 s0, 0
	s_delay_alu instid0(VALU_DEP_2)
	v_cvt_u32_f32_e32 v2, v2
	global_store_b64 v[0:1], v[2:3], off
.LBB23_1953:
	s_mov_b32 s3, 0
.LBB23_1954:
	s_delay_alu instid0(SALU_CYCLE_1)
	s_and_b32 vcc_lo, exec_lo, s3
	s_cbranch_vccz .LBB23_1969
; %bb.1955:
	v_cmp_gt_i16_e32 vcc_lo, 27, v4
	s_mov_b32 s3, -1
	s_cbranch_vccnz .LBB23_1961
; %bb.1956:
	v_cmp_lt_i16_e32 vcc_lo, 27, v4
	s_cbranch_vccz .LBB23_1958
; %bb.1957:
	v_cvt_f32_f16_e32 v2, v5
	s_mov_b32 s3, 0
	s_delay_alu instid0(VALU_DEP_1)
	v_cvt_u32_f32_e32 v2, v2
	global_store_b32 v[0:1], v2, off
.LBB23_1958:
	s_and_not1_b32 vcc_lo, exec_lo, s3
	s_cbranch_vccnz .LBB23_1960
; %bb.1959:
	v_cvt_u16_f16_e32 v2, v5
	global_store_b16 v[0:1], v2, off
.LBB23_1960:
	s_mov_b32 s3, 0
.LBB23_1961:
	s_delay_alu instid0(SALU_CYCLE_1)
	s_and_not1_b32 vcc_lo, exec_lo, s3
	s_cbranch_vccnz .LBB23_1969
; %bb.1962:
	v_cvt_f32_f16_e32 v2, v5
	v_mov_b32_e32 v6, 0x80
	s_mov_b32 s3, exec_lo
	s_delay_alu instid0(VALU_DEP_2) | instskip(NEXT) | instid1(VALU_DEP_1)
	v_and_b32_e32 v3, 0x7fffffff, v2
	v_cmpx_gt_u32_e32 0x43800000, v3
	s_cbranch_execz .LBB23_1968
; %bb.1963:
	v_cmp_lt_u32_e32 vcc_lo, 0x3bffffff, v3
	s_mov_b32 s4, 0
                                        ; implicit-def: $vgpr3
	s_and_saveexec_b32 s5, vcc_lo
	s_delay_alu instid0(SALU_CYCLE_1)
	s_xor_b32 s5, exec_lo, s5
	s_cbranch_execz .LBB23_2084
; %bb.1964:
	v_bfe_u32 v3, v2, 20, 1
	s_mov_b32 s4, exec_lo
	s_delay_alu instid0(VALU_DEP_1) | instskip(NEXT) | instid1(VALU_DEP_1)
	v_add3_u32 v3, v2, v3, 0x487ffff
	v_lshrrev_b32_e32 v3, 20, v3
	s_or_saveexec_b32 s5, s5
                                        ; implicit-def: $sgpr6
	s_delay_alu instid0(SALU_CYCLE_1)
	s_xor_b32 exec_lo, exec_lo, s5
	s_cbranch_execnz .LBB23_2085
.LBB23_1965:
	s_or_b32 exec_lo, exec_lo, s5
	v_mov_b32_e32 v6, s6
	s_and_saveexec_b32 s5, s4
.LBB23_1966:
	v_lshrrev_b32_e32 v2, 24, v2
	s_delay_alu instid0(VALU_DEP_1)
	v_and_or_b32 v6, 0x80, v2, v3
.LBB23_1967:
	s_or_b32 exec_lo, exec_lo, s5
.LBB23_1968:
	s_delay_alu instid0(SALU_CYCLE_1)
	s_or_b32 exec_lo, exec_lo, s3
	global_store_b8 v[0:1], v6, off
.LBB23_1969:
	s_mov_b32 s3, 0
.LBB23_1970:
	s_delay_alu instid0(SALU_CYCLE_1)
	s_and_b32 vcc_lo, exec_lo, s3
	s_cbranch_vccz .LBB23_2010
; %bb.1971:
	v_cmp_lt_i16_e32 vcc_lo, 22, v4
	s_mov_b32 s2, -1
	s_cbranch_vccz .LBB23_2003
; %bb.1972:
	v_cmp_gt_i16_e32 vcc_lo, 24, v4
	s_cbranch_vccnz .LBB23_1992
; %bb.1973:
	v_cmp_lt_i16_e32 vcc_lo, 24, v4
	s_cbranch_vccz .LBB23_1981
; %bb.1974:
	v_cvt_f32_f16_e32 v2, v5
	v_mov_b32_e32 v6, 0x80
	s_mov_b32 s2, exec_lo
	s_delay_alu instid0(VALU_DEP_2) | instskip(NEXT) | instid1(VALU_DEP_1)
	v_and_b32_e32 v3, 0x7fffffff, v2
	v_cmpx_gt_u32_e32 0x47800000, v3
	s_cbranch_execz .LBB23_1980
; %bb.1975:
	v_cmp_lt_u32_e32 vcc_lo, 0x37ffffff, v3
	s_mov_b32 s3, 0
                                        ; implicit-def: $vgpr3
	s_and_saveexec_b32 s4, vcc_lo
	s_delay_alu instid0(SALU_CYCLE_1)
	s_xor_b32 s4, exec_lo, s4
	s_cbranch_execz .LBB23_2090
; %bb.1976:
	v_bfe_u32 v3, v2, 21, 1
	s_mov_b32 s3, exec_lo
	s_delay_alu instid0(VALU_DEP_1) | instskip(NEXT) | instid1(VALU_DEP_1)
	v_add3_u32 v3, v2, v3, 0x88fffff
	v_lshrrev_b32_e32 v3, 21, v3
	s_or_saveexec_b32 s4, s4
                                        ; implicit-def: $sgpr5
	s_delay_alu instid0(SALU_CYCLE_1)
	s_xor_b32 exec_lo, exec_lo, s4
	s_cbranch_execnz .LBB23_2091
.LBB23_1977:
	s_or_b32 exec_lo, exec_lo, s4
	v_mov_b32_e32 v6, s5
	s_and_saveexec_b32 s4, s3
.LBB23_1978:
	v_lshrrev_b32_e32 v2, 24, v2
	s_delay_alu instid0(VALU_DEP_1)
	v_and_or_b32 v6, 0x80, v2, v3
.LBB23_1979:
	s_or_b32 exec_lo, exec_lo, s4
.LBB23_1980:
	s_delay_alu instid0(SALU_CYCLE_1)
	s_or_b32 exec_lo, exec_lo, s2
	s_mov_b32 s2, 0
	global_store_b8 v[0:1], v6, off
.LBB23_1981:
	s_and_b32 vcc_lo, exec_lo, s2
	s_cbranch_vccz .LBB23_1991
; %bb.1982:
	v_cvt_f32_f16_e32 v2, v5
	s_mov_b32 s2, exec_lo
                                        ; implicit-def: $vgpr3
	s_delay_alu instid0(VALU_DEP_1) | instskip(NEXT) | instid1(VALU_DEP_1)
	v_and_b32_e32 v6, 0x7fffffff, v2
	v_cmpx_gt_u32_e32 0x43f00000, v6
	s_xor_b32 s2, exec_lo, s2
	s_cbranch_execz .LBB23_1988
; %bb.1983:
	s_mov_b32 s3, exec_lo
                                        ; implicit-def: $vgpr3
	v_cmpx_lt_u32_e32 0x3c7fffff, v6
	s_xor_b32 s3, exec_lo, s3
; %bb.1984:
	v_bfe_u32 v3, v2, 20, 1
	s_delay_alu instid0(VALU_DEP_1) | instskip(NEXT) | instid1(VALU_DEP_1)
	v_add3_u32 v3, v2, v3, 0x407ffff
	v_and_b32_e32 v6, 0xff00000, v3
	v_lshrrev_b32_e32 v3, 20, v3
	s_delay_alu instid0(VALU_DEP_2) | instskip(NEXT) | instid1(VALU_DEP_2)
	v_cmp_ne_u32_e32 vcc_lo, 0x7f00000, v6
	v_cndmask_b32_e32 v3, 0x7e, v3, vcc_lo
; %bb.1985:
	s_and_not1_saveexec_b32 s3, s3
; %bb.1986:
	v_add_f32_e64 v3, 0x46800000, |v2|
; %bb.1987:
	s_or_b32 exec_lo, exec_lo, s3
                                        ; implicit-def: $vgpr6
.LBB23_1988:
	s_and_not1_saveexec_b32 s2, s2
; %bb.1989:
	v_mov_b32_e32 v3, 0x7f
	v_cmp_lt_u32_e32 vcc_lo, 0x7f800000, v6
	s_delay_alu instid0(VALU_DEP_2)
	v_cndmask_b32_e32 v3, 0x7e, v3, vcc_lo
; %bb.1990:
	s_or_b32 exec_lo, exec_lo, s2
	v_lshrrev_b32_e32 v2, 24, v2
	s_delay_alu instid0(VALU_DEP_1)
	v_and_or_b32 v2, 0x80, v2, v3
	global_store_b8 v[0:1], v2, off
.LBB23_1991:
	s_mov_b32 s2, 0
.LBB23_1992:
	s_delay_alu instid0(SALU_CYCLE_1)
	s_and_not1_b32 vcc_lo, exec_lo, s2
	s_cbranch_vccnz .LBB23_2002
; %bb.1993:
	v_cvt_f32_f16_e32 v2, v5
	s_mov_b32 s2, exec_lo
                                        ; implicit-def: $vgpr3
	s_delay_alu instid0(VALU_DEP_1) | instskip(NEXT) | instid1(VALU_DEP_1)
	v_and_b32_e32 v6, 0x7fffffff, v2
	v_cmpx_gt_u32_e32 0x47800000, v6
	s_xor_b32 s2, exec_lo, s2
	s_cbranch_execz .LBB23_1999
; %bb.1994:
	s_mov_b32 s3, exec_lo
                                        ; implicit-def: $vgpr3
	v_cmpx_lt_u32_e32 0x387fffff, v6
	s_xor_b32 s3, exec_lo, s3
; %bb.1995:
	v_bfe_u32 v3, v2, 21, 1
	s_delay_alu instid0(VALU_DEP_1) | instskip(NEXT) | instid1(VALU_DEP_1)
	v_add3_u32 v3, v2, v3, 0x80fffff
	v_lshrrev_b32_e32 v3, 21, v3
; %bb.1996:
	s_and_not1_saveexec_b32 s3, s3
; %bb.1997:
	v_add_f32_e64 v3, 0x43000000, |v2|
; %bb.1998:
	s_or_b32 exec_lo, exec_lo, s3
                                        ; implicit-def: $vgpr6
.LBB23_1999:
	s_and_not1_saveexec_b32 s2, s2
; %bb.2000:
	v_mov_b32_e32 v3, 0x7f
	v_cmp_lt_u32_e32 vcc_lo, 0x7f800000, v6
	s_delay_alu instid0(VALU_DEP_2)
	v_cndmask_b32_e32 v3, 0x7c, v3, vcc_lo
; %bb.2001:
	s_or_b32 exec_lo, exec_lo, s2
	v_lshrrev_b32_e32 v2, 24, v2
	s_delay_alu instid0(VALU_DEP_1)
	v_and_or_b32 v2, 0x80, v2, v3
	global_store_b8 v[0:1], v2, off
.LBB23_2002:
	s_mov_b32 s2, 0
.LBB23_2003:
	s_delay_alu instid0(SALU_CYCLE_1)
	s_and_not1_b32 vcc_lo, exec_lo, s2
	s_mov_b32 s2, 0
	s_cbranch_vccnz .LBB23_2010
; %bb.2004:
	v_cmp_lt_i16_e32 vcc_lo, 14, v4
	s_mov_b32 s2, -1
	s_cbranch_vccz .LBB23_2008
; %bb.2005:
	v_cmp_eq_u16_e32 vcc_lo, 15, v4
	s_mov_b32 s0, -1
	s_cbranch_vccz .LBB23_2007
; %bb.2006:
	v_cvt_f32_f16_e32 v2, v5
	v_cmp_o_f16_e32 vcc_lo, v5, v5
	s_mov_b32 s0, 0
	s_delay_alu instid0(VALU_DEP_2) | instskip(NEXT) | instid1(VALU_DEP_1)
	v_bfe_u32 v3, v2, 16, 1
	v_add3_u32 v2, v2, v3, 0x7fff
	s_delay_alu instid0(VALU_DEP_1) | instskip(NEXT) | instid1(VALU_DEP_1)
	v_lshrrev_b32_e32 v2, 16, v2
	v_cndmask_b32_e32 v2, 0x7fc0, v2, vcc_lo
	global_store_b16 v[0:1], v2, off
.LBB23_2007:
	s_mov_b32 s2, 0
.LBB23_2008:
	s_delay_alu instid0(SALU_CYCLE_1)
	s_and_b32 vcc_lo, exec_lo, s2
	s_mov_b32 s2, 0
	s_cbranch_vccz .LBB23_2010
; %bb.2009:
	v_cmp_ne_u16_e64 s0, 11, v4
	s_mov_b32 s2, -1
.LBB23_2010:
	s_delay_alu instid0(VALU_DEP_1)
	s_and_b32 vcc_lo, exec_lo, s0
	s_cbranch_vccnz .LBB23_2088
.LBB23_2011:
	s_mov_b32 s0, 0
	s_branch .LBB23_2013
.LBB23_2012:
	s_mov_b32 s0, 0
	s_mov_b32 s2, 0
                                        ; implicit-def: $vgpr4
                                        ; implicit-def: $vgpr0_vgpr1
                                        ; implicit-def: $vgpr5
.LBB23_2013:
	s_and_not1_b32 s3, s14, exec_lo
	s_and_b32 s4, s1, exec_lo
	s_and_b32 s0, s0, exec_lo
	;; [unrolled: 1-line block ×3, first 2 shown]
	s_or_b32 s14, s3, s4
.LBB23_2014:
	s_or_b32 exec_lo, exec_lo, s13
	s_and_saveexec_b32 s2, s14
	s_cbranch_execz .LBB23_2017
; %bb.2015:
	; divergent unreachable
	s_or_b32 exec_lo, exec_lo, s2
	s_and_saveexec_b32 s2, s1
	s_delay_alu instid0(SALU_CYCLE_1)
	s_xor_b32 s1, exec_lo, s2
	s_cbranch_execnz .LBB23_2018
.LBB23_2016:
	s_or_b32 exec_lo, exec_lo, s1
	s_and_saveexec_b32 s1, s0
	s_cbranch_execnz .LBB23_2019
	s_branch .LBB23_2056
.LBB23_2017:
	s_or_b32 exec_lo, exec_lo, s2
	s_and_saveexec_b32 s2, s1
	s_delay_alu instid0(SALU_CYCLE_1)
	s_xor_b32 s1, exec_lo, s2
	s_cbranch_execz .LBB23_2016
.LBB23_2018:
	s_waitcnt vmcnt(0)
	v_cmp_neq_f16_e32 vcc_lo, 0, v5
	v_cndmask_b32_e64 v2, 0, 1, vcc_lo
	global_store_b8 v[0:1], v2, off
	s_or_b32 exec_lo, exec_lo, s1
	s_and_saveexec_b32 s1, s0
	s_cbranch_execz .LBB23_2056
.LBB23_2019:
	s_waitcnt vmcnt(0)
	v_cmp_gt_i16_e32 vcc_lo, 5, v4
	s_mov_b32 s0, -1
	s_cbranch_vccnz .LBB23_2040
; %bb.2020:
	v_cmp_gt_i16_e32 vcc_lo, 8, v4
	s_cbranch_vccnz .LBB23_2030
; %bb.2021:
	v_cmp_gt_i16_e32 vcc_lo, 9, v4
	s_cbranch_vccnz .LBB23_2027
; %bb.2022:
	v_cmp_lt_i16_e32 vcc_lo, 9, v4
	s_cbranch_vccz .LBB23_2024
; %bb.2023:
	v_cvt_f32_f16_e32 v2, v5
	v_mov_b32_e32 v8, 0
	s_mov_b32 s0, 0
	s_delay_alu instid0(VALU_DEP_2) | instskip(NEXT) | instid1(VALU_DEP_2)
	v_cvt_f64_f32_e32 v[6:7], v2
	v_mov_b32_e32 v9, v8
	global_store_b128 v[0:1], v[6:9], off
.LBB23_2024:
	s_and_not1_b32 vcc_lo, exec_lo, s0
	s_cbranch_vccnz .LBB23_2026
; %bb.2025:
	v_cvt_f32_f16_e32 v2, v5
	v_mov_b32_e32 v3, 0
	global_store_b64 v[0:1], v[2:3], off
.LBB23_2026:
	s_mov_b32 s0, 0
.LBB23_2027:
	s_delay_alu instid0(SALU_CYCLE_1)
	s_and_not1_b32 vcc_lo, exec_lo, s0
	s_cbranch_vccnz .LBB23_2029
; %bb.2028:
	v_and_b32_e32 v2, 0xffff, v5
	global_store_b32 v[0:1], v2, off
.LBB23_2029:
	s_mov_b32 s0, 0
.LBB23_2030:
	s_delay_alu instid0(SALU_CYCLE_1)
	s_and_not1_b32 vcc_lo, exec_lo, s0
	s_cbranch_vccnz .LBB23_2039
; %bb.2031:
	v_cmp_gt_i16_e32 vcc_lo, 6, v4
	s_mov_b32 s0, -1
	s_cbranch_vccnz .LBB23_2037
; %bb.2032:
	v_cmp_lt_i16_e32 vcc_lo, 6, v4
	s_cbranch_vccz .LBB23_2034
; %bb.2033:
	v_cvt_f32_f16_e32 v2, v5
	s_mov_b32 s0, 0
	s_delay_alu instid0(VALU_DEP_1)
	v_cvt_f64_f32_e32 v[2:3], v2
	global_store_b64 v[0:1], v[2:3], off
.LBB23_2034:
	s_and_not1_b32 vcc_lo, exec_lo, s0
	s_cbranch_vccnz .LBB23_2036
; %bb.2035:
	v_cvt_f32_f16_e32 v2, v5
	global_store_b32 v[0:1], v2, off
.LBB23_2036:
	s_mov_b32 s0, 0
.LBB23_2037:
	s_delay_alu instid0(SALU_CYCLE_1)
	s_and_not1_b32 vcc_lo, exec_lo, s0
	s_cbranch_vccnz .LBB23_2039
; %bb.2038:
	global_store_b16 v[0:1], v5, off
.LBB23_2039:
	s_mov_b32 s0, 0
.LBB23_2040:
	s_delay_alu instid0(SALU_CYCLE_1)
	s_and_not1_b32 vcc_lo, exec_lo, s0
	s_cbranch_vccnz .LBB23_2056
; %bb.2041:
	v_cmp_gt_i16_e32 vcc_lo, 2, v4
	s_mov_b32 s0, -1
	s_cbranch_vccnz .LBB23_2051
; %bb.2042:
	v_cmp_gt_i16_e32 vcc_lo, 3, v4
	s_cbranch_vccnz .LBB23_2048
; %bb.2043:
	v_cmp_lt_i16_e32 vcc_lo, 3, v4
	s_cbranch_vccz .LBB23_2045
; %bb.2044:
	v_cvt_f32_f16_e32 v2, v5
	s_mov_b32 s0, 0
	s_delay_alu instid0(VALU_DEP_1) | instskip(NEXT) | instid1(VALU_DEP_1)
	v_cvt_i32_f32_e32 v2, v2
	v_ashrrev_i32_e32 v3, 31, v2
	global_store_b64 v[0:1], v[2:3], off
.LBB23_2045:
	s_and_not1_b32 vcc_lo, exec_lo, s0
	s_cbranch_vccnz .LBB23_2047
; %bb.2046:
	v_cvt_f32_f16_e32 v2, v5
	s_delay_alu instid0(VALU_DEP_1)
	v_cvt_i32_f32_e32 v2, v2
	global_store_b32 v[0:1], v2, off
.LBB23_2047:
	s_mov_b32 s0, 0
.LBB23_2048:
	s_delay_alu instid0(SALU_CYCLE_1)
	s_and_not1_b32 vcc_lo, exec_lo, s0
	s_cbranch_vccnz .LBB23_2050
; %bb.2049:
	v_cvt_i16_f16_e32 v2, v5
	global_store_b16 v[0:1], v2, off
.LBB23_2050:
	s_mov_b32 s0, 0
.LBB23_2051:
	s_delay_alu instid0(SALU_CYCLE_1)
	s_and_not1_b32 vcc_lo, exec_lo, s0
	s_cbranch_vccnz .LBB23_2056
; %bb.2052:
	v_cmp_lt_i16_e32 vcc_lo, 0, v4
	s_mov_b32 s0, -1
	s_cbranch_vccz .LBB23_2054
; %bb.2053:
	v_cvt_i16_f16_e32 v2, v5
	s_mov_b32 s0, 0
	global_store_b8 v[0:1], v2, off
.LBB23_2054:
	s_and_not1_b32 vcc_lo, exec_lo, s0
	s_cbranch_vccnz .LBB23_2056
; %bb.2055:
	v_cvt_f32_f16_e32 v2, v5
	s_delay_alu instid0(VALU_DEP_1)
	v_cvt_i32_f32_e32 v2, v2
	global_store_b8 v[0:1], v2, off
	s_nop 0
	s_sendmsg sendmsg(MSG_DEALLOC_VGPRS)
	s_endpgm
.LBB23_2056:
	s_nop 0
	s_sendmsg sendmsg(MSG_DEALLOC_VGPRS)
	s_endpgm
.LBB23_2057:
	s_mov_b32 s2, 0
	s_mov_b32 s0, -1
	s_branch .LBB23_2013
.LBB23_2058:
	s_cbranch_execnz .LBB23_2062
; %bb.2059:
	s_or_b32 s1, s1, exec_lo
                                        ; implicit-def: $vgpr8
	s_cbranch_execz .LBB23_1525
	s_branch .LBB23_1526
.LBB23_2060:
	s_or_saveexec_b32 s8, s8
                                        ; implicit-def: $sgpr9
	s_delay_alu instid0(SALU_CYCLE_1)
	s_xor_b32 exec_lo, exec_lo, s8
	s_cbranch_execz .LBB23_1607
.LBB23_2061:
	v_add_f32_e64 v15, 0x46000000, |v9|
	s_and_not1_b32 s7, s7, exec_lo
	s_mov_b32 s9, 0
	s_delay_alu instid0(VALU_DEP_1) | instskip(NEXT) | instid1(VALU_DEP_1)
	v_and_b32_e32 v15, 0xff, v15
	v_cmp_ne_u32_e32 vcc_lo, 0, v15
	s_and_b32 s10, vcc_lo, exec_lo
	s_delay_alu instid0(SALU_CYCLE_1)
	s_or_b32 s7, s7, s10
	s_or_b32 exec_lo, exec_lo, s8
	v_mov_b32_e32 v16, s9
	s_and_saveexec_b32 s8, s7
	s_cbranch_execnz .LBB23_1608
	s_branch .LBB23_1609
.LBB23_2062:
	s_trap 2
	s_sendmsg_rtn_b32 s0, sendmsg(MSG_RTN_GET_DOORBELL)
	s_mov_b32 ttmp2, m0
	s_waitcnt lgkmcnt(0)
	s_and_b32 s0, s0, 0x3ff
	s_delay_alu instid0(SALU_CYCLE_1) | instskip(NEXT) | instid1(SALU_CYCLE_1)
	s_bitset1_b32 s0, 10
	s_mov_b32 m0, s0
	s_sendmsg sendmsg(MSG_INTERRUPT)
	s_mov_b32 m0, ttmp2
.LBB23_2063:                            ; =>This Inner Loop Header: Depth=1
	s_sethalt 5
	s_branch .LBB23_2063
.LBB23_2064:
	s_cbranch_execnz .LBB23_2070
; %bb.2065:
	s_or_b32 s1, s1, exec_lo
	s_cbranch_execz .LBB23_1655
	s_branch .LBB23_1656
.LBB23_2066:
	s_or_saveexec_b32 s7, s7
                                        ; implicit-def: $sgpr8
	s_delay_alu instid0(SALU_CYCLE_1)
	s_xor_b32 exec_lo, exec_lo, s7
	s_cbranch_execz .LBB23_1620
.LBB23_2067:
	v_add_f32_e64 v15, 0x42800000, |v9|
	s_and_not1_b32 s6, s6, exec_lo
	s_mov_b32 s8, 0
	s_delay_alu instid0(VALU_DEP_1) | instskip(NEXT) | instid1(VALU_DEP_1)
	v_and_b32_e32 v15, 0xff, v15
	v_cmp_ne_u32_e32 vcc_lo, 0, v15
	s_and_b32 s9, vcc_lo, exec_lo
	s_delay_alu instid0(SALU_CYCLE_1)
	s_or_b32 s6, s6, s9
	s_or_b32 exec_lo, exec_lo, s7
	v_mov_b32_e32 v16, s8
	s_and_saveexec_b32 s7, s6
	s_cbranch_execnz .LBB23_1621
	s_branch .LBB23_1622
.LBB23_2068:
	s_or_saveexec_b32 s8, s8
                                        ; implicit-def: $sgpr9
	s_delay_alu instid0(SALU_CYCLE_1)
	s_xor_b32 exec_lo, exec_lo, s8
	s_cbranch_execz .LBB23_1726
.LBB23_2069:
	v_add_f32_e64 v9, 0x46000000, |v6|
	s_and_not1_b32 s7, s7, exec_lo
	s_mov_b32 s9, 0
	s_delay_alu instid0(VALU_DEP_1) | instskip(NEXT) | instid1(VALU_DEP_1)
	v_and_b32_e32 v9, 0xff, v9
	v_cmp_ne_u32_e32 vcc_lo, 0, v9
	s_and_b32 s10, vcc_lo, exec_lo
	s_delay_alu instid0(SALU_CYCLE_1)
	s_or_b32 s7, s7, s10
	s_or_b32 exec_lo, exec_lo, s8
	v_mov_b32_e32 v10, s9
	s_and_saveexec_b32 s8, s7
	s_cbranch_execnz .LBB23_1727
	s_branch .LBB23_1728
.LBB23_2070:
	s_trap 2
	s_sendmsg_rtn_b32 s0, sendmsg(MSG_RTN_GET_DOORBELL)
	s_mov_b32 ttmp2, m0
	s_waitcnt lgkmcnt(0)
	s_and_b32 s0, s0, 0x3ff
	s_delay_alu instid0(SALU_CYCLE_1) | instskip(NEXT) | instid1(SALU_CYCLE_1)
	s_bitset1_b32 s0, 10
	s_mov_b32 m0, s0
	s_sendmsg sendmsg(MSG_INTERRUPT)
	s_mov_b32 m0, ttmp2
.LBB23_2071:                            ; =>This Inner Loop Header: Depth=1
	s_sethalt 5
	s_branch .LBB23_2071
.LBB23_2072:
	s_cbranch_execnz .LBB23_2078
; %bb.2073:
	s_or_b32 s1, s1, exec_lo
	s_cbranch_execz .LBB23_1774
	s_branch .LBB23_1775
.LBB23_2074:
	s_or_saveexec_b32 s7, s7
                                        ; implicit-def: $sgpr8
	s_delay_alu instid0(SALU_CYCLE_1)
	s_xor_b32 exec_lo, exec_lo, s7
	s_cbranch_execz .LBB23_1739
.LBB23_2075:
	v_add_f32_e64 v9, 0x42800000, |v6|
	s_and_not1_b32 s6, s6, exec_lo
	s_mov_b32 s8, 0
	s_delay_alu instid0(VALU_DEP_1) | instskip(NEXT) | instid1(VALU_DEP_1)
	v_and_b32_e32 v9, 0xff, v9
	v_cmp_ne_u32_e32 vcc_lo, 0, v9
	s_and_b32 s9, vcc_lo, exec_lo
	s_delay_alu instid0(SALU_CYCLE_1)
	s_or_b32 s6, s6, s9
	s_or_b32 exec_lo, exec_lo, s7
	v_mov_b32_e32 v10, s8
	s_and_saveexec_b32 s7, s6
	s_cbranch_execnz .LBB23_1740
	s_branch .LBB23_1741
.LBB23_2076:
	s_or_saveexec_b32 s8, s8
                                        ; implicit-def: $sgpr9
	s_delay_alu instid0(SALU_CYCLE_1)
	s_xor_b32 exec_lo, exec_lo, s8
	s_cbranch_execz .LBB23_1845
.LBB23_2077:
	v_add_f32_e64 v7, 0x46000000, |v6|
	s_and_not1_b32 s7, s7, exec_lo
	s_mov_b32 s9, 0
	s_delay_alu instid0(VALU_DEP_1) | instskip(NEXT) | instid1(VALU_DEP_1)
	v_and_b32_e32 v7, 0xff, v7
	v_cmp_ne_u32_e32 vcc_lo, 0, v7
	s_and_b32 s10, vcc_lo, exec_lo
	s_delay_alu instid0(SALU_CYCLE_1)
	s_or_b32 s7, s7, s10
	s_or_b32 exec_lo, exec_lo, s8
	v_mov_b32_e32 v9, s9
	s_and_saveexec_b32 s8, s7
	s_cbranch_execnz .LBB23_1846
	s_branch .LBB23_1847
.LBB23_2078:
	s_trap 2
	s_sendmsg_rtn_b32 s0, sendmsg(MSG_RTN_GET_DOORBELL)
	s_mov_b32 ttmp2, m0
	s_waitcnt lgkmcnt(0)
	s_and_b32 s0, s0, 0x3ff
	s_delay_alu instid0(SALU_CYCLE_1) | instskip(NEXT) | instid1(SALU_CYCLE_1)
	s_bitset1_b32 s0, 10
	s_mov_b32 m0, s0
	s_sendmsg sendmsg(MSG_INTERRUPT)
	s_mov_b32 m0, ttmp2
.LBB23_2079:                            ; =>This Inner Loop Header: Depth=1
	s_sethalt 5
	s_branch .LBB23_2079
.LBB23_2080:
	s_cbranch_execnz .LBB23_2086
; %bb.2081:
	s_or_b32 s1, s1, exec_lo
	s_cbranch_execz .LBB23_1893
	s_branch .LBB23_1894
.LBB23_2082:
	s_or_saveexec_b32 s7, s7
                                        ; implicit-def: $sgpr8
	s_delay_alu instid0(SALU_CYCLE_1)
	s_xor_b32 exec_lo, exec_lo, s7
	s_cbranch_execz .LBB23_1858
.LBB23_2083:
	v_add_f32_e64 v7, 0x42800000, |v6|
	s_and_not1_b32 s6, s6, exec_lo
	s_mov_b32 s8, 0
	s_delay_alu instid0(VALU_DEP_1) | instskip(NEXT) | instid1(VALU_DEP_1)
	v_and_b32_e32 v7, 0xff, v7
	v_cmp_ne_u32_e32 vcc_lo, 0, v7
	s_and_b32 s9, vcc_lo, exec_lo
	s_delay_alu instid0(SALU_CYCLE_1)
	s_or_b32 s6, s6, s9
	s_or_b32 exec_lo, exec_lo, s7
	v_mov_b32_e32 v9, s8
	s_and_saveexec_b32 s7, s6
	s_cbranch_execnz .LBB23_1859
	s_branch .LBB23_1860
.LBB23_2084:
	s_or_saveexec_b32 s5, s5
                                        ; implicit-def: $sgpr6
	s_delay_alu instid0(SALU_CYCLE_1)
	s_xor_b32 exec_lo, exec_lo, s5
	s_cbranch_execz .LBB23_1965
.LBB23_2085:
	v_add_f32_e64 v3, 0x46000000, |v2|
	s_and_not1_b32 s4, s4, exec_lo
	s_mov_b32 s6, 0
	s_delay_alu instid0(VALU_DEP_1) | instskip(NEXT) | instid1(VALU_DEP_1)
	v_and_b32_e32 v3, 0xff, v3
	v_cmp_ne_u32_e32 vcc_lo, 0, v3
	s_and_b32 s7, vcc_lo, exec_lo
	s_delay_alu instid0(SALU_CYCLE_1)
	s_or_b32 s4, s4, s7
	s_or_b32 exec_lo, exec_lo, s5
	v_mov_b32_e32 v6, s6
	s_and_saveexec_b32 s5, s4
	s_cbranch_execnz .LBB23_1966
	s_branch .LBB23_1967
.LBB23_2086:
	s_trap 2
	s_sendmsg_rtn_b32 s0, sendmsg(MSG_RTN_GET_DOORBELL)
	s_mov_b32 ttmp2, m0
	s_waitcnt lgkmcnt(0)
	s_and_b32 s0, s0, 0x3ff
	s_delay_alu instid0(SALU_CYCLE_1) | instskip(NEXT) | instid1(SALU_CYCLE_1)
	s_bitset1_b32 s0, 10
	s_mov_b32 m0, s0
	s_sendmsg sendmsg(MSG_INTERRUPT)
	s_mov_b32 m0, ttmp2
.LBB23_2087:                            ; =>This Inner Loop Header: Depth=1
	s_sethalt 5
	s_branch .LBB23_2087
.LBB23_2088:
	s_cbranch_execnz .LBB23_2092
; %bb.2089:
	s_mov_b32 s2, 0
	s_or_b32 s1, s1, exec_lo
	s_branch .LBB23_2011
.LBB23_2090:
	s_or_saveexec_b32 s4, s4
                                        ; implicit-def: $sgpr5
	s_delay_alu instid0(SALU_CYCLE_1)
	s_xor_b32 exec_lo, exec_lo, s4
	s_cbranch_execz .LBB23_1977
.LBB23_2091:
	v_add_f32_e64 v3, 0x42800000, |v2|
	s_and_not1_b32 s3, s3, exec_lo
	s_mov_b32 s5, 0
	s_delay_alu instid0(VALU_DEP_1) | instskip(NEXT) | instid1(VALU_DEP_1)
	v_and_b32_e32 v3, 0xff, v3
	v_cmp_ne_u32_e32 vcc_lo, 0, v3
	s_and_b32 s6, vcc_lo, exec_lo
	s_delay_alu instid0(SALU_CYCLE_1)
	s_or_b32 s3, s3, s6
	s_or_b32 exec_lo, exec_lo, s4
	v_mov_b32_e32 v6, s5
	s_and_saveexec_b32 s4, s3
	s_cbranch_execnz .LBB23_1978
	s_branch .LBB23_1979
.LBB23_2092:
	s_trap 2
	s_sendmsg_rtn_b32 s0, sendmsg(MSG_RTN_GET_DOORBELL)
	s_mov_b32 ttmp2, m0
	s_waitcnt lgkmcnt(0)
	s_and_b32 s0, s0, 0x3ff
	s_delay_alu instid0(SALU_CYCLE_1) | instskip(NEXT) | instid1(SALU_CYCLE_1)
	s_bitset1_b32 s0, 10
	s_mov_b32 m0, s0
	s_sendmsg sendmsg(MSG_INTERRUPT)
	s_mov_b32 m0, ttmp2
.LBB23_2093:                            ; =>This Inner Loop Header: Depth=1
	s_sethalt 5
	s_branch .LBB23_2093
	.section	.rodata,"a",@progbits
	.p2align	6, 0x0
	.amdhsa_kernel _ZN2at6native32elementwise_kernel_manual_unrollILi128ELi4EZNS0_15gpu_kernel_implIZZZNS0_12_GLOBAL__N_139_amp_non_finite_check_and_unscale_cuda_ERNS_6TensorES5_RKS4_ENKUlvE_clEvENKUlvE1_clEvEUlN3c104HalfEE_EEvRNS_18TensorIteratorBaseERKT_EUlibE_EEviT1_
		.amdhsa_group_segment_fixed_size 0
		.amdhsa_private_segment_fixed_size 0
		.amdhsa_kernarg_size 56
		.amdhsa_user_sgpr_count 15
		.amdhsa_user_sgpr_dispatch_ptr 0
		.amdhsa_user_sgpr_queue_ptr 0
		.amdhsa_user_sgpr_kernarg_segment_ptr 1
		.amdhsa_user_sgpr_dispatch_id 0
		.amdhsa_user_sgpr_private_segment_size 0
		.amdhsa_wavefront_size32 1
		.amdhsa_uses_dynamic_stack 0
		.amdhsa_enable_private_segment 0
		.amdhsa_system_sgpr_workgroup_id_x 1
		.amdhsa_system_sgpr_workgroup_id_y 0
		.amdhsa_system_sgpr_workgroup_id_z 0
		.amdhsa_system_sgpr_workgroup_info 0
		.amdhsa_system_vgpr_workitem_id 0
		.amdhsa_next_free_vgpr 19
		.amdhsa_next_free_sgpr 29
		.amdhsa_reserve_vcc 1
		.amdhsa_float_round_mode_32 0
		.amdhsa_float_round_mode_16_64 0
		.amdhsa_float_denorm_mode_32 3
		.amdhsa_float_denorm_mode_16_64 3
		.amdhsa_dx10_clamp 1
		.amdhsa_ieee_mode 1
		.amdhsa_fp16_overflow 0
		.amdhsa_workgroup_processor_mode 1
		.amdhsa_memory_ordered 1
		.amdhsa_forward_progress 0
		.amdhsa_shared_vgpr_count 0
		.amdhsa_exception_fp_ieee_invalid_op 0
		.amdhsa_exception_fp_denorm_src 0
		.amdhsa_exception_fp_ieee_div_zero 0
		.amdhsa_exception_fp_ieee_overflow 0
		.amdhsa_exception_fp_ieee_underflow 0
		.amdhsa_exception_fp_ieee_inexact 0
		.amdhsa_exception_int_div_zero 0
	.end_amdhsa_kernel
	.section	.text._ZN2at6native32elementwise_kernel_manual_unrollILi128ELi4EZNS0_15gpu_kernel_implIZZZNS0_12_GLOBAL__N_139_amp_non_finite_check_and_unscale_cuda_ERNS_6TensorES5_RKS4_ENKUlvE_clEvENKUlvE1_clEvEUlN3c104HalfEE_EEvRNS_18TensorIteratorBaseERKT_EUlibE_EEviT1_,"axG",@progbits,_ZN2at6native32elementwise_kernel_manual_unrollILi128ELi4EZNS0_15gpu_kernel_implIZZZNS0_12_GLOBAL__N_139_amp_non_finite_check_and_unscale_cuda_ERNS_6TensorES5_RKS4_ENKUlvE_clEvENKUlvE1_clEvEUlN3c104HalfEE_EEvRNS_18TensorIteratorBaseERKT_EUlibE_EEviT1_,comdat
.Lfunc_end23:
	.size	_ZN2at6native32elementwise_kernel_manual_unrollILi128ELi4EZNS0_15gpu_kernel_implIZZZNS0_12_GLOBAL__N_139_amp_non_finite_check_and_unscale_cuda_ERNS_6TensorES5_RKS4_ENKUlvE_clEvENKUlvE1_clEvEUlN3c104HalfEE_EEvRNS_18TensorIteratorBaseERKT_EUlibE_EEviT1_, .Lfunc_end23-_ZN2at6native32elementwise_kernel_manual_unrollILi128ELi4EZNS0_15gpu_kernel_implIZZZNS0_12_GLOBAL__N_139_amp_non_finite_check_and_unscale_cuda_ERNS_6TensorES5_RKS4_ENKUlvE_clEvENKUlvE1_clEvEUlN3c104HalfEE_EEvRNS_18TensorIteratorBaseERKT_EUlibE_EEviT1_
                                        ; -- End function
	.section	.AMDGPU.csdata,"",@progbits
; Kernel info:
; codeLenInByte = 36132
; NumSgprs: 31
; NumVgprs: 19
; ScratchSize: 0
; MemoryBound: 0
; FloatMode: 240
; IeeeMode: 1
; LDSByteSize: 0 bytes/workgroup (compile time only)
; SGPRBlocks: 3
; VGPRBlocks: 2
; NumSGPRsForWavesPerEU: 31
; NumVGPRsForWavesPerEU: 19
; Occupancy: 16
; WaveLimiterHint : 0
; COMPUTE_PGM_RSRC2:SCRATCH_EN: 0
; COMPUTE_PGM_RSRC2:USER_SGPR: 15
; COMPUTE_PGM_RSRC2:TRAP_HANDLER: 0
; COMPUTE_PGM_RSRC2:TGID_X_EN: 1
; COMPUTE_PGM_RSRC2:TGID_Y_EN: 0
; COMPUTE_PGM_RSRC2:TGID_Z_EN: 0
; COMPUTE_PGM_RSRC2:TIDIG_COMP_CNT: 0
	.section	.text._ZN2at6native32elementwise_kernel_manual_unrollILi128ELi4EZNS0_15gpu_kernel_implIZZZNS0_12_GLOBAL__N_139_amp_non_finite_check_and_unscale_cuda_ERNS_6TensorES5_RKS4_ENKUlvE_clEvENKUlvE1_clEvEUlN3c104HalfEE_EEvRNS_18TensorIteratorBaseERKT_EUlibE0_EEviT1_,"axG",@progbits,_ZN2at6native32elementwise_kernel_manual_unrollILi128ELi4EZNS0_15gpu_kernel_implIZZZNS0_12_GLOBAL__N_139_amp_non_finite_check_and_unscale_cuda_ERNS_6TensorES5_RKS4_ENKUlvE_clEvENKUlvE1_clEvEUlN3c104HalfEE_EEvRNS_18TensorIteratorBaseERKT_EUlibE0_EEviT1_,comdat
	.globl	_ZN2at6native32elementwise_kernel_manual_unrollILi128ELi4EZNS0_15gpu_kernel_implIZZZNS0_12_GLOBAL__N_139_amp_non_finite_check_and_unscale_cuda_ERNS_6TensorES5_RKS4_ENKUlvE_clEvENKUlvE1_clEvEUlN3c104HalfEE_EEvRNS_18TensorIteratorBaseERKT_EUlibE0_EEviT1_ ; -- Begin function _ZN2at6native32elementwise_kernel_manual_unrollILi128ELi4EZNS0_15gpu_kernel_implIZZZNS0_12_GLOBAL__N_139_amp_non_finite_check_and_unscale_cuda_ERNS_6TensorES5_RKS4_ENKUlvE_clEvENKUlvE1_clEvEUlN3c104HalfEE_EEvRNS_18TensorIteratorBaseERKT_EUlibE0_EEviT1_
	.p2align	8
	.type	_ZN2at6native32elementwise_kernel_manual_unrollILi128ELi4EZNS0_15gpu_kernel_implIZZZNS0_12_GLOBAL__N_139_amp_non_finite_check_and_unscale_cuda_ERNS_6TensorES5_RKS4_ENKUlvE_clEvENKUlvE1_clEvEUlN3c104HalfEE_EEvRNS_18TensorIteratorBaseERKT_EUlibE0_EEviT1_,@function
_ZN2at6native32elementwise_kernel_manual_unrollILi128ELi4EZNS0_15gpu_kernel_implIZZZNS0_12_GLOBAL__N_139_amp_non_finite_check_and_unscale_cuda_ERNS_6TensorES5_RKS4_ENKUlvE_clEvENKUlvE1_clEvEUlN3c104HalfEE_EEvRNS_18TensorIteratorBaseERKT_EUlibE0_EEviT1_: ; @_ZN2at6native32elementwise_kernel_manual_unrollILi128ELi4EZNS0_15gpu_kernel_implIZZZNS0_12_GLOBAL__N_139_amp_non_finite_check_and_unscale_cuda_ERNS_6TensorES5_RKS4_ENKUlvE_clEvENKUlvE1_clEvEUlN3c104HalfEE_EEvRNS_18TensorIteratorBaseERKT_EUlibE0_EEviT1_
; %bb.0:
	s_clause 0x1
	s_load_b32 s28, s[0:1], 0x8
	s_load_b32 s36, s[0:1], 0x0
	v_lshl_or_b32 v4, s15, 9, v0
	s_or_b32 s20, s0, 8
	s_mov_b32 s3, -1
	s_mov_b32 s30, 0
	s_mov_b32 s21, s1
	v_or_b32_e32 v8, 0x180, v4
	s_mov_b32 s12, 0
	s_mov_b32 s2, exec_lo
	s_waitcnt lgkmcnt(0)
	s_add_i32 s29, s28, -1
	s_delay_alu instid0(SALU_CYCLE_1)
	s_cmp_gt_u32 s29, 1
	s_cselect_b32 s31, -1, 0
	v_cmpx_le_i32_e64 s36, v8
	s_xor_b32 s33, exec_lo, s2
	s_cbranch_execz .LBB24_1084
; %bb.1:
	s_clause 0x4
	s_load_b32 s34, s[20:21], 0x168
	s_load_b128 s[16:19], s[20:21], 0x4
	s_load_b64 s[22:23], s[20:21], 0x14
	s_load_b128 s[12:15], s[20:21], 0xc4
	s_load_b256 s[4:11], s[20:21], 0x148
	s_cmp_lg_u32 s28, 0
	s_mov_b32 s42, 0
	s_cselect_b32 s38, -1, 0
	s_add_u32 s24, s20, 0xc4
	s_addc_u32 s25, s21, 0
	s_min_u32 s37, s29, 15
	s_cmp_gt_u32 s28, 1
	s_mov_b32 s40, 0
	s_cselect_b32 s35, -1, 0
	s_mov_b32 s39, 0
	s_mov_b32 s41, exec_lo
	s_waitcnt lgkmcnt(0)
	v_lshrrev_b16 v3, 8, s34
	v_cmpx_gt_i32_e64 s36, v4
	s_cbranch_execz .LBB24_265
; %bb.2:
	s_and_not1_b32 vcc_lo, exec_lo, s31
	s_cbranch_vccnz .LBB24_7
; %bb.3:
	v_dual_mov_b32 v0, 0 :: v_dual_mov_b32 v1, 0
	s_and_not1_b32 vcc_lo, exec_lo, s38
	s_cbranch_vccnz .LBB24_12
; %bb.4:
	v_mov_b32_e32 v0, 0
	s_add_i32 s43, s37, 1
	s_cmp_eq_u32 s29, 2
	s_cbranch_scc1 .LBB24_8
; %bb.5:
	v_dual_mov_b32 v1, 0 :: v_dual_mov_b32 v0, 0
	v_mov_b32_e32 v2, v4
	s_and_b32 s40, s43, 28
	s_mov_b32 s44, 0
	s_mov_b64 s[2:3], s[24:25]
	s_mov_b64 s[26:27], s[20:21]
.LBB24_6:                               ; =>This Inner Loop Header: Depth=1
	s_clause 0x1
	s_load_b256 s[48:55], s[26:27], 0x4
	s_load_b128 s[64:67], s[26:27], 0x24
	s_load_b256 s[56:63], s[2:3], 0x0
	s_add_u32 s26, s26, 48
	s_addc_u32 s27, s27, 0
	s_add_i32 s44, s44, 4
	s_add_u32 s2, s2, 32
	s_addc_u32 s3, s3, 0
	s_cmp_lg_u32 s40, s44
	s_waitcnt lgkmcnt(0)
	v_mul_hi_u32 v5, s49, v2
	s_delay_alu instid0(VALU_DEP_1) | instskip(NEXT) | instid1(VALU_DEP_1)
	v_add_nc_u32_e32 v5, v2, v5
	v_lshrrev_b32_e32 v5, s50, v5
	s_delay_alu instid0(VALU_DEP_1) | instskip(SKIP_1) | instid1(VALU_DEP_2)
	v_mul_hi_u32 v6, s52, v5
	v_mul_lo_u32 v8, v5, s48
	v_add_nc_u32_e32 v6, v5, v6
	s_delay_alu instid0(VALU_DEP_2) | instskip(NEXT) | instid1(VALU_DEP_2)
	v_sub_nc_u32_e32 v2, v2, v8
	v_lshrrev_b32_e32 v6, s53, v6
	s_delay_alu instid0(VALU_DEP_2) | instskip(SKIP_1) | instid1(VALU_DEP_3)
	v_mul_lo_u32 v8, v2, s56
	v_mul_lo_u32 v10, v2, s57
	v_mul_hi_u32 v7, s55, v6
	s_delay_alu instid0(VALU_DEP_1) | instskip(NEXT) | instid1(VALU_DEP_1)
	v_add_nc_u32_e32 v7, v6, v7
	v_lshrrev_b32_e32 v7, s64, v7
	s_delay_alu instid0(VALU_DEP_1) | instskip(SKIP_1) | instid1(VALU_DEP_2)
	v_mul_hi_u32 v9, s66, v7
	v_mul_lo_u32 v11, v7, s54
	v_add_nc_u32_e32 v2, v7, v9
	v_mul_lo_u32 v9, v6, s51
	s_delay_alu instid0(VALU_DEP_3) | instskip(NEXT) | instid1(VALU_DEP_3)
	v_sub_nc_u32_e32 v6, v6, v11
	v_lshrrev_b32_e32 v2, s67, v2
	s_delay_alu instid0(VALU_DEP_2) | instskip(SKIP_2) | instid1(VALU_DEP_4)
	v_mul_lo_u32 v11, v6, s60
	v_mul_lo_u32 v6, v6, s61
	v_sub_nc_u32_e32 v5, v5, v9
	v_mul_lo_u32 v12, v2, s65
	s_delay_alu instid0(VALU_DEP_2) | instskip(SKIP_1) | instid1(VALU_DEP_3)
	v_mul_lo_u32 v9, v5, s58
	v_mul_lo_u32 v5, v5, s59
	v_sub_nc_u32_e32 v7, v7, v12
	s_delay_alu instid0(VALU_DEP_3) | instskip(NEXT) | instid1(VALU_DEP_2)
	v_add3_u32 v0, v8, v0, v9
	v_mul_lo_u32 v12, v7, s62
	v_mul_lo_u32 v7, v7, s63
	v_add3_u32 v1, v10, v1, v5
	s_delay_alu instid0(VALU_DEP_3) | instskip(NEXT) | instid1(VALU_DEP_2)
	v_add3_u32 v0, v11, v0, v12
	v_add3_u32 v1, v6, v1, v7
	s_cbranch_scc1 .LBB24_6
	s_branch .LBB24_9
.LBB24_7:
	s_mov_b32 s39, -1
                                        ; implicit-def: $vgpr0
                                        ; implicit-def: $vgpr1
	s_branch .LBB24_12
.LBB24_8:
	v_dual_mov_b32 v2, v4 :: v_dual_mov_b32 v1, 0
.LBB24_9:
	s_and_b32 s43, s43, 3
	s_delay_alu instid0(SALU_CYCLE_1)
	s_cmp_eq_u32 s43, 0
	s_cbranch_scc1 .LBB24_12
; %bb.10:
	s_lshl_b32 s2, s40, 3
	s_mul_i32 s26, s40, 12
	s_add_u32 s2, s2, s20
	s_addc_u32 s3, s21, 0
	s_add_u32 s2, s2, 0xc4
	s_addc_u32 s3, s3, 0
	;; [unrolled: 2-line block ×3, first 2 shown]
	.p2align	6
.LBB24_11:                              ; =>This Inner Loop Header: Depth=1
	s_clause 0x1
	s_load_b64 s[44:45], s[26:27], 0x4
	s_load_b32 s40, s[26:27], 0xc
	s_load_b64 s[46:47], s[2:3], 0x0
	s_add_u32 s26, s26, 12
	s_addc_u32 s27, s27, 0
	s_add_u32 s2, s2, 8
	s_addc_u32 s3, s3, 0
	s_add_i32 s43, s43, -1
	s_delay_alu instid0(SALU_CYCLE_1) | instskip(SKIP_2) | instid1(VALU_DEP_1)
	s_cmp_lg_u32 s43, 0
	s_waitcnt lgkmcnt(0)
	v_mul_hi_u32 v5, s45, v2
	v_add_nc_u32_e32 v5, v2, v5
	s_delay_alu instid0(VALU_DEP_1) | instskip(NEXT) | instid1(VALU_DEP_1)
	v_lshrrev_b32_e32 v8, s40, v5
	v_mul_lo_u32 v5, v8, s44
	s_delay_alu instid0(VALU_DEP_1) | instskip(NEXT) | instid1(VALU_DEP_1)
	v_sub_nc_u32_e32 v2, v2, v5
	v_mad_u64_u32 v[5:6], null, v2, s46, v[0:1]
	v_mad_u64_u32 v[6:7], null, v2, s47, v[1:2]
	v_mov_b32_e32 v2, v8
	s_delay_alu instid0(VALU_DEP_2)
	v_dual_mov_b32 v0, v5 :: v_dual_mov_b32 v1, v6
	s_cbranch_scc1 .LBB24_11
.LBB24_12:
	s_and_not1_b32 vcc_lo, exec_lo, s39
	s_cbranch_vccnz .LBB24_15
; %bb.13:
	v_mul_hi_u32 v0, s17, v4
	s_and_not1_b32 vcc_lo, exec_lo, s35
	s_delay_alu instid0(VALU_DEP_1) | instskip(NEXT) | instid1(VALU_DEP_1)
	v_add_nc_u32_e32 v0, v4, v0
	v_lshrrev_b32_e32 v2, s18, v0
	s_delay_alu instid0(VALU_DEP_1) | instskip(NEXT) | instid1(VALU_DEP_1)
	v_mul_lo_u32 v0, v2, s16
	v_sub_nc_u32_e32 v1, v4, v0
	s_delay_alu instid0(VALU_DEP_1)
	v_mul_lo_u32 v0, v1, s12
	v_mul_lo_u32 v1, v1, s13
	s_cbranch_vccnz .LBB24_15
; %bb.14:
	v_mul_hi_u32 v5, s22, v2
	s_delay_alu instid0(VALU_DEP_1) | instskip(NEXT) | instid1(VALU_DEP_1)
	v_add_nc_u32_e32 v5, v2, v5
	v_lshrrev_b32_e32 v5, s23, v5
	s_delay_alu instid0(VALU_DEP_1) | instskip(NEXT) | instid1(VALU_DEP_1)
	v_mul_lo_u32 v5, v5, s19
	v_sub_nc_u32_e32 v2, v2, v5
	s_delay_alu instid0(VALU_DEP_1) | instskip(SKIP_1) | instid1(VALU_DEP_1)
	v_mad_u64_u32 v[5:6], null, v2, s14, v[0:1]
	v_mad_u64_u32 v[6:7], null, v2, s15, v[1:2]
	v_dual_mov_b32 v0, v5 :: v_dual_mov_b32 v1, v6
.LBB24_15:
	v_cmp_gt_i16_e32 vcc_lo, 11, v3
	s_delay_alu instid0(VALU_DEP_2) | instskip(NEXT) | instid1(VALU_DEP_1)
	v_add_co_u32 v1, s2, s6, v1
	v_add_co_ci_u32_e64 v2, null, s7, 0, s2
	s_mov_b32 s3, 0
	s_cbranch_vccnz .LBB24_22
; %bb.16:
	v_cmp_lt_i16_e32 vcc_lo, 25, v3
	s_cbranch_vccz .LBB24_143
; %bb.17:
	v_cmp_lt_i16_e32 vcc_lo, 28, v3
	s_cbranch_vccz .LBB24_144
; %bb.18:
	v_cmp_lt_i16_e32 vcc_lo, 43, v3
	s_cbranch_vccz .LBB24_145
; %bb.19:
	v_cmp_lt_i16_e32 vcc_lo, 45, v3
	s_cbranch_vccz .LBB24_146
; %bb.20:
	v_cmp_eq_u16_e32 vcc_lo, 46, v3
	s_mov_b32 s26, 0
	s_cbranch_vccz .LBB24_147
; %bb.21:
	global_load_b32 v5, v[1:2], off
	s_mov_b32 s2, -1
	s_waitcnt vmcnt(0)
	v_lshlrev_b32_e32 v5, 16, v5
	s_delay_alu instid0(VALU_DEP_1)
	v_cvt_f16_f32_e32 v6, v5
	s_branch .LBB24_149
.LBB24_22:
	s_mov_b32 s2, 0
                                        ; implicit-def: $vgpr6
	s_cbranch_execnz .LBB24_215
.LBB24_23:
	s_and_not1_b32 vcc_lo, exec_lo, s2
	s_cbranch_vccnz .LBB24_262
.LBB24_24:
	s_waitcnt vmcnt(0)
	s_delay_alu instid0(VALU_DEP_1) | instskip(SKIP_1) | instid1(VALU_DEP_1)
	v_cvt_f32_f16_e32 v1, v6
	s_mov_b32 s2, exec_lo
	v_cmpx_nlg_f32_e64 0x7f800000, |v1|
	s_cbranch_execz .LBB24_26
; %bb.25:
	v_dual_mov_b32 v2, 0 :: v_dual_mov_b32 v5, 1.0
	global_store_b32 v2, v5, s[8:9]
.LBB24_26:
	s_or_b32 exec_lo, exec_lo, s2
	v_mov_b32_e32 v2, 0
	v_and_b32_e64 v5, 0xff, s34
	v_add_co_u32 v0, s2, s4, v0
	s_mov_b32 s26, 0
	global_load_b32 v2, v2, s[10:11]
	v_cmp_gt_i16_e32 vcc_lo, 11, v5
	s_mov_b32 s27, -1
	s_and_b32 vcc_lo, exec_lo, vcc_lo
	s_waitcnt vmcnt(0)
	v_fma_mixlo_f16 v7, v2, v1, 0
	v_add_co_ci_u32_e64 v1, null, s5, 0, s2
	v_cmp_eq_f32_e64 s2, 1.0, v2
	s_delay_alu instid0(VALU_DEP_1)
	v_cndmask_b32_e64 v2, v7, v6, s2
	s_mov_b32 s2, 0
	s_cbranch_vccnz .LBB24_103
; %bb.27:
	v_cmp_lt_i16_e32 vcc_lo, 25, v5
	s_cbranch_vccz .LBB24_60
; %bb.28:
	v_cmp_lt_i16_e32 vcc_lo, 28, v5
	s_cbranch_vccz .LBB24_43
	;; [unrolled: 3-line block ×4, first 2 shown]
; %bb.31:
	v_cmp_eq_u16_e32 vcc_lo, 46, v5
	s_mov_b32 s27, 0
	s_mov_b32 s26, -1
	s_cbranch_vccz .LBB24_33
; %bb.32:
	v_cvt_f32_f16_e32 v6, v2
	v_cmp_o_f16_e32 vcc_lo, v2, v2
	s_mov_b32 s2, -1
	s_mov_b32 s26, 0
	s_delay_alu instid0(VALU_DEP_2) | instskip(NEXT) | instid1(VALU_DEP_1)
	v_bfe_u32 v7, v6, 16, 1
	v_add3_u32 v6, v6, v7, 0x7fff
	s_delay_alu instid0(VALU_DEP_1) | instskip(NEXT) | instid1(VALU_DEP_1)
	v_lshrrev_b32_e32 v6, 16, v6
	v_cndmask_b32_e32 v6, 0x7fc0, v6, vcc_lo
	global_store_b32 v[0:1], v6, off
.LBB24_33:
	s_and_b32 vcc_lo, exec_lo, s27
	s_cbranch_vccz .LBB24_38
; %bb.34:
	v_cmp_eq_u16_e32 vcc_lo, 44, v5
	s_mov_b32 s26, -1
	s_cbranch_vccz .LBB24_38
; %bb.35:
	v_cvt_f32_f16_e32 v6, v2
	v_mov_b32_e32 v7, 0xff
	s_mov_b32 s26, exec_lo
	s_delay_alu instid0(VALU_DEP_2) | instskip(NEXT) | instid1(VALU_DEP_1)
	v_bfe_u32 v8, v6, 23, 8
	v_cmpx_ne_u32_e32 0xff, v8
; %bb.36:
	v_and_b32_e32 v7, 0x400000, v6
	v_and_or_b32 v8, 0x3fffff, v6, v8
	v_lshrrev_b32_e32 v6, 23, v6
	s_delay_alu instid0(VALU_DEP_3) | instskip(NEXT) | instid1(VALU_DEP_3)
	v_cmp_ne_u32_e32 vcc_lo, 0, v7
	v_cmp_ne_u32_e64 s2, 0, v8
	s_delay_alu instid0(VALU_DEP_1) | instskip(NEXT) | instid1(SALU_CYCLE_1)
	s_and_b32 s2, vcc_lo, s2
	v_cndmask_b32_e64 v7, 0, 1, s2
	s_delay_alu instid0(VALU_DEP_1)
	v_add_nc_u32_e32 v7, v6, v7
; %bb.37:
	s_or_b32 exec_lo, exec_lo, s26
	s_mov_b32 s2, -1
	s_mov_b32 s26, 0
	global_store_b8 v[0:1], v7, off
.LBB24_38:
	s_mov_b32 s27, 0
.LBB24_39:
	s_delay_alu instid0(SALU_CYCLE_1)
	s_and_b32 vcc_lo, exec_lo, s27
	s_cbranch_vccz .LBB24_42
; %bb.40:
	v_cmp_eq_u16_e32 vcc_lo, 29, v5
	s_mov_b32 s26, -1
	s_cbranch_vccz .LBB24_42
; %bb.41:
	v_cvt_f32_f16_e32 v6, v2
	v_mov_b32_e32 v7, 0
	s_mov_b32 s26, 0
	s_mov_b32 s2, -1
	s_delay_alu instid0(VALU_DEP_2)
	v_cvt_u32_f32_e32 v6, v6
	global_store_b64 v[0:1], v[6:7], off
.LBB24_42:
	s_mov_b32 s27, 0
.LBB24_43:
	s_delay_alu instid0(SALU_CYCLE_1)
	s_and_b32 vcc_lo, exec_lo, s27
	s_cbranch_vccz .LBB24_59
; %bb.44:
	v_cmp_gt_i16_e32 vcc_lo, 27, v5
	s_mov_b32 s2, -1
	s_cbranch_vccnz .LBB24_50
; %bb.45:
	v_cmp_lt_i16_e32 vcc_lo, 27, v5
	s_cbranch_vccz .LBB24_47
; %bb.46:
	v_cvt_f32_f16_e32 v6, v2
	s_mov_b32 s2, 0
	s_delay_alu instid0(VALU_DEP_1)
	v_cvt_u32_f32_e32 v6, v6
	global_store_b32 v[0:1], v6, off
.LBB24_47:
	s_and_not1_b32 vcc_lo, exec_lo, s2
	s_cbranch_vccnz .LBB24_49
; %bb.48:
	v_cvt_u16_f16_e32 v6, v2
	global_store_b16 v[0:1], v6, off
.LBB24_49:
	s_mov_b32 s2, 0
.LBB24_50:
	s_delay_alu instid0(SALU_CYCLE_1)
	s_and_not1_b32 vcc_lo, exec_lo, s2
	s_cbranch_vccnz .LBB24_58
; %bb.51:
	v_cvt_f32_f16_e32 v6, v2
	v_mov_b32_e32 v8, 0x80
	s_mov_b32 s2, exec_lo
	s_delay_alu instid0(VALU_DEP_2) | instskip(NEXT) | instid1(VALU_DEP_1)
	v_and_b32_e32 v7, 0x7fffffff, v6
	v_cmpx_gt_u32_e32 0x43800000, v7
	s_cbranch_execz .LBB24_57
; %bb.52:
	v_cmp_lt_u32_e32 vcc_lo, 0x3bffffff, v7
	s_mov_b32 s27, 0
                                        ; implicit-def: $vgpr7
	s_and_saveexec_b32 s39, vcc_lo
	s_delay_alu instid0(SALU_CYCLE_1)
	s_xor_b32 s39, exec_lo, s39
	s_cbranch_execz .LBB24_152
; %bb.53:
	v_bfe_u32 v7, v6, 20, 1
	s_mov_b32 s27, exec_lo
	s_delay_alu instid0(VALU_DEP_1) | instskip(NEXT) | instid1(VALU_DEP_1)
	v_add3_u32 v7, v6, v7, 0x487ffff
	v_lshrrev_b32_e32 v7, 20, v7
	s_or_saveexec_b32 s39, s39
                                        ; implicit-def: $sgpr40
	s_delay_alu instid0(SALU_CYCLE_1)
	s_xor_b32 exec_lo, exec_lo, s39
	s_cbranch_execnz .LBB24_153
.LBB24_54:
	s_or_b32 exec_lo, exec_lo, s39
	v_mov_b32_e32 v8, s40
	s_and_saveexec_b32 s39, s27
.LBB24_55:
	v_lshrrev_b32_e32 v6, 24, v6
	s_delay_alu instid0(VALU_DEP_1)
	v_and_or_b32 v8, 0x80, v6, v7
.LBB24_56:
	s_or_b32 exec_lo, exec_lo, s39
.LBB24_57:
	s_delay_alu instid0(SALU_CYCLE_1)
	s_or_b32 exec_lo, exec_lo, s2
	global_store_b8 v[0:1], v8, off
.LBB24_58:
	s_mov_b32 s2, -1
.LBB24_59:
	s_mov_b32 s27, 0
.LBB24_60:
	s_delay_alu instid0(SALU_CYCLE_1)
	s_and_b32 vcc_lo, exec_lo, s27
	s_cbranch_vccz .LBB24_101
; %bb.61:
	v_cmp_lt_i16_e32 vcc_lo, 22, v5
	s_mov_b32 s27, -1
	s_cbranch_vccz .LBB24_93
; %bb.62:
	v_cmp_gt_i16_e32 vcc_lo, 24, v5
	s_mov_b32 s2, -1
	s_cbranch_vccnz .LBB24_82
; %bb.63:
	v_cmp_lt_i16_e32 vcc_lo, 24, v5
	s_cbranch_vccz .LBB24_71
; %bb.64:
	v_cvt_f32_f16_e32 v6, v2
	v_mov_b32_e32 v8, 0x80
	s_mov_b32 s2, exec_lo
	s_delay_alu instid0(VALU_DEP_2) | instskip(NEXT) | instid1(VALU_DEP_1)
	v_and_b32_e32 v7, 0x7fffffff, v6
	v_cmpx_gt_u32_e32 0x47800000, v7
	s_cbranch_execz .LBB24_70
; %bb.65:
	v_cmp_lt_u32_e32 vcc_lo, 0x37ffffff, v7
	s_mov_b32 s27, 0
                                        ; implicit-def: $vgpr7
	s_and_saveexec_b32 s39, vcc_lo
	s_delay_alu instid0(SALU_CYCLE_1)
	s_xor_b32 s39, exec_lo, s39
	s_cbranch_execz .LBB24_345
; %bb.66:
	v_bfe_u32 v7, v6, 21, 1
	s_mov_b32 s27, exec_lo
	s_delay_alu instid0(VALU_DEP_1) | instskip(NEXT) | instid1(VALU_DEP_1)
	v_add3_u32 v7, v6, v7, 0x88fffff
	v_lshrrev_b32_e32 v7, 21, v7
	s_or_saveexec_b32 s39, s39
                                        ; implicit-def: $sgpr40
	s_delay_alu instid0(SALU_CYCLE_1)
	s_xor_b32 exec_lo, exec_lo, s39
	s_cbranch_execnz .LBB24_346
.LBB24_67:
	s_or_b32 exec_lo, exec_lo, s39
	v_mov_b32_e32 v8, s40
	s_and_saveexec_b32 s39, s27
.LBB24_68:
	v_lshrrev_b32_e32 v6, 24, v6
	s_delay_alu instid0(VALU_DEP_1)
	v_and_or_b32 v8, 0x80, v6, v7
.LBB24_69:
	s_or_b32 exec_lo, exec_lo, s39
.LBB24_70:
	s_delay_alu instid0(SALU_CYCLE_1)
	s_or_b32 exec_lo, exec_lo, s2
	s_mov_b32 s2, 0
	global_store_b8 v[0:1], v8, off
.LBB24_71:
	s_and_b32 vcc_lo, exec_lo, s2
	s_cbranch_vccz .LBB24_81
; %bb.72:
	v_cvt_f32_f16_e32 v6, v2
	s_mov_b32 s2, exec_lo
                                        ; implicit-def: $vgpr7
	s_delay_alu instid0(VALU_DEP_1) | instskip(NEXT) | instid1(VALU_DEP_1)
	v_and_b32_e32 v8, 0x7fffffff, v6
	v_cmpx_gt_u32_e32 0x43f00000, v8
	s_xor_b32 s2, exec_lo, s2
	s_cbranch_execz .LBB24_78
; %bb.73:
	s_mov_b32 s27, exec_lo
                                        ; implicit-def: $vgpr7
	v_cmpx_lt_u32_e32 0x3c7fffff, v8
	s_xor_b32 s27, exec_lo, s27
; %bb.74:
	v_bfe_u32 v7, v6, 20, 1
	s_delay_alu instid0(VALU_DEP_1) | instskip(NEXT) | instid1(VALU_DEP_1)
	v_add3_u32 v7, v6, v7, 0x407ffff
	v_and_b32_e32 v8, 0xff00000, v7
	v_lshrrev_b32_e32 v7, 20, v7
	s_delay_alu instid0(VALU_DEP_2) | instskip(NEXT) | instid1(VALU_DEP_2)
	v_cmp_ne_u32_e32 vcc_lo, 0x7f00000, v8
	v_cndmask_b32_e32 v7, 0x7e, v7, vcc_lo
; %bb.75:
	s_and_not1_saveexec_b32 s27, s27
; %bb.76:
	v_add_f32_e64 v7, 0x46800000, |v6|
; %bb.77:
	s_or_b32 exec_lo, exec_lo, s27
                                        ; implicit-def: $vgpr8
.LBB24_78:
	s_and_not1_saveexec_b32 s2, s2
; %bb.79:
	v_mov_b32_e32 v7, 0x7f
	v_cmp_lt_u32_e32 vcc_lo, 0x7f800000, v8
	s_delay_alu instid0(VALU_DEP_2)
	v_cndmask_b32_e32 v7, 0x7e, v7, vcc_lo
; %bb.80:
	s_or_b32 exec_lo, exec_lo, s2
	v_lshrrev_b32_e32 v6, 24, v6
	s_delay_alu instid0(VALU_DEP_1)
	v_and_or_b32 v6, 0x80, v6, v7
	global_store_b8 v[0:1], v6, off
.LBB24_81:
	s_mov_b32 s2, 0
.LBB24_82:
	s_delay_alu instid0(SALU_CYCLE_1)
	s_and_not1_b32 vcc_lo, exec_lo, s2
	s_cbranch_vccnz .LBB24_92
; %bb.83:
	v_cvt_f32_f16_e32 v6, v2
	s_mov_b32 s2, exec_lo
                                        ; implicit-def: $vgpr7
	s_delay_alu instid0(VALU_DEP_1) | instskip(NEXT) | instid1(VALU_DEP_1)
	v_and_b32_e32 v8, 0x7fffffff, v6
	v_cmpx_gt_u32_e32 0x47800000, v8
	s_xor_b32 s2, exec_lo, s2
	s_cbranch_execz .LBB24_89
; %bb.84:
	s_mov_b32 s27, exec_lo
                                        ; implicit-def: $vgpr7
	v_cmpx_lt_u32_e32 0x387fffff, v8
	s_xor_b32 s27, exec_lo, s27
; %bb.85:
	v_bfe_u32 v7, v6, 21, 1
	s_delay_alu instid0(VALU_DEP_1) | instskip(NEXT) | instid1(VALU_DEP_1)
	v_add3_u32 v7, v6, v7, 0x80fffff
	v_lshrrev_b32_e32 v7, 21, v7
; %bb.86:
	s_and_not1_saveexec_b32 s27, s27
; %bb.87:
	v_add_f32_e64 v7, 0x43000000, |v6|
; %bb.88:
	s_or_b32 exec_lo, exec_lo, s27
                                        ; implicit-def: $vgpr8
.LBB24_89:
	s_and_not1_saveexec_b32 s2, s2
; %bb.90:
	v_mov_b32_e32 v7, 0x7f
	v_cmp_lt_u32_e32 vcc_lo, 0x7f800000, v8
	s_delay_alu instid0(VALU_DEP_2)
	v_cndmask_b32_e32 v7, 0x7c, v7, vcc_lo
; %bb.91:
	s_or_b32 exec_lo, exec_lo, s2
	v_lshrrev_b32_e32 v6, 24, v6
	s_delay_alu instid0(VALU_DEP_1)
	v_and_or_b32 v6, 0x80, v6, v7
	global_store_b8 v[0:1], v6, off
.LBB24_92:
	s_mov_b32 s27, 0
	s_mov_b32 s2, -1
.LBB24_93:
	s_and_not1_b32 vcc_lo, exec_lo, s27
	s_cbranch_vccnz .LBB24_101
; %bb.94:
	v_cmp_lt_i16_e32 vcc_lo, 14, v5
	s_mov_b32 s27, -1
	s_cbranch_vccz .LBB24_98
; %bb.95:
	v_cmp_eq_u16_e32 vcc_lo, 15, v5
	s_mov_b32 s26, -1
	s_cbranch_vccz .LBB24_97
; %bb.96:
	v_cvt_f32_f16_e32 v6, v2
	v_cmp_o_f16_e32 vcc_lo, v2, v2
	s_mov_b32 s2, -1
	s_mov_b32 s26, 0
	s_delay_alu instid0(VALU_DEP_2) | instskip(NEXT) | instid1(VALU_DEP_1)
	v_bfe_u32 v7, v6, 16, 1
	v_add3_u32 v6, v6, v7, 0x7fff
	s_delay_alu instid0(VALU_DEP_1) | instskip(NEXT) | instid1(VALU_DEP_1)
	v_lshrrev_b32_e32 v6, 16, v6
	v_cndmask_b32_e32 v6, 0x7fc0, v6, vcc_lo
	global_store_b16 v[0:1], v6, off
.LBB24_97:
	s_mov_b32 s27, 0
.LBB24_98:
	s_delay_alu instid0(SALU_CYCLE_1)
	s_and_b32 vcc_lo, exec_lo, s27
	s_cbranch_vccz .LBB24_101
; %bb.99:
	v_cmp_eq_u16_e32 vcc_lo, 11, v5
	s_mov_b32 s26, -1
	s_cbranch_vccz .LBB24_101
; %bb.100:
	v_cmp_neq_f16_e32 vcc_lo, 0, v2
	s_mov_b32 s26, 0
	s_mov_b32 s2, -1
	v_cndmask_b32_e64 v6, 0, 1, vcc_lo
	global_store_b8 v[0:1], v6, off
.LBB24_101:
.LBB24_102:
	s_and_not1_b32 vcc_lo, exec_lo, s2
	s_cbranch_vccz .LBB24_142
	s_branch .LBB24_263
.LBB24_103:
	s_and_b32 vcc_lo, exec_lo, s27
	s_cbranch_vccz .LBB24_102
; %bb.104:
	v_cmp_gt_i16_e32 vcc_lo, 5, v5
	s_mov_b32 s2, -1
	s_cbranch_vccnz .LBB24_125
; %bb.105:
	v_cmp_gt_i16_e32 vcc_lo, 8, v5
	s_cbranch_vccnz .LBB24_115
; %bb.106:
	v_cmp_gt_i16_e32 vcc_lo, 9, v5
	s_cbranch_vccnz .LBB24_112
; %bb.107:
	v_cmp_lt_i16_e32 vcc_lo, 9, v5
	s_cbranch_vccz .LBB24_109
; %bb.108:
	v_cvt_f32_f16_e32 v6, v2
	v_mov_b32_e32 v8, 0
	s_mov_b32 s2, 0
	s_delay_alu instid0(VALU_DEP_2) | instskip(NEXT) | instid1(VALU_DEP_2)
	v_cvt_f64_f32_e32 v[6:7], v6
	v_mov_b32_e32 v9, v8
	global_store_b128 v[0:1], v[6:9], off
.LBB24_109:
	s_and_not1_b32 vcc_lo, exec_lo, s2
	s_cbranch_vccnz .LBB24_111
; %bb.110:
	v_cvt_f32_f16_e32 v6, v2
	v_mov_b32_e32 v7, 0
	global_store_b64 v[0:1], v[6:7], off
.LBB24_111:
	s_mov_b32 s2, 0
.LBB24_112:
	s_delay_alu instid0(SALU_CYCLE_1)
	s_and_not1_b32 vcc_lo, exec_lo, s2
	s_cbranch_vccnz .LBB24_114
; %bb.113:
	v_and_b32_e32 v6, 0xffff, v2
	global_store_b32 v[0:1], v6, off
.LBB24_114:
	s_mov_b32 s2, 0
.LBB24_115:
	s_delay_alu instid0(SALU_CYCLE_1)
	s_and_not1_b32 vcc_lo, exec_lo, s2
	s_cbranch_vccnz .LBB24_124
; %bb.116:
	v_cmp_gt_i16_e32 vcc_lo, 6, v5
	s_mov_b32 s2, -1
	s_cbranch_vccnz .LBB24_122
; %bb.117:
	v_cmp_lt_i16_e32 vcc_lo, 6, v5
	s_cbranch_vccz .LBB24_119
; %bb.118:
	v_cvt_f32_f16_e32 v6, v2
	s_mov_b32 s2, 0
	s_delay_alu instid0(VALU_DEP_1)
	v_cvt_f64_f32_e32 v[6:7], v6
	global_store_b64 v[0:1], v[6:7], off
.LBB24_119:
	s_and_not1_b32 vcc_lo, exec_lo, s2
	s_cbranch_vccnz .LBB24_121
; %bb.120:
	v_cvt_f32_f16_e32 v6, v2
	global_store_b32 v[0:1], v6, off
.LBB24_121:
	s_mov_b32 s2, 0
.LBB24_122:
	s_delay_alu instid0(SALU_CYCLE_1)
	s_and_not1_b32 vcc_lo, exec_lo, s2
	s_cbranch_vccnz .LBB24_124
; %bb.123:
	global_store_b16 v[0:1], v2, off
.LBB24_124:
	s_mov_b32 s2, 0
.LBB24_125:
	s_delay_alu instid0(SALU_CYCLE_1)
	s_and_not1_b32 vcc_lo, exec_lo, s2
	s_cbranch_vccnz .LBB24_141
; %bb.126:
	v_cmp_gt_i16_e32 vcc_lo, 2, v5
	s_mov_b32 s2, -1
	s_cbranch_vccnz .LBB24_136
; %bb.127:
	v_cmp_gt_i16_e32 vcc_lo, 3, v5
	s_cbranch_vccnz .LBB24_133
; %bb.128:
	v_cmp_lt_i16_e32 vcc_lo, 3, v5
	s_cbranch_vccz .LBB24_130
; %bb.129:
	v_cvt_f32_f16_e32 v6, v2
	s_mov_b32 s2, 0
	s_delay_alu instid0(VALU_DEP_1) | instskip(NEXT) | instid1(VALU_DEP_1)
	v_cvt_i32_f32_e32 v6, v6
	v_ashrrev_i32_e32 v7, 31, v6
	global_store_b64 v[0:1], v[6:7], off
.LBB24_130:
	s_and_not1_b32 vcc_lo, exec_lo, s2
	s_cbranch_vccnz .LBB24_132
; %bb.131:
	v_cvt_f32_f16_e32 v6, v2
	s_delay_alu instid0(VALU_DEP_1)
	v_cvt_i32_f32_e32 v6, v6
	global_store_b32 v[0:1], v6, off
.LBB24_132:
	s_mov_b32 s2, 0
.LBB24_133:
	s_delay_alu instid0(SALU_CYCLE_1)
	s_and_not1_b32 vcc_lo, exec_lo, s2
	s_cbranch_vccnz .LBB24_135
; %bb.134:
	v_cvt_i16_f16_e32 v6, v2
	global_store_b16 v[0:1], v6, off
.LBB24_135:
	s_mov_b32 s2, 0
.LBB24_136:
	s_delay_alu instid0(SALU_CYCLE_1)
	s_and_not1_b32 vcc_lo, exec_lo, s2
	s_cbranch_vccnz .LBB24_141
; %bb.137:
	v_cmp_lt_i16_e32 vcc_lo, 0, v5
	s_mov_b32 s2, -1
	s_cbranch_vccz .LBB24_139
; %bb.138:
	v_cvt_i16_f16_e32 v5, v2
	s_mov_b32 s2, 0
	global_store_b8 v[0:1], v5, off
.LBB24_139:
	s_and_not1_b32 vcc_lo, exec_lo, s2
	s_cbranch_vccnz .LBB24_141
; %bb.140:
	v_cvt_f32_f16_e32 v2, v2
	s_delay_alu instid0(VALU_DEP_1)
	v_cvt_i32_f32_e32 v2, v2
	global_store_b8 v[0:1], v2, off
.LBB24_141:
.LBB24_142:
	v_add_nc_u32_e32 v4, 0x80, v4
	s_mov_b32 s2, -1
	s_branch .LBB24_264
.LBB24_143:
	s_mov_b32 s2, 0
                                        ; implicit-def: $vgpr6
	s_cbranch_execnz .LBB24_180
	s_branch .LBB24_214
.LBB24_144:
	s_mov_b32 s26, -1
	s_mov_b32 s2, 0
                                        ; implicit-def: $vgpr6
	s_branch .LBB24_161
.LBB24_145:
	s_mov_b32 s26, -1
	s_mov_b32 s2, 0
                                        ; implicit-def: $vgpr6
	s_branch .LBB24_156
.LBB24_146:
	s_mov_b32 s26, -1
	s_branch .LBB24_148
.LBB24_147:
	s_mov_b32 s3, -1
.LBB24_148:
	s_mov_b32 s2, 0
                                        ; implicit-def: $vgpr6
.LBB24_149:
	s_and_b32 vcc_lo, exec_lo, s26
	s_cbranch_vccz .LBB24_155
; %bb.150:
	v_cmp_eq_u16_e32 vcc_lo, 44, v3
	s_cbranch_vccz .LBB24_154
; %bb.151:
	global_load_u8 v5, v[1:2], off
	s_mov_b32 s3, 0
	s_mov_b32 s2, -1
	s_waitcnt vmcnt(0)
	v_lshlrev_b32_e32 v6, 23, v5
	v_cmp_ne_u32_e32 vcc_lo, 0xff, v5
	s_delay_alu instid0(VALU_DEP_2) | instskip(NEXT) | instid1(VALU_DEP_1)
	v_cvt_f16_f32_e32 v6, v6
	v_cndmask_b32_e32 v6, 0x7e00, v6, vcc_lo
	v_cmp_ne_u32_e32 vcc_lo, 0, v5
	s_delay_alu instid0(VALU_DEP_2)
	v_cndmask_b32_e32 v6, 0, v6, vcc_lo
	s_branch .LBB24_155
.LBB24_152:
	s_or_saveexec_b32 s39, s39
                                        ; implicit-def: $sgpr40
	s_delay_alu instid0(SALU_CYCLE_1)
	s_xor_b32 exec_lo, exec_lo, s39
	s_cbranch_execz .LBB24_54
.LBB24_153:
	v_add_f32_e64 v7, 0x46000000, |v6|
	s_and_not1_b32 s27, s27, exec_lo
	s_mov_b32 s40, 0
	s_delay_alu instid0(VALU_DEP_1) | instskip(NEXT) | instid1(VALU_DEP_1)
	v_and_b32_e32 v7, 0xff, v7
	v_cmp_ne_u32_e32 vcc_lo, 0, v7
	s_and_b32 s43, vcc_lo, exec_lo
	s_delay_alu instid0(SALU_CYCLE_1)
	s_or_b32 s27, s27, s43
	s_or_b32 exec_lo, exec_lo, s39
	v_mov_b32_e32 v8, s40
	s_and_saveexec_b32 s39, s27
	s_cbranch_execnz .LBB24_55
	s_branch .LBB24_56
.LBB24_154:
	s_mov_b32 s3, -1
                                        ; implicit-def: $vgpr6
.LBB24_155:
	s_mov_b32 s26, 0
.LBB24_156:
	s_delay_alu instid0(SALU_CYCLE_1)
	s_and_b32 vcc_lo, exec_lo, s26
	s_cbranch_vccz .LBB24_160
; %bb.157:
	v_cmp_eq_u16_e32 vcc_lo, 29, v3
	s_cbranch_vccz .LBB24_159
; %bb.158:
	global_load_b64 v[5:6], v[1:2], off
	s_mov_b32 s2, -1
	s_mov_b32 s3, 0
	s_mov_b32 s26, 0
	s_waitcnt vmcnt(0)
	v_clz_i32_u32_e32 v7, v6
	s_delay_alu instid0(VALU_DEP_1) | instskip(NEXT) | instid1(VALU_DEP_1)
	v_min_u32_e32 v7, 32, v7
	v_lshlrev_b64 v[5:6], v7, v[5:6]
	s_delay_alu instid0(VALU_DEP_1) | instskip(NEXT) | instid1(VALU_DEP_1)
	v_min_u32_e32 v5, 1, v5
	v_or_b32_e32 v5, v6, v5
	v_sub_nc_u32_e32 v6, 32, v7
	s_delay_alu instid0(VALU_DEP_2) | instskip(NEXT) | instid1(VALU_DEP_1)
	v_cvt_f32_u32_e32 v5, v5
	v_ldexp_f32 v5, v5, v6
	s_delay_alu instid0(VALU_DEP_1)
	v_cvt_f16_f32_e32 v6, v5
	s_branch .LBB24_161
.LBB24_159:
	s_mov_b32 s3, -1
                                        ; implicit-def: $vgpr6
.LBB24_160:
	s_mov_b32 s26, 0
.LBB24_161:
	s_delay_alu instid0(SALU_CYCLE_1)
	s_and_b32 vcc_lo, exec_lo, s26
	s_cbranch_vccz .LBB24_179
; %bb.162:
	v_cmp_gt_i16_e32 vcc_lo, 27, v3
	s_cbranch_vccnz .LBB24_165
; %bb.163:
	v_cmp_lt_i16_e32 vcc_lo, 27, v3
	s_cbranch_vccz .LBB24_166
; %bb.164:
	global_load_b32 v5, v[1:2], off
	s_mov_b32 s2, 0
	s_waitcnt vmcnt(0)
	v_cvt_f32_u32_e32 v5, v5
	s_delay_alu instid0(VALU_DEP_1)
	v_cvt_f16_f32_e32 v6, v5
	s_branch .LBB24_167
.LBB24_165:
	s_mov_b32 s2, -1
                                        ; implicit-def: $vgpr6
	s_branch .LBB24_170
.LBB24_166:
	s_mov_b32 s2, -1
                                        ; implicit-def: $vgpr6
.LBB24_167:
	s_delay_alu instid0(SALU_CYCLE_1)
	s_and_not1_b32 vcc_lo, exec_lo, s2
	s_cbranch_vccnz .LBB24_169
; %bb.168:
	global_load_u16 v5, v[1:2], off
	s_waitcnt vmcnt(0)
	v_cvt_f16_u16_e32 v6, v5
.LBB24_169:
	s_mov_b32 s2, 0
.LBB24_170:
	s_delay_alu instid0(SALU_CYCLE_1)
	s_and_not1_b32 vcc_lo, exec_lo, s2
	s_cbranch_vccnz .LBB24_178
; %bb.171:
	global_load_u8 v5, v[1:2], off
	s_mov_b32 s2, 0
	s_mov_b32 s27, exec_lo
                                        ; implicit-def: $sgpr26
	s_waitcnt vmcnt(0)
	v_cmpx_lt_i16_e32 0x7f, v5
	s_xor_b32 s27, exec_lo, s27
	s_cbranch_execz .LBB24_191
; %bb.172:
	s_mov_b32 s2, -1
	s_mov_b32 s39, exec_lo
                                        ; implicit-def: $sgpr26
	v_cmpx_eq_u16_e32 0x80, v5
; %bb.173:
	s_movk_i32 s26, 0x7e00
	s_xor_b32 s2, exec_lo, -1
; %bb.174:
	s_or_b32 exec_lo, exec_lo, s39
	s_delay_alu instid0(SALU_CYCLE_1)
	s_and_b32 s2, s2, exec_lo
	s_or_saveexec_b32 s27, s27
	v_mov_b32_e32 v6, s26
	s_xor_b32 exec_lo, exec_lo, s27
	s_cbranch_execnz .LBB24_192
.LBB24_175:
	s_or_b32 exec_lo, exec_lo, s27
	s_and_saveexec_b32 s26, s2
	s_cbranch_execz .LBB24_177
.LBB24_176:
	v_and_b32_e32 v6, 0xffff, v5
	v_lshlrev_b32_e32 v5, 24, v5
	s_delay_alu instid0(VALU_DEP_2) | instskip(NEXT) | instid1(VALU_DEP_2)
	v_and_b32_e32 v7, 7, v6
	v_and_b32_e32 v5, 0x80000000, v5
	s_delay_alu instid0(VALU_DEP_2) | instskip(NEXT) | instid1(VALU_DEP_1)
	v_clz_i32_u32_e32 v8, v7
	v_min_u32_e32 v8, 32, v8
	s_delay_alu instid0(VALU_DEP_1) | instskip(SKIP_1) | instid1(VALU_DEP_2)
	v_subrev_nc_u32_e32 v9, 28, v8
	v_sub_nc_u32_e32 v8, 29, v8
	v_lshlrev_b32_e32 v9, v9, v6
	v_bfe_u32 v6, v6, 3, 4
	s_delay_alu instid0(VALU_DEP_2) | instskip(NEXT) | instid1(VALU_DEP_2)
	v_and_b32_e32 v9, 7, v9
	v_cmp_eq_u32_e32 vcc_lo, 0, v6
	s_delay_alu instid0(VALU_DEP_2) | instskip(NEXT) | instid1(VALU_DEP_1)
	v_dual_cndmask_b32 v6, v6, v8 :: v_dual_cndmask_b32 v7, v7, v9
	v_lshl_add_u32 v6, v6, 23, 0x3b800000
	s_delay_alu instid0(VALU_DEP_2) | instskip(NEXT) | instid1(VALU_DEP_1)
	v_lshlrev_b32_e32 v7, 20, v7
	v_or3_b32 v5, v5, v6, v7
	s_delay_alu instid0(VALU_DEP_1)
	v_cvt_f16_f32_e32 v6, v5
.LBB24_177:
	s_or_b32 exec_lo, exec_lo, s26
.LBB24_178:
	s_mov_b32 s2, -1
.LBB24_179:
	s_branch .LBB24_214
.LBB24_180:
	v_cmp_lt_i16_e32 vcc_lo, 22, v3
	s_cbranch_vccz .LBB24_190
; %bb.181:
	v_cmp_gt_i16_e32 vcc_lo, 24, v3
	s_cbranch_vccnz .LBB24_193
; %bb.182:
	v_cmp_lt_i16_e32 vcc_lo, 24, v3
	s_cbranch_vccz .LBB24_194
; %bb.183:
	global_load_u8 v5, v[1:2], off
	s_mov_b32 s2, 0
	s_mov_b32 s27, exec_lo
                                        ; implicit-def: $sgpr26
	s_waitcnt vmcnt(0)
	v_cmpx_lt_i16_e32 0x7f, v5
	s_xor_b32 s27, exec_lo, s27
	s_cbranch_execz .LBB24_206
; %bb.184:
	s_mov_b32 s2, -1
	s_mov_b32 s39, exec_lo
                                        ; implicit-def: $sgpr26
	v_cmpx_eq_u16_e32 0x80, v5
; %bb.185:
	s_movk_i32 s26, 0x7e00
	s_xor_b32 s2, exec_lo, -1
; %bb.186:
	s_or_b32 exec_lo, exec_lo, s39
	s_delay_alu instid0(SALU_CYCLE_1)
	s_and_b32 s2, s2, exec_lo
	s_or_saveexec_b32 s27, s27
	v_mov_b32_e32 v6, s26
	s_xor_b32 exec_lo, exec_lo, s27
	s_cbranch_execnz .LBB24_207
.LBB24_187:
	s_or_b32 exec_lo, exec_lo, s27
	s_and_saveexec_b32 s26, s2
	s_cbranch_execz .LBB24_189
.LBB24_188:
	v_and_b32_e32 v6, 0xffff, v5
	v_lshlrev_b32_e32 v5, 24, v5
	s_delay_alu instid0(VALU_DEP_2) | instskip(NEXT) | instid1(VALU_DEP_2)
	v_and_b32_e32 v7, 3, v6
	v_and_b32_e32 v5, 0x80000000, v5
	s_delay_alu instid0(VALU_DEP_2) | instskip(NEXT) | instid1(VALU_DEP_1)
	v_clz_i32_u32_e32 v8, v7
	v_min_u32_e32 v8, 32, v8
	s_delay_alu instid0(VALU_DEP_1) | instskip(SKIP_1) | instid1(VALU_DEP_2)
	v_subrev_nc_u32_e32 v9, 29, v8
	v_sub_nc_u32_e32 v8, 30, v8
	v_lshlrev_b32_e32 v9, v9, v6
	v_bfe_u32 v6, v6, 2, 5
	s_delay_alu instid0(VALU_DEP_2) | instskip(NEXT) | instid1(VALU_DEP_2)
	v_and_b32_e32 v9, 3, v9
	v_cmp_eq_u32_e32 vcc_lo, 0, v6
	s_delay_alu instid0(VALU_DEP_2) | instskip(NEXT) | instid1(VALU_DEP_1)
	v_dual_cndmask_b32 v6, v6, v8 :: v_dual_cndmask_b32 v7, v7, v9
	v_lshl_add_u32 v6, v6, 23, 0x37800000
	s_delay_alu instid0(VALU_DEP_2) | instskip(NEXT) | instid1(VALU_DEP_1)
	v_lshlrev_b32_e32 v7, 21, v7
	v_or3_b32 v5, v5, v6, v7
	s_delay_alu instid0(VALU_DEP_1)
	v_cvt_f16_f32_e32 v6, v5
.LBB24_189:
	s_or_b32 exec_lo, exec_lo, s26
	s_mov_b32 s2, 0
	s_branch .LBB24_195
.LBB24_190:
	s_mov_b32 s26, -1
                                        ; implicit-def: $vgpr6
	s_branch .LBB24_201
.LBB24_191:
	s_or_saveexec_b32 s27, s27
	v_mov_b32_e32 v6, s26
	s_xor_b32 exec_lo, exec_lo, s27
	s_cbranch_execz .LBB24_175
.LBB24_192:
	v_cmp_ne_u16_e32 vcc_lo, 0, v5
	v_mov_b32_e32 v6, v5
	s_and_not1_b32 s2, s2, exec_lo
	s_and_b32 s26, vcc_lo, exec_lo
	s_delay_alu instid0(SALU_CYCLE_1)
	s_or_b32 s2, s2, s26
	s_or_b32 exec_lo, exec_lo, s27
	s_and_saveexec_b32 s26, s2
	s_cbranch_execnz .LBB24_176
	s_branch .LBB24_177
.LBB24_193:
	s_mov_b32 s2, -1
                                        ; implicit-def: $vgpr6
	s_branch .LBB24_198
.LBB24_194:
	s_mov_b32 s2, -1
                                        ; implicit-def: $vgpr6
.LBB24_195:
	s_delay_alu instid0(SALU_CYCLE_1)
	s_and_b32 vcc_lo, exec_lo, s2
	s_cbranch_vccz .LBB24_197
; %bb.196:
	global_load_u8 v5, v[1:2], off
	s_waitcnt vmcnt(0)
	v_lshlrev_b32_e32 v5, 24, v5
	s_delay_alu instid0(VALU_DEP_1) | instskip(NEXT) | instid1(VALU_DEP_1)
	v_and_b32_e32 v6, 0x7f000000, v5
	v_clz_i32_u32_e32 v7, v6
	v_add_nc_u32_e32 v9, 0x1000000, v6
	v_cmp_ne_u32_e32 vcc_lo, 0, v6
	s_delay_alu instid0(VALU_DEP_3) | instskip(NEXT) | instid1(VALU_DEP_1)
	v_min_u32_e32 v7, 32, v7
	v_sub_nc_u32_e64 v7, v7, 4 clamp
	s_delay_alu instid0(VALU_DEP_1) | instskip(SKIP_1) | instid1(VALU_DEP_2)
	v_lshlrev_b32_e32 v8, v7, v6
	v_lshlrev_b32_e32 v7, 23, v7
	v_lshrrev_b32_e32 v8, 4, v8
	s_delay_alu instid0(VALU_DEP_1) | instskip(SKIP_1) | instid1(VALU_DEP_2)
	v_sub_nc_u32_e32 v7, v8, v7
	v_ashrrev_i32_e32 v8, 8, v9
	v_add_nc_u32_e32 v7, 0x3c000000, v7
	s_delay_alu instid0(VALU_DEP_1) | instskip(NEXT) | instid1(VALU_DEP_1)
	v_and_or_b32 v7, 0x7f800000, v8, v7
	v_cndmask_b32_e32 v6, 0, v7, vcc_lo
	s_delay_alu instid0(VALU_DEP_1) | instskip(NEXT) | instid1(VALU_DEP_1)
	v_and_or_b32 v5, 0x80000000, v5, v6
	v_cvt_f16_f32_e32 v6, v5
.LBB24_197:
	s_mov_b32 s2, 0
.LBB24_198:
	s_delay_alu instid0(SALU_CYCLE_1)
	s_and_not1_b32 vcc_lo, exec_lo, s2
	s_cbranch_vccnz .LBB24_200
; %bb.199:
	global_load_u8 v5, v[1:2], off
	s_waitcnt vmcnt(0)
	v_lshlrev_b32_e32 v6, 25, v5
	v_lshlrev_b16 v5, 8, v5
	s_delay_alu instid0(VALU_DEP_2) | instskip(NEXT) | instid1(VALU_DEP_2)
	v_lshrrev_b32_e32 v7, 4, v6
	v_and_or_b32 v8, 0x7f00, v5, 0.5
	v_bfe_i32 v5, v5, 0, 16
	s_delay_alu instid0(VALU_DEP_3) | instskip(NEXT) | instid1(VALU_DEP_1)
	v_or_b32_e32 v7, 0x70000000, v7
	v_dual_add_f32 v8, -0.5, v8 :: v_dual_mul_f32 v7, 0x7800000, v7
	v_cmp_gt_u32_e32 vcc_lo, 0x8000000, v6
	s_delay_alu instid0(VALU_DEP_2) | instskip(NEXT) | instid1(VALU_DEP_1)
	v_cndmask_b32_e32 v6, v7, v8, vcc_lo
	v_and_or_b32 v5, 0x80000000, v5, v6
	s_delay_alu instid0(VALU_DEP_1)
	v_cvt_f16_f32_e32 v6, v5
.LBB24_200:
	s_mov_b32 s26, 0
	s_mov_b32 s2, -1
.LBB24_201:
	s_and_not1_b32 vcc_lo, exec_lo, s26
	s_cbranch_vccnz .LBB24_214
; %bb.202:
	v_cmp_lt_i16_e32 vcc_lo, 14, v3
	s_cbranch_vccz .LBB24_205
; %bb.203:
	v_cmp_eq_u16_e32 vcc_lo, 15, v3
	s_cbranch_vccz .LBB24_208
; %bb.204:
	global_load_u16 v5, v[1:2], off
	s_mov_b32 s2, -1
	s_mov_b32 s3, 0
	s_waitcnt vmcnt(0)
	v_lshlrev_b32_e32 v5, 16, v5
	s_delay_alu instid0(VALU_DEP_1)
	v_cvt_f16_f32_e32 v6, v5
	s_branch .LBB24_209
.LBB24_205:
	s_mov_b32 s26, -1
                                        ; implicit-def: $vgpr6
	s_branch .LBB24_210
.LBB24_206:
	s_or_saveexec_b32 s27, s27
	v_mov_b32_e32 v6, s26
	s_xor_b32 exec_lo, exec_lo, s27
	s_cbranch_execz .LBB24_187
.LBB24_207:
	v_cmp_ne_u16_e32 vcc_lo, 0, v5
	v_mov_b32_e32 v6, v5
	s_and_not1_b32 s2, s2, exec_lo
	s_and_b32 s26, vcc_lo, exec_lo
	s_delay_alu instid0(SALU_CYCLE_1)
	s_or_b32 s2, s2, s26
	s_or_b32 exec_lo, exec_lo, s27
	s_and_saveexec_b32 s26, s2
	s_cbranch_execnz .LBB24_188
	s_branch .LBB24_189
.LBB24_208:
	s_mov_b32 s3, -1
                                        ; implicit-def: $vgpr6
.LBB24_209:
	s_mov_b32 s26, 0
.LBB24_210:
	s_delay_alu instid0(SALU_CYCLE_1)
	s_and_b32 vcc_lo, exec_lo, s26
	s_cbranch_vccz .LBB24_214
; %bb.211:
	v_cmp_eq_u16_e32 vcc_lo, 11, v3
	s_cbranch_vccz .LBB24_213
; %bb.212:
	global_load_u8 v5, v[1:2], off
	s_mov_b32 s3, 0
	s_mov_b32 s2, -1
	s_waitcnt vmcnt(0)
	v_cmp_ne_u16_e32 vcc_lo, 0, v5
	v_cndmask_b32_e64 v6, 0, 0x3c00, vcc_lo
	s_branch .LBB24_214
.LBB24_213:
	s_mov_b32 s3, -1
                                        ; implicit-def: $vgpr6
.LBB24_214:
	s_branch .LBB24_23
.LBB24_215:
	v_cmp_gt_i16_e32 vcc_lo, 5, v3
	s_cbranch_vccnz .LBB24_220
; %bb.216:
	v_cmp_gt_i16_e32 vcc_lo, 8, v3
	s_cbranch_vccnz .LBB24_221
; %bb.217:
	v_cmp_gt_i16_e32 vcc_lo, 9, v3
	s_cbranch_vccnz .LBB24_222
; %bb.218:
	v_cmp_lt_i16_e32 vcc_lo, 9, v3
	s_cbranch_vccz .LBB24_223
; %bb.219:
	global_load_b64 v[5:6], v[1:2], off
	s_mov_b32 s2, 0
	s_waitcnt vmcnt(0)
	v_cvt_f32_f64_e32 v5, v[5:6]
	s_delay_alu instid0(VALU_DEP_1)
	v_cvt_f16_f32_e32 v6, v5
	s_branch .LBB24_224
.LBB24_220:
                                        ; implicit-def: $vgpr6
	s_branch .LBB24_242
.LBB24_221:
	s_mov_b32 s2, -1
                                        ; implicit-def: $vgpr6
	s_branch .LBB24_230
.LBB24_222:
	s_mov_b32 s2, -1
                                        ; implicit-def: $vgpr6
	s_branch .LBB24_227
.LBB24_223:
	s_mov_b32 s2, -1
                                        ; implicit-def: $vgpr6
.LBB24_224:
	s_delay_alu instid0(SALU_CYCLE_1)
	s_and_not1_b32 vcc_lo, exec_lo, s2
	s_cbranch_vccnz .LBB24_226
; %bb.225:
	global_load_b32 v5, v[1:2], off
	s_waitcnt vmcnt(0)
	v_cvt_f16_f32_e32 v6, v5
.LBB24_226:
	s_mov_b32 s2, 0
.LBB24_227:
	s_delay_alu instid0(SALU_CYCLE_1)
	s_and_not1_b32 vcc_lo, exec_lo, s2
	s_cbranch_vccnz .LBB24_229
; %bb.228:
	global_load_b32 v6, v[1:2], off
.LBB24_229:
	s_mov_b32 s2, 0
.LBB24_230:
	s_delay_alu instid0(SALU_CYCLE_1)
	s_and_not1_b32 vcc_lo, exec_lo, s2
	s_cbranch_vccnz .LBB24_241
; %bb.231:
	v_cmp_gt_i16_e32 vcc_lo, 6, v3
	s_cbranch_vccnz .LBB24_234
; %bb.232:
	v_cmp_lt_i16_e32 vcc_lo, 6, v3
	s_cbranch_vccz .LBB24_235
; %bb.233:
	global_load_b64 v[5:6], v[1:2], off
	s_mov_b32 s2, 0
	s_waitcnt vmcnt(0)
	v_cvt_f32_f64_e32 v5, v[5:6]
	s_delay_alu instid0(VALU_DEP_1)
	v_cvt_f16_f32_e32 v6, v5
	s_branch .LBB24_236
.LBB24_234:
	s_mov_b32 s2, -1
                                        ; implicit-def: $vgpr6
	s_branch .LBB24_239
.LBB24_235:
	s_mov_b32 s2, -1
                                        ; implicit-def: $vgpr6
.LBB24_236:
	s_delay_alu instid0(SALU_CYCLE_1)
	s_and_not1_b32 vcc_lo, exec_lo, s2
	s_cbranch_vccnz .LBB24_238
; %bb.237:
	global_load_b32 v5, v[1:2], off
	s_waitcnt vmcnt(0)
	v_cvt_f16_f32_e32 v6, v5
.LBB24_238:
	s_mov_b32 s2, 0
.LBB24_239:
	s_delay_alu instid0(SALU_CYCLE_1)
	s_and_not1_b32 vcc_lo, exec_lo, s2
	s_cbranch_vccnz .LBB24_241
; %bb.240:
	global_load_u16 v6, v[1:2], off
.LBB24_241:
	s_cbranch_execnz .LBB24_261
.LBB24_242:
	v_cmp_gt_i16_e32 vcc_lo, 2, v3
	s_cbranch_vccnz .LBB24_246
; %bb.243:
	v_cmp_gt_i16_e32 vcc_lo, 3, v3
	s_cbranch_vccnz .LBB24_247
; %bb.244:
	v_cmp_lt_i16_e32 vcc_lo, 3, v3
	s_cbranch_vccz .LBB24_248
; %bb.245:
	global_load_b64 v[5:6], v[1:2], off
	s_mov_b32 s2, 0
	s_waitcnt vmcnt(0)
	v_xor_b32_e32 v7, v5, v6
	v_cls_i32_e32 v8, v6
	s_delay_alu instid0(VALU_DEP_2) | instskip(NEXT) | instid1(VALU_DEP_2)
	v_ashrrev_i32_e32 v7, 31, v7
	v_add_nc_u32_e32 v8, -1, v8
	s_delay_alu instid0(VALU_DEP_2) | instskip(NEXT) | instid1(VALU_DEP_1)
	v_add_nc_u32_e32 v7, 32, v7
	v_min_u32_e32 v7, v8, v7
	s_delay_alu instid0(VALU_DEP_1) | instskip(NEXT) | instid1(VALU_DEP_1)
	v_lshlrev_b64 v[5:6], v7, v[5:6]
	v_min_u32_e32 v5, 1, v5
	s_delay_alu instid0(VALU_DEP_1) | instskip(SKIP_1) | instid1(VALU_DEP_2)
	v_or_b32_e32 v5, v6, v5
	v_sub_nc_u32_e32 v6, 32, v7
	v_cvt_f32_i32_e32 v5, v5
	s_delay_alu instid0(VALU_DEP_1) | instskip(NEXT) | instid1(VALU_DEP_1)
	v_ldexp_f32 v5, v5, v6
	v_cvt_f16_f32_e32 v6, v5
	s_branch .LBB24_249
.LBB24_246:
	s_mov_b32 s2, -1
                                        ; implicit-def: $vgpr6
	s_branch .LBB24_255
.LBB24_247:
	s_mov_b32 s2, -1
                                        ; implicit-def: $vgpr6
	s_branch .LBB24_252
.LBB24_248:
	s_mov_b32 s2, -1
                                        ; implicit-def: $vgpr6
.LBB24_249:
	s_delay_alu instid0(SALU_CYCLE_1)
	s_and_not1_b32 vcc_lo, exec_lo, s2
	s_cbranch_vccnz .LBB24_251
; %bb.250:
	global_load_b32 v5, v[1:2], off
	s_waitcnt vmcnt(0)
	v_cvt_f32_i32_e32 v5, v5
	s_delay_alu instid0(VALU_DEP_1)
	v_cvt_f16_f32_e32 v6, v5
.LBB24_251:
	s_mov_b32 s2, 0
.LBB24_252:
	s_delay_alu instid0(SALU_CYCLE_1)
	s_and_not1_b32 vcc_lo, exec_lo, s2
	s_cbranch_vccnz .LBB24_254
; %bb.253:
	global_load_u16 v5, v[1:2], off
	s_waitcnt vmcnt(0)
	v_cvt_f16_i16_e32 v6, v5
.LBB24_254:
	s_mov_b32 s2, 0
.LBB24_255:
	s_delay_alu instid0(SALU_CYCLE_1)
	s_and_not1_b32 vcc_lo, exec_lo, s2
	s_cbranch_vccnz .LBB24_261
; %bb.256:
	v_cmp_lt_i16_e32 vcc_lo, 0, v3
	s_mov_b32 s2, 0
	s_cbranch_vccz .LBB24_258
; %bb.257:
	global_load_i8 v5, v[1:2], off
	s_waitcnt vmcnt(0)
	v_cvt_f16_i16_e32 v6, v5
	s_branch .LBB24_259
.LBB24_258:
	s_mov_b32 s2, -1
                                        ; implicit-def: $vgpr6
.LBB24_259:
	s_delay_alu instid0(SALU_CYCLE_1)
	s_and_not1_b32 vcc_lo, exec_lo, s2
	s_cbranch_vccnz .LBB24_261
; %bb.260:
	global_load_u8 v1, v[1:2], off
	s_waitcnt vmcnt(0)
	v_cvt_f16_u16_e32 v6, v1
.LBB24_261:
	s_branch .LBB24_24
.LBB24_262:
	s_mov_b32 s26, 0
.LBB24_263:
	s_mov_b32 s2, 0
                                        ; implicit-def: $vgpr4
.LBB24_264:
	s_and_b32 s39, s26, exec_lo
	s_and_b32 s40, s3, exec_lo
	s_or_not1_b32 s3, s2, exec_lo
.LBB24_265:
	s_or_b32 exec_lo, exec_lo, s41
	s_mov_b32 s26, 0
	s_mov_b32 s2, 0
                                        ; implicit-def: $vgpr1_vgpr2
                                        ; implicit-def: $vgpr0
                                        ; implicit-def: $vgpr5
	s_and_saveexec_b32 s41, s3
	s_cbranch_execz .LBB24_912
; %bb.266:
	s_mov_b32 s2, -1
	s_mov_b32 s42, s40
	s_mov_b32 s43, s39
	s_mov_b32 s44, exec_lo
	v_cmpx_gt_i32_e64 s36, v4
	s_cbranch_execz .LBB24_537
; %bb.267:
	s_and_not1_b32 vcc_lo, exec_lo, s31
	s_cbranch_vccnz .LBB24_272
; %bb.268:
	v_dual_mov_b32 v0, 0 :: v_dual_mov_b32 v1, 0
	s_and_not1_b32 vcc_lo, exec_lo, s38
	s_mov_b32 s42, 0
	s_cbranch_vccnz .LBB24_277
; %bb.269:
	v_mov_b32_e32 v0, 0
	s_add_i32 s45, s37, 1
	s_cmp_eq_u32 s29, 2
	s_mov_b32 s43, 0
	s_cbranch_scc1 .LBB24_273
; %bb.270:
	v_dual_mov_b32 v1, 0 :: v_dual_mov_b32 v0, 0
	v_mov_b32_e32 v2, v4
	s_and_b32 s43, s45, 28
	s_mov_b32 s46, 0
	s_mov_b64 s[2:3], s[24:25]
	s_mov_b64 s[26:27], s[20:21]
.LBB24_271:                             ; =>This Inner Loop Header: Depth=1
	s_clause 0x1
	s_load_b256 s[48:55], s[26:27], 0x4
	s_load_b128 s[64:67], s[26:27], 0x24
	s_load_b256 s[56:63], s[2:3], 0x0
	s_add_u32 s26, s26, 48
	s_addc_u32 s27, s27, 0
	s_add_i32 s46, s46, 4
	s_add_u32 s2, s2, 32
	s_addc_u32 s3, s3, 0
	s_cmp_eq_u32 s43, s46
	s_waitcnt lgkmcnt(0)
	v_mul_hi_u32 v5, s49, v2
	s_delay_alu instid0(VALU_DEP_1) | instskip(NEXT) | instid1(VALU_DEP_1)
	v_add_nc_u32_e32 v5, v2, v5
	v_lshrrev_b32_e32 v5, s50, v5
	s_waitcnt vmcnt(0)
	s_delay_alu instid0(VALU_DEP_1) | instskip(SKIP_1) | instid1(VALU_DEP_2)
	v_mul_hi_u32 v6, s52, v5
	v_mul_lo_u32 v8, v5, s48
	v_add_nc_u32_e32 v6, v5, v6
	s_delay_alu instid0(VALU_DEP_2) | instskip(NEXT) | instid1(VALU_DEP_2)
	v_sub_nc_u32_e32 v2, v2, v8
	v_lshrrev_b32_e32 v6, s53, v6
	s_delay_alu instid0(VALU_DEP_2) | instskip(SKIP_1) | instid1(VALU_DEP_3)
	v_mul_lo_u32 v8, v2, s56
	v_mul_lo_u32 v10, v2, s57
	v_mul_hi_u32 v7, s55, v6
	s_delay_alu instid0(VALU_DEP_1) | instskip(NEXT) | instid1(VALU_DEP_1)
	v_add_nc_u32_e32 v7, v6, v7
	v_lshrrev_b32_e32 v7, s64, v7
	s_delay_alu instid0(VALU_DEP_1) | instskip(SKIP_1) | instid1(VALU_DEP_2)
	v_mul_hi_u32 v9, s66, v7
	v_mul_lo_u32 v11, v7, s54
	v_add_nc_u32_e32 v2, v7, v9
	v_mul_lo_u32 v9, v6, s51
	s_delay_alu instid0(VALU_DEP_3) | instskip(NEXT) | instid1(VALU_DEP_3)
	v_sub_nc_u32_e32 v6, v6, v11
	v_lshrrev_b32_e32 v2, s67, v2
	s_delay_alu instid0(VALU_DEP_2) | instskip(SKIP_2) | instid1(VALU_DEP_4)
	v_mul_lo_u32 v11, v6, s60
	v_mul_lo_u32 v6, v6, s61
	v_sub_nc_u32_e32 v5, v5, v9
	v_mul_lo_u32 v12, v2, s65
	s_delay_alu instid0(VALU_DEP_2) | instskip(SKIP_1) | instid1(VALU_DEP_3)
	v_mul_lo_u32 v9, v5, s58
	v_mul_lo_u32 v5, v5, s59
	v_sub_nc_u32_e32 v7, v7, v12
	s_delay_alu instid0(VALU_DEP_3) | instskip(NEXT) | instid1(VALU_DEP_2)
	v_add3_u32 v0, v8, v0, v9
	v_mul_lo_u32 v12, v7, s62
	v_mul_lo_u32 v7, v7, s63
	v_add3_u32 v1, v10, v1, v5
	s_delay_alu instid0(VALU_DEP_3) | instskip(NEXT) | instid1(VALU_DEP_2)
	v_add3_u32 v0, v11, v0, v12
	v_add3_u32 v1, v6, v1, v7
	s_cbranch_scc0 .LBB24_271
	s_branch .LBB24_274
.LBB24_272:
	s_mov_b32 s42, -1
                                        ; implicit-def: $vgpr0
                                        ; implicit-def: $vgpr1
	s_branch .LBB24_277
.LBB24_273:
	v_dual_mov_b32 v2, v4 :: v_dual_mov_b32 v1, 0
.LBB24_274:
	s_and_b32 s45, s45, 3
	s_delay_alu instid0(SALU_CYCLE_1)
	s_cmp_eq_u32 s45, 0
	s_cbranch_scc1 .LBB24_277
; %bb.275:
	s_lshl_b32 s2, s43, 3
	s_mul_i32 s26, s43, 12
	s_add_u32 s2, s2, s20
	s_addc_u32 s3, s21, 0
	s_add_u32 s2, s2, 0xc4
	s_addc_u32 s3, s3, 0
	;; [unrolled: 2-line block ×3, first 2 shown]
	.p2align	6
.LBB24_276:                             ; =>This Inner Loop Header: Depth=1
	s_clause 0x1
	s_load_b64 s[46:47], s[26:27], 0x4
	s_load_b32 s43, s[26:27], 0xc
	s_load_b64 s[48:49], s[2:3], 0x0
	s_add_u32 s26, s26, 12
	s_addc_u32 s27, s27, 0
	s_add_u32 s2, s2, 8
	s_addc_u32 s3, s3, 0
	s_add_i32 s45, s45, -1
	s_delay_alu instid0(SALU_CYCLE_1) | instskip(SKIP_2) | instid1(VALU_DEP_1)
	s_cmp_lg_u32 s45, 0
	s_waitcnt lgkmcnt(0)
	v_mul_hi_u32 v5, s47, v2
	v_add_nc_u32_e32 v5, v2, v5
	s_delay_alu instid0(VALU_DEP_1) | instskip(NEXT) | instid1(VALU_DEP_1)
	v_lshrrev_b32_e32 v8, s43, v5
	v_mul_lo_u32 v5, v8, s46
	s_delay_alu instid0(VALU_DEP_1) | instskip(SKIP_1) | instid1(VALU_DEP_1)
	v_sub_nc_u32_e32 v2, v2, v5
	s_waitcnt vmcnt(0)
	v_mad_u64_u32 v[5:6], null, v2, s48, v[0:1]
	v_mad_u64_u32 v[6:7], null, v2, s49, v[1:2]
	v_mov_b32_e32 v2, v8
	s_delay_alu instid0(VALU_DEP_2)
	v_dual_mov_b32 v0, v5 :: v_dual_mov_b32 v1, v6
	s_cbranch_scc1 .LBB24_276
.LBB24_277:
	s_and_not1_b32 vcc_lo, exec_lo, s42
	s_cbranch_vccnz .LBB24_280
; %bb.278:
	v_mul_hi_u32 v0, s17, v4
	s_and_not1_b32 vcc_lo, exec_lo, s35
	s_delay_alu instid0(VALU_DEP_1) | instskip(NEXT) | instid1(VALU_DEP_1)
	v_add_nc_u32_e32 v0, v4, v0
	v_lshrrev_b32_e32 v2, s18, v0
	s_delay_alu instid0(VALU_DEP_1) | instskip(NEXT) | instid1(VALU_DEP_1)
	v_mul_lo_u32 v0, v2, s16
	v_sub_nc_u32_e32 v1, v4, v0
	s_delay_alu instid0(VALU_DEP_1)
	v_mul_lo_u32 v0, v1, s12
	v_mul_lo_u32 v1, v1, s13
	s_cbranch_vccnz .LBB24_280
; %bb.279:
	v_mul_hi_u32 v5, s22, v2
	s_delay_alu instid0(VALU_DEP_1) | instskip(NEXT) | instid1(VALU_DEP_1)
	v_add_nc_u32_e32 v5, v2, v5
	v_lshrrev_b32_e32 v5, s23, v5
	s_delay_alu instid0(VALU_DEP_1) | instskip(NEXT) | instid1(VALU_DEP_1)
	v_mul_lo_u32 v5, v5, s19
	v_sub_nc_u32_e32 v2, v2, v5
	s_waitcnt vmcnt(0)
	s_delay_alu instid0(VALU_DEP_1) | instskip(SKIP_1) | instid1(VALU_DEP_1)
	v_mad_u64_u32 v[5:6], null, v2, s14, v[0:1]
	v_mad_u64_u32 v[6:7], null, v2, s15, v[1:2]
	v_dual_mov_b32 v0, v5 :: v_dual_mov_b32 v1, v6
.LBB24_280:
	v_cmp_gt_i16_e32 vcc_lo, 11, v3
	s_delay_alu instid0(VALU_DEP_2) | instskip(NEXT) | instid1(VALU_DEP_1)
	v_add_co_u32 v1, s2, s6, v1
	v_add_co_ci_u32_e64 v2, null, s7, 0, s2
	s_mov_b32 s2, 0
	s_cbranch_vccnz .LBB24_287
; %bb.281:
	v_cmp_lt_i16_e32 vcc_lo, 25, v3
	s_cbranch_vccz .LBB24_338
; %bb.282:
	v_cmp_lt_i16_e32 vcc_lo, 28, v3
	s_cbranch_vccz .LBB24_339
	;; [unrolled: 3-line block ×4, first 2 shown]
; %bb.285:
	v_cmp_eq_u16_e32 vcc_lo, 46, v3
	s_mov_b32 s26, 0
	s_cbranch_vccz .LBB24_347
; %bb.286:
	global_load_b32 v5, v[1:2], off
	s_mov_b32 s2, -1
	s_mov_b32 s3, 0
	s_waitcnt vmcnt(0)
	v_lshlrev_b32_e32 v5, 16, v5
	s_delay_alu instid0(VALU_DEP_1)
	v_cvt_f16_f32_e32 v6, v5
	s_branch .LBB24_349
.LBB24_287:
	s_mov_b32 s3, s40
                                        ; implicit-def: $vgpr6
	s_cbranch_execnz .LBB24_486
.LBB24_288:
	s_and_not1_b32 vcc_lo, exec_lo, s2
	s_cbranch_vccnz .LBB24_534
.LBB24_289:
	s_waitcnt vmcnt(0)
	s_delay_alu instid0(VALU_DEP_1) | instskip(SKIP_1) | instid1(VALU_DEP_1)
	v_cvt_f32_f16_e32 v1, v6
	s_mov_b32 s2, exec_lo
	v_cmpx_nlg_f32_e64 0x7f800000, |v1|
	s_cbranch_execz .LBB24_291
; %bb.290:
	v_dual_mov_b32 v2, 0 :: v_dual_mov_b32 v5, 1.0
	global_store_b32 v2, v5, s[8:9]
.LBB24_291:
	s_or_b32 exec_lo, exec_lo, s2
	v_mov_b32_e32 v2, 0
	v_and_b32_e64 v5, 0xff, s34
	v_add_co_u32 v0, s2, s4, v0
	s_mov_b32 s26, 0
	global_load_b32 v2, v2, s[10:11]
	v_cmp_gt_i16_e32 vcc_lo, 11, v5
	s_mov_b32 s27, -1
	s_and_b32 vcc_lo, exec_lo, vcc_lo
	s_waitcnt vmcnt(0)
	v_fma_mixlo_f16 v7, v2, v1, 0
	v_add_co_ci_u32_e64 v1, null, s5, 0, s2
	v_cmp_eq_f32_e64 s2, 1.0, v2
	s_delay_alu instid0(VALU_DEP_1)
	v_cndmask_b32_e64 v2, v7, v6, s2
	s_mov_b32 s2, s39
	s_cbranch_vccnz .LBB24_298
; %bb.292:
	v_cmp_lt_i16_e32 vcc_lo, 25, v5
	s_cbranch_vccz .LBB24_340
; %bb.293:
	v_cmp_lt_i16_e32 vcc_lo, 28, v5
	s_cbranch_vccz .LBB24_342
; %bb.294:
	v_cmp_lt_i16_e32 vcc_lo, 43, v5
	s_cbranch_vccz .LBB24_344
; %bb.295:
	v_cmp_lt_i16_e32 vcc_lo, 45, v5
	s_cbranch_vccz .LBB24_352
; %bb.296:
	v_cmp_eq_u16_e32 vcc_lo, 46, v5
	s_mov_b32 s27, 0
	s_mov_b32 s2, -1
	s_cbranch_vccz .LBB24_353
; %bb.297:
	v_cvt_f32_f16_e32 v6, v2
	v_cmp_o_f16_e32 vcc_lo, v2, v2
	s_mov_b32 s26, -1
	s_mov_b32 s2, 0
	s_delay_alu instid0(VALU_DEP_2) | instskip(NEXT) | instid1(VALU_DEP_1)
	v_bfe_u32 v7, v6, 16, 1
	v_add3_u32 v6, v6, v7, 0x7fff
	s_delay_alu instid0(VALU_DEP_1) | instskip(NEXT) | instid1(VALU_DEP_1)
	v_lshrrev_b32_e32 v6, 16, v6
	v_cndmask_b32_e32 v6, 0x7fc0, v6, vcc_lo
	global_store_b32 v[0:1], v6, off
	s_branch .LBB24_353
.LBB24_298:
	s_and_b32 vcc_lo, exec_lo, s27
	s_cbranch_vccz .LBB24_422
; %bb.299:
	v_cmp_gt_i16_e32 vcc_lo, 5, v5
	s_mov_b32 s26, -1
	s_cbranch_vccnz .LBB24_320
; %bb.300:
	v_cmp_gt_i16_e32 vcc_lo, 8, v5
	s_cbranch_vccnz .LBB24_310
; %bb.301:
	v_cmp_gt_i16_e32 vcc_lo, 9, v5
	s_cbranch_vccnz .LBB24_307
; %bb.302:
	v_cmp_lt_i16_e32 vcc_lo, 9, v5
	s_cbranch_vccz .LBB24_304
; %bb.303:
	v_cvt_f32_f16_e32 v6, v2
	v_mov_b32_e32 v8, 0
	s_mov_b32 s26, 0
	s_delay_alu instid0(VALU_DEP_2) | instskip(NEXT) | instid1(VALU_DEP_2)
	v_cvt_f64_f32_e32 v[6:7], v6
	v_mov_b32_e32 v9, v8
	global_store_b128 v[0:1], v[6:9], off
.LBB24_304:
	s_and_not1_b32 vcc_lo, exec_lo, s26
	s_cbranch_vccnz .LBB24_306
; %bb.305:
	v_cvt_f32_f16_e32 v6, v2
	v_mov_b32_e32 v7, 0
	global_store_b64 v[0:1], v[6:7], off
.LBB24_306:
	s_mov_b32 s26, 0
.LBB24_307:
	s_delay_alu instid0(SALU_CYCLE_1)
	s_and_not1_b32 vcc_lo, exec_lo, s26
	s_cbranch_vccnz .LBB24_309
; %bb.308:
	v_and_b32_e32 v6, 0xffff, v2
	global_store_b32 v[0:1], v6, off
.LBB24_309:
	s_mov_b32 s26, 0
.LBB24_310:
	s_delay_alu instid0(SALU_CYCLE_1)
	s_and_not1_b32 vcc_lo, exec_lo, s26
	s_cbranch_vccnz .LBB24_319
; %bb.311:
	v_cmp_gt_i16_e32 vcc_lo, 6, v5
	s_mov_b32 s26, -1
	s_cbranch_vccnz .LBB24_317
; %bb.312:
	v_cmp_lt_i16_e32 vcc_lo, 6, v5
	s_cbranch_vccz .LBB24_314
; %bb.313:
	v_cvt_f32_f16_e32 v6, v2
	s_mov_b32 s26, 0
	s_delay_alu instid0(VALU_DEP_1)
	v_cvt_f64_f32_e32 v[6:7], v6
	global_store_b64 v[0:1], v[6:7], off
.LBB24_314:
	s_and_not1_b32 vcc_lo, exec_lo, s26
	s_cbranch_vccnz .LBB24_316
; %bb.315:
	v_cvt_f32_f16_e32 v6, v2
	global_store_b32 v[0:1], v6, off
.LBB24_316:
	s_mov_b32 s26, 0
.LBB24_317:
	s_delay_alu instid0(SALU_CYCLE_1)
	s_and_not1_b32 vcc_lo, exec_lo, s26
	s_cbranch_vccnz .LBB24_319
; %bb.318:
	global_store_b16 v[0:1], v2, off
.LBB24_319:
	s_mov_b32 s26, 0
.LBB24_320:
	s_delay_alu instid0(SALU_CYCLE_1)
	s_and_not1_b32 vcc_lo, exec_lo, s26
	s_cbranch_vccnz .LBB24_336
; %bb.321:
	v_cmp_gt_i16_e32 vcc_lo, 2, v5
	s_mov_b32 s26, -1
	s_cbranch_vccnz .LBB24_331
; %bb.322:
	v_cmp_gt_i16_e32 vcc_lo, 3, v5
	s_cbranch_vccnz .LBB24_328
; %bb.323:
	v_cmp_lt_i16_e32 vcc_lo, 3, v5
	s_cbranch_vccz .LBB24_325
; %bb.324:
	v_cvt_f32_f16_e32 v6, v2
	s_mov_b32 s26, 0
	s_delay_alu instid0(VALU_DEP_1) | instskip(NEXT) | instid1(VALU_DEP_1)
	v_cvt_i32_f32_e32 v6, v6
	v_ashrrev_i32_e32 v7, 31, v6
	global_store_b64 v[0:1], v[6:7], off
.LBB24_325:
	s_and_not1_b32 vcc_lo, exec_lo, s26
	s_cbranch_vccnz .LBB24_327
; %bb.326:
	v_cvt_f32_f16_e32 v6, v2
	s_delay_alu instid0(VALU_DEP_1)
	v_cvt_i32_f32_e32 v6, v6
	global_store_b32 v[0:1], v6, off
.LBB24_327:
	s_mov_b32 s26, 0
.LBB24_328:
	s_delay_alu instid0(SALU_CYCLE_1)
	s_and_not1_b32 vcc_lo, exec_lo, s26
	s_cbranch_vccnz .LBB24_330
; %bb.329:
	v_cvt_i16_f16_e32 v6, v2
	global_store_b16 v[0:1], v6, off
.LBB24_330:
	s_mov_b32 s26, 0
.LBB24_331:
	s_delay_alu instid0(SALU_CYCLE_1)
	s_and_not1_b32 vcc_lo, exec_lo, s26
	s_cbranch_vccnz .LBB24_336
; %bb.332:
	v_cmp_lt_i16_e32 vcc_lo, 0, v5
	s_mov_b32 s26, -1
	s_cbranch_vccz .LBB24_334
; %bb.333:
	v_cvt_i16_f16_e32 v5, v2
	s_mov_b32 s26, 0
	global_store_b8 v[0:1], v5, off
.LBB24_334:
	s_and_not1_b32 vcc_lo, exec_lo, s26
	s_cbranch_vccnz .LBB24_336
; %bb.335:
	v_cvt_f32_f16_e32 v2, v2
	s_delay_alu instid0(VALU_DEP_1)
	v_cvt_i32_f32_e32 v2, v2
	global_store_b8 v[0:1], v2, off
.LBB24_336:
	s_branch .LBB24_423
.LBB24_337:
	s_mov_b32 s26, 0
	s_branch .LBB24_535
.LBB24_338:
	s_mov_b32 s26, -1
	s_mov_b32 s3, s40
                                        ; implicit-def: $vgpr6
	s_branch .LBB24_450
.LBB24_339:
	s_mov_b32 s26, -1
	s_mov_b32 s3, s40
                                        ; implicit-def: $vgpr6
	s_branch .LBB24_431
.LBB24_340:
	s_mov_b32 s2, s39
	s_branch .LBB24_380
.LBB24_341:
	s_mov_b32 s26, -1
	s_mov_b32 s3, s40
                                        ; implicit-def: $vgpr6
	s_branch .LBB24_426
.LBB24_342:
	s_mov_b32 s2, s39
	s_branch .LBB24_363
.LBB24_343:
	s_mov_b32 s26, -1
	s_mov_b32 s3, s40
	s_branch .LBB24_348
.LBB24_344:
	s_mov_b32 s2, s39
	s_branch .LBB24_359
.LBB24_345:
	s_or_saveexec_b32 s39, s39
                                        ; implicit-def: $sgpr40
	s_delay_alu instid0(SALU_CYCLE_1)
	s_xor_b32 exec_lo, exec_lo, s39
	s_cbranch_execz .LBB24_67
.LBB24_346:
	v_add_f32_e64 v7, 0x42800000, |v6|
	s_and_not1_b32 s27, s27, exec_lo
	s_mov_b32 s40, 0
	s_delay_alu instid0(VALU_DEP_1) | instskip(NEXT) | instid1(VALU_DEP_1)
	v_and_b32_e32 v7, 0xff, v7
	v_cmp_ne_u32_e32 vcc_lo, 0, v7
	s_and_b32 s43, vcc_lo, exec_lo
	s_delay_alu instid0(SALU_CYCLE_1)
	s_or_b32 s27, s27, s43
	s_or_b32 exec_lo, exec_lo, s39
	v_mov_b32_e32 v8, s40
	s_and_saveexec_b32 s39, s27
	s_cbranch_execnz .LBB24_68
	s_branch .LBB24_69
.LBB24_347:
	s_mov_b32 s3, -1
.LBB24_348:
                                        ; implicit-def: $vgpr6
.LBB24_349:
	s_and_b32 vcc_lo, exec_lo, s26
	s_cbranch_vccz .LBB24_425
; %bb.350:
	v_cmp_eq_u16_e32 vcc_lo, 44, v3
	s_cbranch_vccz .LBB24_424
; %bb.351:
	global_load_u8 v5, v[1:2], off
	s_mov_b32 s3, 0
	s_mov_b32 s2, -1
	s_waitcnt vmcnt(0)
	v_lshlrev_b32_e32 v6, 23, v5
	v_cmp_ne_u32_e32 vcc_lo, 0xff, v5
	s_delay_alu instid0(VALU_DEP_2) | instskip(NEXT) | instid1(VALU_DEP_1)
	v_cvt_f16_f32_e32 v6, v6
	v_cndmask_b32_e32 v6, 0x7e00, v6, vcc_lo
	v_cmp_ne_u32_e32 vcc_lo, 0, v5
	s_delay_alu instid0(VALU_DEP_2)
	v_cndmask_b32_e32 v6, 0, v6, vcc_lo
	s_branch .LBB24_425
.LBB24_352:
	s_mov_b32 s2, s39
.LBB24_353:
	s_and_b32 vcc_lo, exec_lo, s27
	s_cbranch_vccz .LBB24_358
; %bb.354:
	v_cmp_eq_u16_e32 vcc_lo, 44, v5
	s_mov_b32 s2, -1
	s_cbranch_vccz .LBB24_358
; %bb.355:
	v_cvt_f32_f16_e32 v6, v2
	v_mov_b32_e32 v7, 0xff
	s_mov_b32 s26, exec_lo
	s_delay_alu instid0(VALU_DEP_2) | instskip(NEXT) | instid1(VALU_DEP_1)
	v_bfe_u32 v8, v6, 23, 8
	v_cmpx_ne_u32_e32 0xff, v8
; %bb.356:
	v_and_b32_e32 v7, 0x400000, v6
	v_and_or_b32 v8, 0x3fffff, v6, v8
	v_lshrrev_b32_e32 v6, 23, v6
	s_delay_alu instid0(VALU_DEP_3) | instskip(NEXT) | instid1(VALU_DEP_3)
	v_cmp_ne_u32_e32 vcc_lo, 0, v7
	v_cmp_ne_u32_e64 s2, 0, v8
	s_delay_alu instid0(VALU_DEP_1) | instskip(NEXT) | instid1(SALU_CYCLE_1)
	s_and_b32 s2, vcc_lo, s2
	v_cndmask_b32_e64 v7, 0, 1, s2
	s_delay_alu instid0(VALU_DEP_1)
	v_add_nc_u32_e32 v7, v6, v7
; %bb.357:
	s_or_b32 exec_lo, exec_lo, s26
	s_mov_b32 s26, -1
	s_mov_b32 s2, 0
	global_store_b8 v[0:1], v7, off
.LBB24_358:
	s_mov_b32 s27, 0
.LBB24_359:
	s_delay_alu instid0(SALU_CYCLE_1)
	s_and_b32 vcc_lo, exec_lo, s27
	s_cbranch_vccz .LBB24_362
; %bb.360:
	v_cmp_eq_u16_e32 vcc_lo, 29, v5
	s_mov_b32 s2, -1
	s_cbranch_vccz .LBB24_362
; %bb.361:
	v_cvt_f32_f16_e32 v6, v2
	v_mov_b32_e32 v7, 0
	s_mov_b32 s2, 0
	s_mov_b32 s26, -1
	s_mov_b32 s27, 0
	v_cvt_u32_f32_e32 v6, v6
	global_store_b64 v[0:1], v[6:7], off
	s_branch .LBB24_363
.LBB24_362:
	s_mov_b32 s27, 0
.LBB24_363:
	s_delay_alu instid0(SALU_CYCLE_1)
	s_and_b32 vcc_lo, exec_lo, s27
	s_cbranch_vccz .LBB24_379
; %bb.364:
	v_cmp_gt_i16_e32 vcc_lo, 27, v5
	s_mov_b32 s26, -1
	s_cbranch_vccnz .LBB24_370
; %bb.365:
	v_cmp_lt_i16_e32 vcc_lo, 27, v5
	s_cbranch_vccz .LBB24_367
; %bb.366:
	v_cvt_f32_f16_e32 v6, v2
	s_mov_b32 s26, 0
	s_delay_alu instid0(VALU_DEP_1)
	v_cvt_u32_f32_e32 v6, v6
	global_store_b32 v[0:1], v6, off
.LBB24_367:
	s_and_not1_b32 vcc_lo, exec_lo, s26
	s_cbranch_vccnz .LBB24_369
; %bb.368:
	v_cvt_u16_f16_e32 v6, v2
	global_store_b16 v[0:1], v6, off
.LBB24_369:
	s_mov_b32 s26, 0
.LBB24_370:
	s_delay_alu instid0(SALU_CYCLE_1)
	s_and_not1_b32 vcc_lo, exec_lo, s26
	s_cbranch_vccnz .LBB24_378
; %bb.371:
	v_cvt_f32_f16_e32 v6, v2
	v_mov_b32_e32 v8, 0x80
	s_mov_b32 s26, exec_lo
	s_delay_alu instid0(VALU_DEP_2) | instskip(NEXT) | instid1(VALU_DEP_1)
	v_and_b32_e32 v7, 0x7fffffff, v6
	v_cmpx_gt_u32_e32 0x43800000, v7
	s_cbranch_execz .LBB24_377
; %bb.372:
	v_cmp_lt_u32_e32 vcc_lo, 0x3bffffff, v7
	s_mov_b32 s27, 0
                                        ; implicit-def: $vgpr7
	s_and_saveexec_b32 s42, vcc_lo
	s_delay_alu instid0(SALU_CYCLE_1)
	s_xor_b32 s42, exec_lo, s42
	s_cbranch_execz .LBB24_563
; %bb.373:
	v_bfe_u32 v7, v6, 20, 1
	s_mov_b32 s27, exec_lo
	s_delay_alu instid0(VALU_DEP_1) | instskip(NEXT) | instid1(VALU_DEP_1)
	v_add3_u32 v7, v6, v7, 0x487ffff
	v_lshrrev_b32_e32 v7, 20, v7
	s_or_saveexec_b32 s42, s42
                                        ; implicit-def: $sgpr43
	s_delay_alu instid0(SALU_CYCLE_1)
	s_xor_b32 exec_lo, exec_lo, s42
	s_cbranch_execnz .LBB24_564
.LBB24_374:
	s_or_b32 exec_lo, exec_lo, s42
	v_mov_b32_e32 v8, s43
	s_and_saveexec_b32 s42, s27
.LBB24_375:
	v_lshrrev_b32_e32 v6, 24, v6
	s_delay_alu instid0(VALU_DEP_1)
	v_and_or_b32 v8, 0x80, v6, v7
.LBB24_376:
	s_or_b32 exec_lo, exec_lo, s42
.LBB24_377:
	s_delay_alu instid0(SALU_CYCLE_1)
	s_or_b32 exec_lo, exec_lo, s26
	global_store_b8 v[0:1], v8, off
.LBB24_378:
	s_mov_b32 s26, -1
.LBB24_379:
	s_mov_b32 s27, 0
.LBB24_380:
	s_delay_alu instid0(SALU_CYCLE_1)
	s_and_b32 vcc_lo, exec_lo, s27
	s_cbranch_vccz .LBB24_421
; %bb.381:
	v_cmp_lt_i16_e32 vcc_lo, 22, v5
	s_mov_b32 s27, -1
	s_cbranch_vccz .LBB24_413
; %bb.382:
	v_cmp_gt_i16_e32 vcc_lo, 24, v5
	s_mov_b32 s26, -1
	s_cbranch_vccnz .LBB24_402
; %bb.383:
	v_cmp_lt_i16_e32 vcc_lo, 24, v5
	s_cbranch_vccz .LBB24_391
; %bb.384:
	v_cvt_f32_f16_e32 v6, v2
	v_mov_b32_e32 v8, 0x80
	s_mov_b32 s26, exec_lo
	s_delay_alu instid0(VALU_DEP_2) | instskip(NEXT) | instid1(VALU_DEP_1)
	v_and_b32_e32 v7, 0x7fffffff, v6
	v_cmpx_gt_u32_e32 0x47800000, v7
	s_cbranch_execz .LBB24_390
; %bb.385:
	v_cmp_lt_u32_e32 vcc_lo, 0x37ffffff, v7
	s_mov_b32 s27, 0
                                        ; implicit-def: $vgpr7
	s_and_saveexec_b32 s42, vcc_lo
	s_delay_alu instid0(SALU_CYCLE_1)
	s_xor_b32 s42, exec_lo, s42
	s_cbranch_execz .LBB24_566
; %bb.386:
	v_bfe_u32 v7, v6, 21, 1
	s_mov_b32 s27, exec_lo
	s_delay_alu instid0(VALU_DEP_1) | instskip(NEXT) | instid1(VALU_DEP_1)
	v_add3_u32 v7, v6, v7, 0x88fffff
	v_lshrrev_b32_e32 v7, 21, v7
	s_or_saveexec_b32 s42, s42
                                        ; implicit-def: $sgpr43
	s_delay_alu instid0(SALU_CYCLE_1)
	s_xor_b32 exec_lo, exec_lo, s42
	s_cbranch_execnz .LBB24_567
.LBB24_387:
	s_or_b32 exec_lo, exec_lo, s42
	v_mov_b32_e32 v8, s43
	s_and_saveexec_b32 s42, s27
.LBB24_388:
	v_lshrrev_b32_e32 v6, 24, v6
	s_delay_alu instid0(VALU_DEP_1)
	v_and_or_b32 v8, 0x80, v6, v7
.LBB24_389:
	s_or_b32 exec_lo, exec_lo, s42
.LBB24_390:
	s_delay_alu instid0(SALU_CYCLE_1)
	s_or_b32 exec_lo, exec_lo, s26
	s_mov_b32 s26, 0
	global_store_b8 v[0:1], v8, off
.LBB24_391:
	s_and_b32 vcc_lo, exec_lo, s26
	s_cbranch_vccz .LBB24_401
; %bb.392:
	v_cvt_f32_f16_e32 v6, v2
	s_mov_b32 s26, exec_lo
                                        ; implicit-def: $vgpr7
	s_delay_alu instid0(VALU_DEP_1) | instskip(NEXT) | instid1(VALU_DEP_1)
	v_and_b32_e32 v8, 0x7fffffff, v6
	v_cmpx_gt_u32_e32 0x43f00000, v8
	s_xor_b32 s26, exec_lo, s26
	s_cbranch_execz .LBB24_398
; %bb.393:
	s_mov_b32 s27, exec_lo
                                        ; implicit-def: $vgpr7
	v_cmpx_lt_u32_e32 0x3c7fffff, v8
	s_xor_b32 s27, exec_lo, s27
; %bb.394:
	v_bfe_u32 v7, v6, 20, 1
	s_delay_alu instid0(VALU_DEP_1) | instskip(NEXT) | instid1(VALU_DEP_1)
	v_add3_u32 v7, v6, v7, 0x407ffff
	v_and_b32_e32 v8, 0xff00000, v7
	v_lshrrev_b32_e32 v7, 20, v7
	s_delay_alu instid0(VALU_DEP_2) | instskip(NEXT) | instid1(VALU_DEP_2)
	v_cmp_ne_u32_e32 vcc_lo, 0x7f00000, v8
	v_cndmask_b32_e32 v7, 0x7e, v7, vcc_lo
; %bb.395:
	s_and_not1_saveexec_b32 s27, s27
; %bb.396:
	v_add_f32_e64 v7, 0x46800000, |v6|
; %bb.397:
	s_or_b32 exec_lo, exec_lo, s27
                                        ; implicit-def: $vgpr8
.LBB24_398:
	s_and_not1_saveexec_b32 s26, s26
; %bb.399:
	v_mov_b32_e32 v7, 0x7f
	v_cmp_lt_u32_e32 vcc_lo, 0x7f800000, v8
	s_delay_alu instid0(VALU_DEP_2)
	v_cndmask_b32_e32 v7, 0x7e, v7, vcc_lo
; %bb.400:
	s_or_b32 exec_lo, exec_lo, s26
	v_lshrrev_b32_e32 v6, 24, v6
	s_delay_alu instid0(VALU_DEP_1)
	v_and_or_b32 v6, 0x80, v6, v7
	global_store_b8 v[0:1], v6, off
.LBB24_401:
	s_mov_b32 s26, 0
.LBB24_402:
	s_delay_alu instid0(SALU_CYCLE_1)
	s_and_not1_b32 vcc_lo, exec_lo, s26
	s_cbranch_vccnz .LBB24_412
; %bb.403:
	v_cvt_f32_f16_e32 v6, v2
	s_mov_b32 s26, exec_lo
                                        ; implicit-def: $vgpr7
	s_delay_alu instid0(VALU_DEP_1) | instskip(NEXT) | instid1(VALU_DEP_1)
	v_and_b32_e32 v8, 0x7fffffff, v6
	v_cmpx_gt_u32_e32 0x47800000, v8
	s_xor_b32 s26, exec_lo, s26
	s_cbranch_execz .LBB24_409
; %bb.404:
	s_mov_b32 s27, exec_lo
                                        ; implicit-def: $vgpr7
	v_cmpx_lt_u32_e32 0x387fffff, v8
	s_xor_b32 s27, exec_lo, s27
; %bb.405:
	v_bfe_u32 v7, v6, 21, 1
	s_delay_alu instid0(VALU_DEP_1) | instskip(NEXT) | instid1(VALU_DEP_1)
	v_add3_u32 v7, v6, v7, 0x80fffff
	v_lshrrev_b32_e32 v7, 21, v7
; %bb.406:
	s_and_not1_saveexec_b32 s27, s27
; %bb.407:
	v_add_f32_e64 v7, 0x43000000, |v6|
; %bb.408:
	s_or_b32 exec_lo, exec_lo, s27
                                        ; implicit-def: $vgpr8
.LBB24_409:
	s_and_not1_saveexec_b32 s26, s26
; %bb.410:
	v_mov_b32_e32 v7, 0x7f
	v_cmp_lt_u32_e32 vcc_lo, 0x7f800000, v8
	s_delay_alu instid0(VALU_DEP_2)
	v_cndmask_b32_e32 v7, 0x7c, v7, vcc_lo
; %bb.411:
	s_or_b32 exec_lo, exec_lo, s26
	v_lshrrev_b32_e32 v6, 24, v6
	s_delay_alu instid0(VALU_DEP_1)
	v_and_or_b32 v6, 0x80, v6, v7
	global_store_b8 v[0:1], v6, off
.LBB24_412:
	s_mov_b32 s27, 0
	s_mov_b32 s26, -1
.LBB24_413:
	s_and_not1_b32 vcc_lo, exec_lo, s27
	s_cbranch_vccnz .LBB24_421
; %bb.414:
	v_cmp_lt_i16_e32 vcc_lo, 14, v5
	s_mov_b32 s27, -1
	s_cbranch_vccz .LBB24_418
; %bb.415:
	v_cmp_eq_u16_e32 vcc_lo, 15, v5
	s_mov_b32 s2, -1
	s_cbranch_vccz .LBB24_417
; %bb.416:
	v_cvt_f32_f16_e32 v6, v2
	v_cmp_o_f16_e32 vcc_lo, v2, v2
	s_mov_b32 s26, -1
	s_mov_b32 s2, 0
	s_delay_alu instid0(VALU_DEP_2) | instskip(NEXT) | instid1(VALU_DEP_1)
	v_bfe_u32 v7, v6, 16, 1
	v_add3_u32 v6, v6, v7, 0x7fff
	s_delay_alu instid0(VALU_DEP_1) | instskip(NEXT) | instid1(VALU_DEP_1)
	v_lshrrev_b32_e32 v6, 16, v6
	v_cndmask_b32_e32 v6, 0x7fc0, v6, vcc_lo
	global_store_b16 v[0:1], v6, off
.LBB24_417:
	s_mov_b32 s27, 0
.LBB24_418:
	s_delay_alu instid0(SALU_CYCLE_1)
	s_and_b32 vcc_lo, exec_lo, s27
	s_cbranch_vccz .LBB24_421
; %bb.419:
	v_cmp_eq_u16_e32 vcc_lo, 11, v5
	s_mov_b32 s2, -1
	s_cbranch_vccz .LBB24_421
; %bb.420:
	v_cmp_neq_f16_e32 vcc_lo, 0, v2
	s_mov_b32 s2, 0
	s_mov_b32 s26, -1
	v_cndmask_b32_e64 v6, 0, 1, vcc_lo
	global_store_b8 v[0:1], v6, off
.LBB24_421:
.LBB24_422:
	s_and_not1_b32 vcc_lo, exec_lo, s26
	s_cbranch_vccnz .LBB24_337
.LBB24_423:
	v_add_nc_u32_e32 v4, 0x80, v4
	s_mov_b32 s26, -1
	s_branch .LBB24_536
.LBB24_424:
	s_mov_b32 s3, -1
                                        ; implicit-def: $vgpr6
.LBB24_425:
	s_mov_b32 s26, 0
.LBB24_426:
	s_delay_alu instid0(SALU_CYCLE_1)
	s_and_b32 vcc_lo, exec_lo, s26
	s_cbranch_vccz .LBB24_430
; %bb.427:
	v_cmp_eq_u16_e32 vcc_lo, 29, v3
	s_cbranch_vccz .LBB24_429
; %bb.428:
	global_load_b64 v[5:6], v[1:2], off
	s_mov_b32 s2, -1
	s_mov_b32 s3, 0
	s_mov_b32 s26, 0
	s_waitcnt vmcnt(0)
	v_clz_i32_u32_e32 v7, v6
	s_delay_alu instid0(VALU_DEP_1) | instskip(NEXT) | instid1(VALU_DEP_1)
	v_min_u32_e32 v7, 32, v7
	v_lshlrev_b64 v[5:6], v7, v[5:6]
	s_delay_alu instid0(VALU_DEP_1) | instskip(NEXT) | instid1(VALU_DEP_1)
	v_min_u32_e32 v5, 1, v5
	v_or_b32_e32 v5, v6, v5
	v_sub_nc_u32_e32 v6, 32, v7
	s_delay_alu instid0(VALU_DEP_2) | instskip(NEXT) | instid1(VALU_DEP_1)
	v_cvt_f32_u32_e32 v5, v5
	v_ldexp_f32 v5, v5, v6
	s_delay_alu instid0(VALU_DEP_1)
	v_cvt_f16_f32_e32 v6, v5
	s_branch .LBB24_431
.LBB24_429:
	s_mov_b32 s3, -1
                                        ; implicit-def: $vgpr6
.LBB24_430:
	s_mov_b32 s26, 0
.LBB24_431:
	s_delay_alu instid0(SALU_CYCLE_1)
	s_and_b32 vcc_lo, exec_lo, s26
	s_cbranch_vccz .LBB24_449
; %bb.432:
	v_cmp_gt_i16_e32 vcc_lo, 27, v3
	s_cbranch_vccnz .LBB24_435
; %bb.433:
	v_cmp_lt_i16_e32 vcc_lo, 27, v3
	s_cbranch_vccz .LBB24_436
; %bb.434:
	global_load_b32 v5, v[1:2], off
	s_mov_b32 s2, 0
	s_waitcnt vmcnt(0)
	v_cvt_f32_u32_e32 v5, v5
	s_delay_alu instid0(VALU_DEP_1)
	v_cvt_f16_f32_e32 v6, v5
	s_branch .LBB24_437
.LBB24_435:
	s_mov_b32 s2, -1
                                        ; implicit-def: $vgpr6
	s_branch .LBB24_440
.LBB24_436:
	s_mov_b32 s2, -1
                                        ; implicit-def: $vgpr6
.LBB24_437:
	s_delay_alu instid0(SALU_CYCLE_1)
	s_and_not1_b32 vcc_lo, exec_lo, s2
	s_cbranch_vccnz .LBB24_439
; %bb.438:
	global_load_u16 v5, v[1:2], off
	s_waitcnt vmcnt(0)
	v_cvt_f16_u16_e32 v6, v5
.LBB24_439:
	s_mov_b32 s2, 0
.LBB24_440:
	s_delay_alu instid0(SALU_CYCLE_1)
	s_and_not1_b32 vcc_lo, exec_lo, s2
	s_cbranch_vccnz .LBB24_448
; %bb.441:
	global_load_u8 v5, v[1:2], off
	s_mov_b32 s2, 0
	s_mov_b32 s27, exec_lo
                                        ; implicit-def: $sgpr26
	s_waitcnt vmcnt(0)
	v_cmpx_lt_i16_e32 0x7f, v5
	s_xor_b32 s27, exec_lo, s27
	s_cbranch_execz .LBB24_462
; %bb.442:
	s_mov_b32 s2, -1
	s_mov_b32 s42, exec_lo
                                        ; implicit-def: $sgpr26
	v_cmpx_eq_u16_e32 0x80, v5
; %bb.443:
	s_movk_i32 s26, 0x7e00
	s_xor_b32 s2, exec_lo, -1
; %bb.444:
	s_or_b32 exec_lo, exec_lo, s42
	s_delay_alu instid0(SALU_CYCLE_1)
	s_and_b32 s2, s2, exec_lo
	s_or_saveexec_b32 s27, s27
	v_mov_b32_e32 v6, s26
	s_xor_b32 exec_lo, exec_lo, s27
	s_cbranch_execnz .LBB24_463
.LBB24_445:
	s_or_b32 exec_lo, exec_lo, s27
	s_and_saveexec_b32 s26, s2
	s_cbranch_execz .LBB24_447
.LBB24_446:
	v_and_b32_e32 v6, 0xffff, v5
	v_lshlrev_b32_e32 v5, 24, v5
	s_delay_alu instid0(VALU_DEP_2) | instskip(NEXT) | instid1(VALU_DEP_2)
	v_and_b32_e32 v7, 7, v6
	v_and_b32_e32 v5, 0x80000000, v5
	s_delay_alu instid0(VALU_DEP_2) | instskip(NEXT) | instid1(VALU_DEP_1)
	v_clz_i32_u32_e32 v8, v7
	v_min_u32_e32 v8, 32, v8
	s_delay_alu instid0(VALU_DEP_1) | instskip(SKIP_1) | instid1(VALU_DEP_2)
	v_subrev_nc_u32_e32 v9, 28, v8
	v_sub_nc_u32_e32 v8, 29, v8
	v_lshlrev_b32_e32 v9, v9, v6
	v_bfe_u32 v6, v6, 3, 4
	s_delay_alu instid0(VALU_DEP_2) | instskip(NEXT) | instid1(VALU_DEP_2)
	v_and_b32_e32 v9, 7, v9
	v_cmp_eq_u32_e32 vcc_lo, 0, v6
	s_delay_alu instid0(VALU_DEP_2) | instskip(NEXT) | instid1(VALU_DEP_1)
	v_dual_cndmask_b32 v6, v6, v8 :: v_dual_cndmask_b32 v7, v7, v9
	v_lshl_add_u32 v6, v6, 23, 0x3b800000
	s_delay_alu instid0(VALU_DEP_2) | instskip(NEXT) | instid1(VALU_DEP_1)
	v_lshlrev_b32_e32 v7, 20, v7
	v_or3_b32 v5, v5, v6, v7
	s_delay_alu instid0(VALU_DEP_1)
	v_cvt_f16_f32_e32 v6, v5
.LBB24_447:
	s_or_b32 exec_lo, exec_lo, s26
.LBB24_448:
	s_mov_b32 s2, -1
.LBB24_449:
	s_mov_b32 s26, 0
.LBB24_450:
	s_delay_alu instid0(SALU_CYCLE_1)
	s_and_b32 vcc_lo, exec_lo, s26
	s_cbranch_vccz .LBB24_485
; %bb.451:
	v_cmp_lt_i16_e32 vcc_lo, 22, v3
	s_cbranch_vccz .LBB24_461
; %bb.452:
	v_cmp_gt_i16_e32 vcc_lo, 24, v3
	s_cbranch_vccnz .LBB24_464
; %bb.453:
	v_cmp_lt_i16_e32 vcc_lo, 24, v3
	s_cbranch_vccz .LBB24_465
; %bb.454:
	global_load_u8 v5, v[1:2], off
	s_mov_b32 s2, 0
	s_mov_b32 s27, exec_lo
                                        ; implicit-def: $sgpr26
	s_waitcnt vmcnt(0)
	v_cmpx_lt_i16_e32 0x7f, v5
	s_xor_b32 s27, exec_lo, s27
	s_cbranch_execz .LBB24_477
; %bb.455:
	s_mov_b32 s2, -1
	s_mov_b32 s42, exec_lo
                                        ; implicit-def: $sgpr26
	v_cmpx_eq_u16_e32 0x80, v5
; %bb.456:
	s_movk_i32 s26, 0x7e00
	s_xor_b32 s2, exec_lo, -1
; %bb.457:
	s_or_b32 exec_lo, exec_lo, s42
	s_delay_alu instid0(SALU_CYCLE_1)
	s_and_b32 s2, s2, exec_lo
	s_or_saveexec_b32 s27, s27
	v_mov_b32_e32 v6, s26
	s_xor_b32 exec_lo, exec_lo, s27
	s_cbranch_execnz .LBB24_478
.LBB24_458:
	s_or_b32 exec_lo, exec_lo, s27
	s_and_saveexec_b32 s26, s2
	s_cbranch_execz .LBB24_460
.LBB24_459:
	v_and_b32_e32 v6, 0xffff, v5
	v_lshlrev_b32_e32 v5, 24, v5
	s_delay_alu instid0(VALU_DEP_2) | instskip(NEXT) | instid1(VALU_DEP_2)
	v_and_b32_e32 v7, 3, v6
	v_and_b32_e32 v5, 0x80000000, v5
	s_delay_alu instid0(VALU_DEP_2) | instskip(NEXT) | instid1(VALU_DEP_1)
	v_clz_i32_u32_e32 v8, v7
	v_min_u32_e32 v8, 32, v8
	s_delay_alu instid0(VALU_DEP_1) | instskip(SKIP_1) | instid1(VALU_DEP_2)
	v_subrev_nc_u32_e32 v9, 29, v8
	v_sub_nc_u32_e32 v8, 30, v8
	v_lshlrev_b32_e32 v9, v9, v6
	v_bfe_u32 v6, v6, 2, 5
	s_delay_alu instid0(VALU_DEP_2) | instskip(NEXT) | instid1(VALU_DEP_2)
	v_and_b32_e32 v9, 3, v9
	v_cmp_eq_u32_e32 vcc_lo, 0, v6
	s_delay_alu instid0(VALU_DEP_2) | instskip(NEXT) | instid1(VALU_DEP_1)
	v_dual_cndmask_b32 v6, v6, v8 :: v_dual_cndmask_b32 v7, v7, v9
	v_lshl_add_u32 v6, v6, 23, 0x37800000
	s_delay_alu instid0(VALU_DEP_2) | instskip(NEXT) | instid1(VALU_DEP_1)
	v_lshlrev_b32_e32 v7, 21, v7
	v_or3_b32 v5, v5, v6, v7
	s_delay_alu instid0(VALU_DEP_1)
	v_cvt_f16_f32_e32 v6, v5
.LBB24_460:
	s_or_b32 exec_lo, exec_lo, s26
	s_mov_b32 s2, 0
	s_branch .LBB24_466
.LBB24_461:
	s_mov_b32 s26, -1
                                        ; implicit-def: $vgpr6
	s_branch .LBB24_472
.LBB24_462:
	s_or_saveexec_b32 s27, s27
	v_mov_b32_e32 v6, s26
	s_xor_b32 exec_lo, exec_lo, s27
	s_cbranch_execz .LBB24_445
.LBB24_463:
	v_cmp_ne_u16_e32 vcc_lo, 0, v5
	v_mov_b32_e32 v6, v5
	s_and_not1_b32 s2, s2, exec_lo
	s_and_b32 s26, vcc_lo, exec_lo
	s_delay_alu instid0(SALU_CYCLE_1)
	s_or_b32 s2, s2, s26
	s_or_b32 exec_lo, exec_lo, s27
	s_and_saveexec_b32 s26, s2
	s_cbranch_execnz .LBB24_446
	s_branch .LBB24_447
.LBB24_464:
	s_mov_b32 s2, -1
                                        ; implicit-def: $vgpr6
	s_branch .LBB24_469
.LBB24_465:
	s_mov_b32 s2, -1
                                        ; implicit-def: $vgpr6
.LBB24_466:
	s_delay_alu instid0(SALU_CYCLE_1)
	s_and_b32 vcc_lo, exec_lo, s2
	s_cbranch_vccz .LBB24_468
; %bb.467:
	global_load_u8 v5, v[1:2], off
	s_waitcnt vmcnt(0)
	v_lshlrev_b32_e32 v5, 24, v5
	s_delay_alu instid0(VALU_DEP_1) | instskip(NEXT) | instid1(VALU_DEP_1)
	v_and_b32_e32 v6, 0x7f000000, v5
	v_clz_i32_u32_e32 v7, v6
	v_add_nc_u32_e32 v9, 0x1000000, v6
	v_cmp_ne_u32_e32 vcc_lo, 0, v6
	s_delay_alu instid0(VALU_DEP_3) | instskip(NEXT) | instid1(VALU_DEP_1)
	v_min_u32_e32 v7, 32, v7
	v_sub_nc_u32_e64 v7, v7, 4 clamp
	s_delay_alu instid0(VALU_DEP_1) | instskip(SKIP_1) | instid1(VALU_DEP_2)
	v_lshlrev_b32_e32 v8, v7, v6
	v_lshlrev_b32_e32 v7, 23, v7
	v_lshrrev_b32_e32 v8, 4, v8
	s_delay_alu instid0(VALU_DEP_1) | instskip(SKIP_1) | instid1(VALU_DEP_2)
	v_sub_nc_u32_e32 v7, v8, v7
	v_ashrrev_i32_e32 v8, 8, v9
	v_add_nc_u32_e32 v7, 0x3c000000, v7
	s_delay_alu instid0(VALU_DEP_1) | instskip(NEXT) | instid1(VALU_DEP_1)
	v_and_or_b32 v7, 0x7f800000, v8, v7
	v_cndmask_b32_e32 v6, 0, v7, vcc_lo
	s_delay_alu instid0(VALU_DEP_1) | instskip(NEXT) | instid1(VALU_DEP_1)
	v_and_or_b32 v5, 0x80000000, v5, v6
	v_cvt_f16_f32_e32 v6, v5
.LBB24_468:
	s_mov_b32 s2, 0
.LBB24_469:
	s_delay_alu instid0(SALU_CYCLE_1)
	s_and_not1_b32 vcc_lo, exec_lo, s2
	s_cbranch_vccnz .LBB24_471
; %bb.470:
	global_load_u8 v5, v[1:2], off
	s_waitcnt vmcnt(0)
	v_lshlrev_b32_e32 v6, 25, v5
	v_lshlrev_b16 v5, 8, v5
	s_delay_alu instid0(VALU_DEP_2) | instskip(NEXT) | instid1(VALU_DEP_2)
	v_lshrrev_b32_e32 v7, 4, v6
	v_and_or_b32 v8, 0x7f00, v5, 0.5
	v_bfe_i32 v5, v5, 0, 16
	s_delay_alu instid0(VALU_DEP_3) | instskip(NEXT) | instid1(VALU_DEP_1)
	v_or_b32_e32 v7, 0x70000000, v7
	v_dual_add_f32 v8, -0.5, v8 :: v_dual_mul_f32 v7, 0x7800000, v7
	v_cmp_gt_u32_e32 vcc_lo, 0x8000000, v6
	s_delay_alu instid0(VALU_DEP_2) | instskip(NEXT) | instid1(VALU_DEP_1)
	v_cndmask_b32_e32 v6, v7, v8, vcc_lo
	v_and_or_b32 v5, 0x80000000, v5, v6
	s_delay_alu instid0(VALU_DEP_1)
	v_cvt_f16_f32_e32 v6, v5
.LBB24_471:
	s_mov_b32 s26, 0
	s_mov_b32 s2, -1
.LBB24_472:
	s_and_not1_b32 vcc_lo, exec_lo, s26
	s_cbranch_vccnz .LBB24_485
; %bb.473:
	v_cmp_lt_i16_e32 vcc_lo, 14, v3
	s_cbranch_vccz .LBB24_476
; %bb.474:
	v_cmp_eq_u16_e32 vcc_lo, 15, v3
	s_cbranch_vccz .LBB24_479
; %bb.475:
	global_load_u16 v5, v[1:2], off
	s_mov_b32 s2, -1
	s_mov_b32 s3, 0
	s_waitcnt vmcnt(0)
	v_lshlrev_b32_e32 v5, 16, v5
	s_delay_alu instid0(VALU_DEP_1)
	v_cvt_f16_f32_e32 v6, v5
	s_branch .LBB24_480
.LBB24_476:
	s_mov_b32 s26, -1
                                        ; implicit-def: $vgpr6
	s_branch .LBB24_481
.LBB24_477:
	s_or_saveexec_b32 s27, s27
	v_mov_b32_e32 v6, s26
	s_xor_b32 exec_lo, exec_lo, s27
	s_cbranch_execz .LBB24_458
.LBB24_478:
	v_cmp_ne_u16_e32 vcc_lo, 0, v5
	v_mov_b32_e32 v6, v5
	s_and_not1_b32 s2, s2, exec_lo
	s_and_b32 s26, vcc_lo, exec_lo
	s_delay_alu instid0(SALU_CYCLE_1)
	s_or_b32 s2, s2, s26
	s_or_b32 exec_lo, exec_lo, s27
	s_and_saveexec_b32 s26, s2
	s_cbranch_execnz .LBB24_459
	s_branch .LBB24_460
.LBB24_479:
	s_mov_b32 s3, -1
                                        ; implicit-def: $vgpr6
.LBB24_480:
	s_mov_b32 s26, 0
.LBB24_481:
	s_delay_alu instid0(SALU_CYCLE_1)
	s_and_b32 vcc_lo, exec_lo, s26
	s_cbranch_vccz .LBB24_485
; %bb.482:
	v_cmp_eq_u16_e32 vcc_lo, 11, v3
	s_cbranch_vccz .LBB24_484
; %bb.483:
	global_load_u8 v5, v[1:2], off
	s_mov_b32 s3, 0
	s_mov_b32 s2, -1
	s_waitcnt vmcnt(0)
	v_cmp_ne_u16_e32 vcc_lo, 0, v5
	v_cndmask_b32_e64 v6, 0, 0x3c00, vcc_lo
	s_branch .LBB24_485
.LBB24_484:
	s_mov_b32 s3, -1
                                        ; implicit-def: $vgpr6
.LBB24_485:
	s_branch .LBB24_288
.LBB24_486:
	v_cmp_gt_i16_e32 vcc_lo, 5, v3
	s_cbranch_vccnz .LBB24_491
; %bb.487:
	v_cmp_gt_i16_e32 vcc_lo, 8, v3
	s_cbranch_vccnz .LBB24_492
; %bb.488:
	;; [unrolled: 3-line block ×3, first 2 shown]
	v_cmp_lt_i16_e32 vcc_lo, 9, v3
	s_cbranch_vccz .LBB24_494
; %bb.490:
	global_load_b64 v[5:6], v[1:2], off
	s_mov_b32 s2, 0
	s_waitcnt vmcnt(0)
	v_cvt_f32_f64_e32 v5, v[5:6]
	s_delay_alu instid0(VALU_DEP_1)
	v_cvt_f16_f32_e32 v6, v5
	s_branch .LBB24_495
.LBB24_491:
	s_mov_b32 s2, -1
                                        ; implicit-def: $vgpr6
	s_branch .LBB24_513
.LBB24_492:
	s_mov_b32 s2, -1
                                        ; implicit-def: $vgpr6
	s_branch .LBB24_501
.LBB24_493:
	s_mov_b32 s2, -1
                                        ; implicit-def: $vgpr6
	s_branch .LBB24_498
.LBB24_494:
	s_mov_b32 s2, -1
                                        ; implicit-def: $vgpr6
.LBB24_495:
	s_delay_alu instid0(SALU_CYCLE_1)
	s_and_not1_b32 vcc_lo, exec_lo, s2
	s_cbranch_vccnz .LBB24_497
; %bb.496:
	global_load_b32 v5, v[1:2], off
	s_waitcnt vmcnt(0)
	v_cvt_f16_f32_e32 v6, v5
.LBB24_497:
	s_mov_b32 s2, 0
.LBB24_498:
	s_delay_alu instid0(SALU_CYCLE_1)
	s_and_not1_b32 vcc_lo, exec_lo, s2
	s_cbranch_vccnz .LBB24_500
; %bb.499:
	global_load_b32 v6, v[1:2], off
.LBB24_500:
	s_mov_b32 s2, 0
.LBB24_501:
	s_delay_alu instid0(SALU_CYCLE_1)
	s_and_not1_b32 vcc_lo, exec_lo, s2
	s_cbranch_vccnz .LBB24_512
; %bb.502:
	v_cmp_gt_i16_e32 vcc_lo, 6, v3
	s_cbranch_vccnz .LBB24_505
; %bb.503:
	v_cmp_lt_i16_e32 vcc_lo, 6, v3
	s_cbranch_vccz .LBB24_506
; %bb.504:
	global_load_b64 v[5:6], v[1:2], off
	s_mov_b32 s2, 0
	s_waitcnt vmcnt(0)
	v_cvt_f32_f64_e32 v5, v[5:6]
	s_delay_alu instid0(VALU_DEP_1)
	v_cvt_f16_f32_e32 v6, v5
	s_branch .LBB24_507
.LBB24_505:
	s_mov_b32 s2, -1
                                        ; implicit-def: $vgpr6
	s_branch .LBB24_510
.LBB24_506:
	s_mov_b32 s2, -1
                                        ; implicit-def: $vgpr6
.LBB24_507:
	s_delay_alu instid0(SALU_CYCLE_1)
	s_and_not1_b32 vcc_lo, exec_lo, s2
	s_cbranch_vccnz .LBB24_509
; %bb.508:
	global_load_b32 v5, v[1:2], off
	s_waitcnt vmcnt(0)
	v_cvt_f16_f32_e32 v6, v5
.LBB24_509:
	s_mov_b32 s2, 0
.LBB24_510:
	s_delay_alu instid0(SALU_CYCLE_1)
	s_and_not1_b32 vcc_lo, exec_lo, s2
	s_cbranch_vccnz .LBB24_512
; %bb.511:
	global_load_u16 v6, v[1:2], off
.LBB24_512:
	s_mov_b32 s2, 0
.LBB24_513:
	s_delay_alu instid0(SALU_CYCLE_1)
	s_and_not1_b32 vcc_lo, exec_lo, s2
	s_cbranch_vccnz .LBB24_533
; %bb.514:
	v_cmp_gt_i16_e32 vcc_lo, 2, v3
	s_cbranch_vccnz .LBB24_518
; %bb.515:
	v_cmp_gt_i16_e32 vcc_lo, 3, v3
	s_cbranch_vccnz .LBB24_519
; %bb.516:
	v_cmp_lt_i16_e32 vcc_lo, 3, v3
	s_cbranch_vccz .LBB24_520
; %bb.517:
	global_load_b64 v[5:6], v[1:2], off
	s_mov_b32 s2, 0
	s_waitcnt vmcnt(0)
	v_xor_b32_e32 v7, v5, v6
	v_cls_i32_e32 v8, v6
	s_delay_alu instid0(VALU_DEP_2) | instskip(NEXT) | instid1(VALU_DEP_2)
	v_ashrrev_i32_e32 v7, 31, v7
	v_add_nc_u32_e32 v8, -1, v8
	s_delay_alu instid0(VALU_DEP_2) | instskip(NEXT) | instid1(VALU_DEP_1)
	v_add_nc_u32_e32 v7, 32, v7
	v_min_u32_e32 v7, v8, v7
	s_delay_alu instid0(VALU_DEP_1) | instskip(NEXT) | instid1(VALU_DEP_1)
	v_lshlrev_b64 v[5:6], v7, v[5:6]
	v_min_u32_e32 v5, 1, v5
	s_delay_alu instid0(VALU_DEP_1) | instskip(SKIP_1) | instid1(VALU_DEP_2)
	v_or_b32_e32 v5, v6, v5
	v_sub_nc_u32_e32 v6, 32, v7
	v_cvt_f32_i32_e32 v5, v5
	s_delay_alu instid0(VALU_DEP_1) | instskip(NEXT) | instid1(VALU_DEP_1)
	v_ldexp_f32 v5, v5, v6
	v_cvt_f16_f32_e32 v6, v5
	s_branch .LBB24_521
.LBB24_518:
	s_mov_b32 s2, -1
                                        ; implicit-def: $vgpr6
	s_branch .LBB24_527
.LBB24_519:
	s_mov_b32 s2, -1
                                        ; implicit-def: $vgpr6
	s_branch .LBB24_524
.LBB24_520:
	s_mov_b32 s2, -1
                                        ; implicit-def: $vgpr6
.LBB24_521:
	s_delay_alu instid0(SALU_CYCLE_1)
	s_and_not1_b32 vcc_lo, exec_lo, s2
	s_cbranch_vccnz .LBB24_523
; %bb.522:
	global_load_b32 v5, v[1:2], off
	s_waitcnt vmcnt(0)
	v_cvt_f32_i32_e32 v5, v5
	s_delay_alu instid0(VALU_DEP_1)
	v_cvt_f16_f32_e32 v6, v5
.LBB24_523:
	s_mov_b32 s2, 0
.LBB24_524:
	s_delay_alu instid0(SALU_CYCLE_1)
	s_and_not1_b32 vcc_lo, exec_lo, s2
	s_cbranch_vccnz .LBB24_526
; %bb.525:
	global_load_u16 v5, v[1:2], off
	s_waitcnt vmcnt(0)
	v_cvt_f16_i16_e32 v6, v5
.LBB24_526:
	s_mov_b32 s2, 0
.LBB24_527:
	s_delay_alu instid0(SALU_CYCLE_1)
	s_and_not1_b32 vcc_lo, exec_lo, s2
	s_cbranch_vccnz .LBB24_533
; %bb.528:
	v_cmp_lt_i16_e32 vcc_lo, 0, v3
	s_mov_b32 s2, 0
	s_cbranch_vccz .LBB24_530
; %bb.529:
	global_load_i8 v5, v[1:2], off
	s_waitcnt vmcnt(0)
	v_cvt_f16_i16_e32 v6, v5
	s_branch .LBB24_531
.LBB24_530:
	s_mov_b32 s2, -1
                                        ; implicit-def: $vgpr6
.LBB24_531:
	s_delay_alu instid0(SALU_CYCLE_1)
	s_and_not1_b32 vcc_lo, exec_lo, s2
	s_cbranch_vccnz .LBB24_533
; %bb.532:
	global_load_u8 v1, v[1:2], off
	s_waitcnt vmcnt(0)
	v_cvt_f16_u16_e32 v6, v1
.LBB24_533:
	s_branch .LBB24_289
.LBB24_534:
	s_mov_b32 s26, 0
	s_mov_b32 s2, s39
.LBB24_535:
                                        ; implicit-def: $vgpr4
.LBB24_536:
	s_and_not1_b32 s27, s39, exec_lo
	s_and_b32 s2, s2, exec_lo
	s_and_not1_b32 s42, s40, exec_lo
	s_and_b32 s3, s3, exec_lo
	s_or_b32 s43, s27, s2
	s_or_b32 s42, s42, s3
	s_or_not1_b32 s2, s26, exec_lo
.LBB24_537:
	s_or_b32 exec_lo, exec_lo, s44
	s_mov_b32 s3, 0
	s_mov_b32 s27, 0
	;; [unrolled: 1-line block ×3, first 2 shown]
                                        ; implicit-def: $vgpr1_vgpr2
                                        ; implicit-def: $vgpr0
                                        ; implicit-def: $vgpr5
	s_and_saveexec_b32 s44, s2
	s_cbranch_execz .LBB24_911
; %bb.538:
	s_mov_b32 s47, -1
	s_mov_b32 s26, s42
	s_mov_b32 s27, s43
	s_mov_b32 s45, exec_lo
	v_cmpx_gt_i32_e64 s36, v4
	s_cbranch_execz .LBB24_812
; %bb.539:
	s_and_not1_b32 vcc_lo, exec_lo, s31
	s_cbranch_vccnz .LBB24_544
; %bb.540:
	v_dual_mov_b32 v0, 0 :: v_dual_mov_b32 v1, 0
	s_and_not1_b32 vcc_lo, exec_lo, s38
	s_mov_b32 s46, 0
	s_cbranch_vccnz .LBB24_549
; %bb.541:
	v_mov_b32_e32 v0, 0
	s_add_i32 s48, s37, 1
	s_cmp_eq_u32 s29, 2
	s_mov_b32 s47, 0
	s_cbranch_scc1 .LBB24_545
; %bb.542:
	v_dual_mov_b32 v1, 0 :: v_dual_mov_b32 v0, 0
	v_mov_b32_e32 v2, v4
	s_and_b32 s47, s48, 28
	s_mov_b32 s49, 0
	s_mov_b64 s[2:3], s[24:25]
	s_mov_b64 s[26:27], s[20:21]
.LBB24_543:                             ; =>This Inner Loop Header: Depth=1
	s_clause 0x1
	s_load_b256 s[52:59], s[26:27], 0x4
	s_load_b128 s[68:71], s[26:27], 0x24
	s_load_b256 s[60:67], s[2:3], 0x0
	s_add_u32 s26, s26, 48
	s_addc_u32 s27, s27, 0
	s_add_i32 s49, s49, 4
	s_add_u32 s2, s2, 32
	s_addc_u32 s3, s3, 0
	s_cmp_eq_u32 s47, s49
	s_waitcnt lgkmcnt(0)
	v_mul_hi_u32 v5, s53, v2
	s_delay_alu instid0(VALU_DEP_1) | instskip(NEXT) | instid1(VALU_DEP_1)
	v_add_nc_u32_e32 v5, v2, v5
	v_lshrrev_b32_e32 v5, s54, v5
	s_waitcnt vmcnt(0)
	s_delay_alu instid0(VALU_DEP_1) | instskip(SKIP_1) | instid1(VALU_DEP_2)
	v_mul_hi_u32 v6, s56, v5
	v_mul_lo_u32 v8, v5, s52
	v_add_nc_u32_e32 v6, v5, v6
	s_delay_alu instid0(VALU_DEP_2) | instskip(NEXT) | instid1(VALU_DEP_2)
	v_sub_nc_u32_e32 v2, v2, v8
	v_lshrrev_b32_e32 v6, s57, v6
	s_delay_alu instid0(VALU_DEP_2) | instskip(SKIP_1) | instid1(VALU_DEP_3)
	v_mul_lo_u32 v8, v2, s60
	v_mul_lo_u32 v10, v2, s61
	v_mul_hi_u32 v7, s59, v6
	s_delay_alu instid0(VALU_DEP_1) | instskip(NEXT) | instid1(VALU_DEP_1)
	v_add_nc_u32_e32 v7, v6, v7
	v_lshrrev_b32_e32 v7, s68, v7
	s_delay_alu instid0(VALU_DEP_1) | instskip(SKIP_1) | instid1(VALU_DEP_2)
	v_mul_hi_u32 v9, s70, v7
	v_mul_lo_u32 v11, v7, s58
	v_add_nc_u32_e32 v2, v7, v9
	v_mul_lo_u32 v9, v6, s55
	s_delay_alu instid0(VALU_DEP_3) | instskip(NEXT) | instid1(VALU_DEP_3)
	v_sub_nc_u32_e32 v6, v6, v11
	v_lshrrev_b32_e32 v2, s71, v2
	s_delay_alu instid0(VALU_DEP_2) | instskip(SKIP_2) | instid1(VALU_DEP_4)
	v_mul_lo_u32 v11, v6, s64
	v_mul_lo_u32 v6, v6, s65
	v_sub_nc_u32_e32 v5, v5, v9
	v_mul_lo_u32 v12, v2, s69
	s_delay_alu instid0(VALU_DEP_2) | instskip(SKIP_1) | instid1(VALU_DEP_3)
	v_mul_lo_u32 v9, v5, s62
	v_mul_lo_u32 v5, v5, s63
	v_sub_nc_u32_e32 v7, v7, v12
	s_delay_alu instid0(VALU_DEP_3) | instskip(NEXT) | instid1(VALU_DEP_2)
	v_add3_u32 v0, v8, v0, v9
	v_mul_lo_u32 v12, v7, s66
	v_mul_lo_u32 v7, v7, s67
	v_add3_u32 v1, v10, v1, v5
	s_delay_alu instid0(VALU_DEP_3) | instskip(NEXT) | instid1(VALU_DEP_2)
	v_add3_u32 v0, v11, v0, v12
	v_add3_u32 v1, v6, v1, v7
	s_cbranch_scc0 .LBB24_543
	s_branch .LBB24_546
.LBB24_544:
	s_mov_b32 s46, -1
                                        ; implicit-def: $vgpr0
                                        ; implicit-def: $vgpr1
	s_branch .LBB24_549
.LBB24_545:
	v_dual_mov_b32 v2, v4 :: v_dual_mov_b32 v1, 0
.LBB24_546:
	s_and_b32 s48, s48, 3
	s_delay_alu instid0(SALU_CYCLE_1)
	s_cmp_eq_u32 s48, 0
	s_cbranch_scc1 .LBB24_549
; %bb.547:
	s_lshl_b32 s2, s47, 3
	s_mul_i32 s26, s47, 12
	s_add_u32 s2, s2, s20
	s_addc_u32 s3, s21, 0
	s_add_u32 s2, s2, 0xc4
	s_addc_u32 s3, s3, 0
	;; [unrolled: 2-line block ×3, first 2 shown]
	.p2align	6
.LBB24_548:                             ; =>This Inner Loop Header: Depth=1
	s_clause 0x1
	s_load_b64 s[50:51], s[26:27], 0x4
	s_load_b32 s47, s[26:27], 0xc
	s_load_b64 s[52:53], s[2:3], 0x0
	s_add_u32 s26, s26, 12
	s_addc_u32 s27, s27, 0
	s_add_u32 s2, s2, 8
	s_addc_u32 s3, s3, 0
	s_add_i32 s48, s48, -1
	s_delay_alu instid0(SALU_CYCLE_1) | instskip(SKIP_2) | instid1(VALU_DEP_1)
	s_cmp_lg_u32 s48, 0
	s_waitcnt lgkmcnt(0)
	v_mul_hi_u32 v5, s51, v2
	v_add_nc_u32_e32 v5, v2, v5
	s_delay_alu instid0(VALU_DEP_1) | instskip(NEXT) | instid1(VALU_DEP_1)
	v_lshrrev_b32_e32 v8, s47, v5
	v_mul_lo_u32 v5, v8, s50
	s_delay_alu instid0(VALU_DEP_1) | instskip(SKIP_1) | instid1(VALU_DEP_1)
	v_sub_nc_u32_e32 v2, v2, v5
	s_waitcnt vmcnt(0)
	v_mad_u64_u32 v[5:6], null, v2, s52, v[0:1]
	v_mad_u64_u32 v[6:7], null, v2, s53, v[1:2]
	v_mov_b32_e32 v2, v8
	s_delay_alu instid0(VALU_DEP_2)
	v_dual_mov_b32 v0, v5 :: v_dual_mov_b32 v1, v6
	s_cbranch_scc1 .LBB24_548
.LBB24_549:
	s_and_not1_b32 vcc_lo, exec_lo, s46
	s_cbranch_vccnz .LBB24_552
; %bb.550:
	v_mul_hi_u32 v0, s17, v4
	s_and_not1_b32 vcc_lo, exec_lo, s35
	s_delay_alu instid0(VALU_DEP_1) | instskip(NEXT) | instid1(VALU_DEP_1)
	v_add_nc_u32_e32 v0, v4, v0
	v_lshrrev_b32_e32 v2, s18, v0
	s_delay_alu instid0(VALU_DEP_1) | instskip(NEXT) | instid1(VALU_DEP_1)
	v_mul_lo_u32 v0, v2, s16
	v_sub_nc_u32_e32 v1, v4, v0
	s_delay_alu instid0(VALU_DEP_1)
	v_mul_lo_u32 v0, v1, s12
	v_mul_lo_u32 v1, v1, s13
	s_cbranch_vccnz .LBB24_552
; %bb.551:
	v_mul_hi_u32 v5, s22, v2
	s_delay_alu instid0(VALU_DEP_1) | instskip(NEXT) | instid1(VALU_DEP_1)
	v_add_nc_u32_e32 v5, v2, v5
	v_lshrrev_b32_e32 v5, s23, v5
	s_delay_alu instid0(VALU_DEP_1) | instskip(NEXT) | instid1(VALU_DEP_1)
	v_mul_lo_u32 v5, v5, s19
	v_sub_nc_u32_e32 v2, v2, v5
	s_waitcnt vmcnt(0)
	s_delay_alu instid0(VALU_DEP_1) | instskip(SKIP_1) | instid1(VALU_DEP_1)
	v_mad_u64_u32 v[5:6], null, v2, s14, v[0:1]
	v_mad_u64_u32 v[6:7], null, v2, s15, v[1:2]
	v_dual_mov_b32 v0, v5 :: v_dual_mov_b32 v1, v6
.LBB24_552:
	v_cmp_gt_i16_e32 vcc_lo, 11, v3
	s_delay_alu instid0(VALU_DEP_2) | instskip(NEXT) | instid1(VALU_DEP_1)
	v_add_co_u32 v1, s2, s6, v1
	v_add_co_ci_u32_e64 v2, null, s7, 0, s2
	s_mov_b32 s2, 0
	s_cbranch_vccnz .LBB24_559
; %bb.553:
	v_cmp_lt_i16_e32 vcc_lo, 25, v3
	s_cbranch_vccz .LBB24_560
; %bb.554:
	v_cmp_lt_i16_e32 vcc_lo, 28, v3
	s_cbranch_vccz .LBB24_561
	;; [unrolled: 3-line block ×4, first 2 shown]
; %bb.557:
	v_cmp_eq_u16_e32 vcc_lo, 46, v3
	s_mov_b32 s26, 0
	s_cbranch_vccz .LBB24_568
; %bb.558:
	global_load_b32 v5, v[1:2], off
	s_mov_b32 s2, -1
	s_mov_b32 s3, 0
	s_waitcnt vmcnt(0)
	v_lshlrev_b32_e32 v5, 16, v5
	s_delay_alu instid0(VALU_DEP_1)
	v_cvt_f16_f32_e32 v6, v5
	s_branch .LBB24_570
.LBB24_559:
	s_mov_b32 s26, -1
	s_mov_b32 s3, s42
                                        ; implicit-def: $vgpr6
	s_branch .LBB24_635
.LBB24_560:
	s_mov_b32 s26, -1
	s_mov_b32 s3, s42
                                        ; implicit-def: $vgpr6
	s_branch .LBB24_599
.LBB24_561:
	s_mov_b32 s26, -1
	s_mov_b32 s3, s42
                                        ; implicit-def: $vgpr6
	s_branch .LBB24_580
.LBB24_562:
	s_mov_b32 s26, -1
	s_mov_b32 s3, s42
                                        ; implicit-def: $vgpr6
	s_branch .LBB24_575
.LBB24_563:
	s_or_saveexec_b32 s42, s42
                                        ; implicit-def: $sgpr43
	s_delay_alu instid0(SALU_CYCLE_1)
	s_xor_b32 exec_lo, exec_lo, s42
	s_cbranch_execz .LBB24_374
.LBB24_564:
	v_add_f32_e64 v7, 0x46000000, |v6|
	s_and_not1_b32 s27, s27, exec_lo
	s_mov_b32 s43, 0
	s_delay_alu instid0(VALU_DEP_1) | instskip(NEXT) | instid1(VALU_DEP_1)
	v_and_b32_e32 v7, 0xff, v7
	v_cmp_ne_u32_e32 vcc_lo, 0, v7
	s_and_b32 s45, vcc_lo, exec_lo
	s_delay_alu instid0(SALU_CYCLE_1)
	s_or_b32 s27, s27, s45
	s_or_b32 exec_lo, exec_lo, s42
	v_mov_b32_e32 v8, s43
	s_and_saveexec_b32 s42, s27
	s_cbranch_execnz .LBB24_375
	s_branch .LBB24_376
.LBB24_565:
	s_mov_b32 s26, -1
	s_mov_b32 s3, s42
	s_branch .LBB24_569
.LBB24_566:
	s_or_saveexec_b32 s42, s42
                                        ; implicit-def: $sgpr43
	s_delay_alu instid0(SALU_CYCLE_1)
	s_xor_b32 exec_lo, exec_lo, s42
	s_cbranch_execz .LBB24_387
.LBB24_567:
	v_add_f32_e64 v7, 0x42800000, |v6|
	s_and_not1_b32 s27, s27, exec_lo
	s_mov_b32 s43, 0
	s_delay_alu instid0(VALU_DEP_1) | instskip(NEXT) | instid1(VALU_DEP_1)
	v_and_b32_e32 v7, 0xff, v7
	v_cmp_ne_u32_e32 vcc_lo, 0, v7
	s_and_b32 s45, vcc_lo, exec_lo
	s_delay_alu instid0(SALU_CYCLE_1)
	s_or_b32 s27, s27, s45
	s_or_b32 exec_lo, exec_lo, s42
	v_mov_b32_e32 v8, s43
	s_and_saveexec_b32 s42, s27
	s_cbranch_execnz .LBB24_388
	s_branch .LBB24_389
.LBB24_568:
	s_mov_b32 s3, -1
.LBB24_569:
                                        ; implicit-def: $vgpr6
.LBB24_570:
	s_and_b32 vcc_lo, exec_lo, s26
	s_cbranch_vccz .LBB24_574
; %bb.571:
	v_cmp_eq_u16_e32 vcc_lo, 44, v3
	s_cbranch_vccz .LBB24_573
; %bb.572:
	global_load_u8 v5, v[1:2], off
	s_mov_b32 s3, 0
	s_mov_b32 s2, -1
	s_waitcnt vmcnt(0)
	v_lshlrev_b32_e32 v6, 23, v5
	v_cmp_ne_u32_e32 vcc_lo, 0xff, v5
	s_delay_alu instid0(VALU_DEP_2) | instskip(NEXT) | instid1(VALU_DEP_1)
	v_cvt_f16_f32_e32 v6, v6
	v_cndmask_b32_e32 v6, 0x7e00, v6, vcc_lo
	v_cmp_ne_u32_e32 vcc_lo, 0, v5
	s_delay_alu instid0(VALU_DEP_2)
	v_cndmask_b32_e32 v6, 0, v6, vcc_lo
	s_branch .LBB24_574
.LBB24_573:
	s_mov_b32 s3, -1
                                        ; implicit-def: $vgpr6
.LBB24_574:
	s_mov_b32 s26, 0
.LBB24_575:
	s_delay_alu instid0(SALU_CYCLE_1)
	s_and_b32 vcc_lo, exec_lo, s26
	s_cbranch_vccz .LBB24_579
; %bb.576:
	v_cmp_eq_u16_e32 vcc_lo, 29, v3
	s_cbranch_vccz .LBB24_578
; %bb.577:
	global_load_b64 v[5:6], v[1:2], off
	s_mov_b32 s2, -1
	s_mov_b32 s3, 0
	s_mov_b32 s26, 0
	s_waitcnt vmcnt(0)
	v_clz_i32_u32_e32 v7, v6
	s_delay_alu instid0(VALU_DEP_1) | instskip(NEXT) | instid1(VALU_DEP_1)
	v_min_u32_e32 v7, 32, v7
	v_lshlrev_b64 v[5:6], v7, v[5:6]
	s_delay_alu instid0(VALU_DEP_1) | instskip(NEXT) | instid1(VALU_DEP_1)
	v_min_u32_e32 v5, 1, v5
	v_or_b32_e32 v5, v6, v5
	v_sub_nc_u32_e32 v6, 32, v7
	s_delay_alu instid0(VALU_DEP_2) | instskip(NEXT) | instid1(VALU_DEP_1)
	v_cvt_f32_u32_e32 v5, v5
	v_ldexp_f32 v5, v5, v6
	s_delay_alu instid0(VALU_DEP_1)
	v_cvt_f16_f32_e32 v6, v5
	s_branch .LBB24_580
.LBB24_578:
	s_mov_b32 s3, -1
                                        ; implicit-def: $vgpr6
.LBB24_579:
	s_mov_b32 s26, 0
.LBB24_580:
	s_delay_alu instid0(SALU_CYCLE_1)
	s_and_b32 vcc_lo, exec_lo, s26
	s_cbranch_vccz .LBB24_598
; %bb.581:
	v_cmp_gt_i16_e32 vcc_lo, 27, v3
	s_cbranch_vccnz .LBB24_584
; %bb.582:
	v_cmp_lt_i16_e32 vcc_lo, 27, v3
	s_cbranch_vccz .LBB24_585
; %bb.583:
	global_load_b32 v5, v[1:2], off
	s_mov_b32 s2, 0
	s_waitcnt vmcnt(0)
	v_cvt_f32_u32_e32 v5, v5
	s_delay_alu instid0(VALU_DEP_1)
	v_cvt_f16_f32_e32 v6, v5
	s_branch .LBB24_586
.LBB24_584:
	s_mov_b32 s2, -1
                                        ; implicit-def: $vgpr6
	s_branch .LBB24_589
.LBB24_585:
	s_mov_b32 s2, -1
                                        ; implicit-def: $vgpr6
.LBB24_586:
	s_delay_alu instid0(SALU_CYCLE_1)
	s_and_not1_b32 vcc_lo, exec_lo, s2
	s_cbranch_vccnz .LBB24_588
; %bb.587:
	global_load_u16 v5, v[1:2], off
	s_waitcnt vmcnt(0)
	v_cvt_f16_u16_e32 v6, v5
.LBB24_588:
	s_mov_b32 s2, 0
.LBB24_589:
	s_delay_alu instid0(SALU_CYCLE_1)
	s_and_not1_b32 vcc_lo, exec_lo, s2
	s_cbranch_vccnz .LBB24_597
; %bb.590:
	global_load_u8 v5, v[1:2], off
	s_mov_b32 s2, 0
	s_mov_b32 s27, exec_lo
                                        ; implicit-def: $sgpr26
	s_waitcnt vmcnt(0)
	v_cmpx_lt_i16_e32 0x7f, v5
	s_xor_b32 s27, exec_lo, s27
	s_cbranch_execz .LBB24_611
; %bb.591:
	s_mov_b32 s2, -1
	s_mov_b32 s46, exec_lo
                                        ; implicit-def: $sgpr26
	v_cmpx_eq_u16_e32 0x80, v5
; %bb.592:
	s_movk_i32 s26, 0x7e00
	s_xor_b32 s2, exec_lo, -1
; %bb.593:
	s_or_b32 exec_lo, exec_lo, s46
	s_delay_alu instid0(SALU_CYCLE_1)
	s_and_b32 s2, s2, exec_lo
	s_or_saveexec_b32 s27, s27
	v_mov_b32_e32 v6, s26
	s_xor_b32 exec_lo, exec_lo, s27
	s_cbranch_execnz .LBB24_612
.LBB24_594:
	s_or_b32 exec_lo, exec_lo, s27
	s_and_saveexec_b32 s26, s2
	s_cbranch_execz .LBB24_596
.LBB24_595:
	v_and_b32_e32 v6, 0xffff, v5
	v_lshlrev_b32_e32 v5, 24, v5
	s_delay_alu instid0(VALU_DEP_2) | instskip(NEXT) | instid1(VALU_DEP_2)
	v_and_b32_e32 v7, 7, v6
	v_and_b32_e32 v5, 0x80000000, v5
	s_delay_alu instid0(VALU_DEP_2) | instskip(NEXT) | instid1(VALU_DEP_1)
	v_clz_i32_u32_e32 v8, v7
	v_min_u32_e32 v8, 32, v8
	s_delay_alu instid0(VALU_DEP_1) | instskip(SKIP_1) | instid1(VALU_DEP_2)
	v_subrev_nc_u32_e32 v9, 28, v8
	v_sub_nc_u32_e32 v8, 29, v8
	v_lshlrev_b32_e32 v9, v9, v6
	v_bfe_u32 v6, v6, 3, 4
	s_delay_alu instid0(VALU_DEP_2) | instskip(NEXT) | instid1(VALU_DEP_2)
	v_and_b32_e32 v9, 7, v9
	v_cmp_eq_u32_e32 vcc_lo, 0, v6
	s_delay_alu instid0(VALU_DEP_2) | instskip(NEXT) | instid1(VALU_DEP_1)
	v_dual_cndmask_b32 v6, v6, v8 :: v_dual_cndmask_b32 v7, v7, v9
	v_lshl_add_u32 v6, v6, 23, 0x3b800000
	s_delay_alu instid0(VALU_DEP_2) | instskip(NEXT) | instid1(VALU_DEP_1)
	v_lshlrev_b32_e32 v7, 20, v7
	v_or3_b32 v5, v5, v6, v7
	s_delay_alu instid0(VALU_DEP_1)
	v_cvt_f16_f32_e32 v6, v5
.LBB24_596:
	s_or_b32 exec_lo, exec_lo, s26
.LBB24_597:
	s_mov_b32 s2, -1
.LBB24_598:
	s_mov_b32 s26, 0
.LBB24_599:
	s_delay_alu instid0(SALU_CYCLE_1)
	s_and_b32 vcc_lo, exec_lo, s26
	s_cbranch_vccz .LBB24_634
; %bb.600:
	v_cmp_lt_i16_e32 vcc_lo, 22, v3
	s_cbranch_vccz .LBB24_610
; %bb.601:
	v_cmp_gt_i16_e32 vcc_lo, 24, v3
	s_cbranch_vccnz .LBB24_613
; %bb.602:
	v_cmp_lt_i16_e32 vcc_lo, 24, v3
	s_cbranch_vccz .LBB24_614
; %bb.603:
	global_load_u8 v5, v[1:2], off
	s_mov_b32 s2, 0
	s_mov_b32 s27, exec_lo
                                        ; implicit-def: $sgpr26
	s_waitcnt vmcnt(0)
	v_cmpx_lt_i16_e32 0x7f, v5
	s_xor_b32 s27, exec_lo, s27
	s_cbranch_execz .LBB24_626
; %bb.604:
	s_mov_b32 s2, -1
	s_mov_b32 s46, exec_lo
                                        ; implicit-def: $sgpr26
	v_cmpx_eq_u16_e32 0x80, v5
; %bb.605:
	s_movk_i32 s26, 0x7e00
	s_xor_b32 s2, exec_lo, -1
; %bb.606:
	s_or_b32 exec_lo, exec_lo, s46
	s_delay_alu instid0(SALU_CYCLE_1)
	s_and_b32 s2, s2, exec_lo
	s_or_saveexec_b32 s27, s27
	v_mov_b32_e32 v6, s26
	s_xor_b32 exec_lo, exec_lo, s27
	s_cbranch_execnz .LBB24_627
.LBB24_607:
	s_or_b32 exec_lo, exec_lo, s27
	s_and_saveexec_b32 s26, s2
	s_cbranch_execz .LBB24_609
.LBB24_608:
	v_and_b32_e32 v6, 0xffff, v5
	v_lshlrev_b32_e32 v5, 24, v5
	s_delay_alu instid0(VALU_DEP_2) | instskip(NEXT) | instid1(VALU_DEP_2)
	v_and_b32_e32 v7, 3, v6
	v_and_b32_e32 v5, 0x80000000, v5
	s_delay_alu instid0(VALU_DEP_2) | instskip(NEXT) | instid1(VALU_DEP_1)
	v_clz_i32_u32_e32 v8, v7
	v_min_u32_e32 v8, 32, v8
	s_delay_alu instid0(VALU_DEP_1) | instskip(SKIP_1) | instid1(VALU_DEP_2)
	v_subrev_nc_u32_e32 v9, 29, v8
	v_sub_nc_u32_e32 v8, 30, v8
	v_lshlrev_b32_e32 v9, v9, v6
	v_bfe_u32 v6, v6, 2, 5
	s_delay_alu instid0(VALU_DEP_2) | instskip(NEXT) | instid1(VALU_DEP_2)
	v_and_b32_e32 v9, 3, v9
	v_cmp_eq_u32_e32 vcc_lo, 0, v6
	s_delay_alu instid0(VALU_DEP_2) | instskip(NEXT) | instid1(VALU_DEP_1)
	v_dual_cndmask_b32 v6, v6, v8 :: v_dual_cndmask_b32 v7, v7, v9
	v_lshl_add_u32 v6, v6, 23, 0x37800000
	s_delay_alu instid0(VALU_DEP_2) | instskip(NEXT) | instid1(VALU_DEP_1)
	v_lshlrev_b32_e32 v7, 21, v7
	v_or3_b32 v5, v5, v6, v7
	s_delay_alu instid0(VALU_DEP_1)
	v_cvt_f16_f32_e32 v6, v5
.LBB24_609:
	s_or_b32 exec_lo, exec_lo, s26
	s_mov_b32 s2, 0
	s_branch .LBB24_615
.LBB24_610:
	s_mov_b32 s26, -1
                                        ; implicit-def: $vgpr6
	s_branch .LBB24_621
.LBB24_611:
	s_or_saveexec_b32 s27, s27
	v_mov_b32_e32 v6, s26
	s_xor_b32 exec_lo, exec_lo, s27
	s_cbranch_execz .LBB24_594
.LBB24_612:
	v_cmp_ne_u16_e32 vcc_lo, 0, v5
	v_mov_b32_e32 v6, v5
	s_and_not1_b32 s2, s2, exec_lo
	s_and_b32 s26, vcc_lo, exec_lo
	s_delay_alu instid0(SALU_CYCLE_1)
	s_or_b32 s2, s2, s26
	s_or_b32 exec_lo, exec_lo, s27
	s_and_saveexec_b32 s26, s2
	s_cbranch_execnz .LBB24_595
	s_branch .LBB24_596
.LBB24_613:
	s_mov_b32 s2, -1
                                        ; implicit-def: $vgpr6
	s_branch .LBB24_618
.LBB24_614:
	s_mov_b32 s2, -1
                                        ; implicit-def: $vgpr6
.LBB24_615:
	s_delay_alu instid0(SALU_CYCLE_1)
	s_and_b32 vcc_lo, exec_lo, s2
	s_cbranch_vccz .LBB24_617
; %bb.616:
	global_load_u8 v5, v[1:2], off
	s_waitcnt vmcnt(0)
	v_lshlrev_b32_e32 v5, 24, v5
	s_delay_alu instid0(VALU_DEP_1) | instskip(NEXT) | instid1(VALU_DEP_1)
	v_and_b32_e32 v6, 0x7f000000, v5
	v_clz_i32_u32_e32 v7, v6
	v_add_nc_u32_e32 v9, 0x1000000, v6
	v_cmp_ne_u32_e32 vcc_lo, 0, v6
	s_delay_alu instid0(VALU_DEP_3) | instskip(NEXT) | instid1(VALU_DEP_1)
	v_min_u32_e32 v7, 32, v7
	v_sub_nc_u32_e64 v7, v7, 4 clamp
	s_delay_alu instid0(VALU_DEP_1) | instskip(SKIP_1) | instid1(VALU_DEP_2)
	v_lshlrev_b32_e32 v8, v7, v6
	v_lshlrev_b32_e32 v7, 23, v7
	v_lshrrev_b32_e32 v8, 4, v8
	s_delay_alu instid0(VALU_DEP_1) | instskip(SKIP_1) | instid1(VALU_DEP_2)
	v_sub_nc_u32_e32 v7, v8, v7
	v_ashrrev_i32_e32 v8, 8, v9
	v_add_nc_u32_e32 v7, 0x3c000000, v7
	s_delay_alu instid0(VALU_DEP_1) | instskip(NEXT) | instid1(VALU_DEP_1)
	v_and_or_b32 v7, 0x7f800000, v8, v7
	v_cndmask_b32_e32 v6, 0, v7, vcc_lo
	s_delay_alu instid0(VALU_DEP_1) | instskip(NEXT) | instid1(VALU_DEP_1)
	v_and_or_b32 v5, 0x80000000, v5, v6
	v_cvt_f16_f32_e32 v6, v5
.LBB24_617:
	s_mov_b32 s2, 0
.LBB24_618:
	s_delay_alu instid0(SALU_CYCLE_1)
	s_and_not1_b32 vcc_lo, exec_lo, s2
	s_cbranch_vccnz .LBB24_620
; %bb.619:
	global_load_u8 v5, v[1:2], off
	s_waitcnt vmcnt(0)
	v_lshlrev_b32_e32 v6, 25, v5
	v_lshlrev_b16 v5, 8, v5
	s_delay_alu instid0(VALU_DEP_2) | instskip(NEXT) | instid1(VALU_DEP_2)
	v_lshrrev_b32_e32 v7, 4, v6
	v_and_or_b32 v8, 0x7f00, v5, 0.5
	v_bfe_i32 v5, v5, 0, 16
	s_delay_alu instid0(VALU_DEP_3) | instskip(NEXT) | instid1(VALU_DEP_1)
	v_or_b32_e32 v7, 0x70000000, v7
	v_dual_add_f32 v8, -0.5, v8 :: v_dual_mul_f32 v7, 0x7800000, v7
	v_cmp_gt_u32_e32 vcc_lo, 0x8000000, v6
	s_delay_alu instid0(VALU_DEP_2) | instskip(NEXT) | instid1(VALU_DEP_1)
	v_cndmask_b32_e32 v6, v7, v8, vcc_lo
	v_and_or_b32 v5, 0x80000000, v5, v6
	s_delay_alu instid0(VALU_DEP_1)
	v_cvt_f16_f32_e32 v6, v5
.LBB24_620:
	s_mov_b32 s26, 0
	s_mov_b32 s2, -1
.LBB24_621:
	s_and_not1_b32 vcc_lo, exec_lo, s26
	s_cbranch_vccnz .LBB24_634
; %bb.622:
	v_cmp_lt_i16_e32 vcc_lo, 14, v3
	s_cbranch_vccz .LBB24_625
; %bb.623:
	v_cmp_eq_u16_e32 vcc_lo, 15, v3
	s_cbranch_vccz .LBB24_628
; %bb.624:
	global_load_u16 v5, v[1:2], off
	s_mov_b32 s2, -1
	s_mov_b32 s3, 0
	s_waitcnt vmcnt(0)
	v_lshlrev_b32_e32 v5, 16, v5
	s_delay_alu instid0(VALU_DEP_1)
	v_cvt_f16_f32_e32 v6, v5
	s_branch .LBB24_629
.LBB24_625:
	s_mov_b32 s26, -1
                                        ; implicit-def: $vgpr6
	s_branch .LBB24_630
.LBB24_626:
	s_or_saveexec_b32 s27, s27
	v_mov_b32_e32 v6, s26
	s_xor_b32 exec_lo, exec_lo, s27
	s_cbranch_execz .LBB24_607
.LBB24_627:
	v_cmp_ne_u16_e32 vcc_lo, 0, v5
	v_mov_b32_e32 v6, v5
	s_and_not1_b32 s2, s2, exec_lo
	s_and_b32 s26, vcc_lo, exec_lo
	s_delay_alu instid0(SALU_CYCLE_1)
	s_or_b32 s2, s2, s26
	s_or_b32 exec_lo, exec_lo, s27
	s_and_saveexec_b32 s26, s2
	s_cbranch_execnz .LBB24_608
	s_branch .LBB24_609
.LBB24_628:
	s_mov_b32 s3, -1
                                        ; implicit-def: $vgpr6
.LBB24_629:
	s_mov_b32 s26, 0
.LBB24_630:
	s_delay_alu instid0(SALU_CYCLE_1)
	s_and_b32 vcc_lo, exec_lo, s26
	s_cbranch_vccz .LBB24_634
; %bb.631:
	v_cmp_eq_u16_e32 vcc_lo, 11, v3
	s_cbranch_vccz .LBB24_633
; %bb.632:
	global_load_u8 v5, v[1:2], off
	s_mov_b32 s3, 0
	s_mov_b32 s2, -1
	s_waitcnt vmcnt(0)
	v_cmp_ne_u16_e32 vcc_lo, 0, v5
	v_cndmask_b32_e64 v6, 0, 0x3c00, vcc_lo
	s_branch .LBB24_634
.LBB24_633:
	s_mov_b32 s3, -1
                                        ; implicit-def: $vgpr6
.LBB24_634:
	s_mov_b32 s26, 0
.LBB24_635:
	s_delay_alu instid0(SALU_CYCLE_1)
	s_and_b32 vcc_lo, exec_lo, s26
	s_cbranch_vccz .LBB24_684
; %bb.636:
	v_cmp_gt_i16_e32 vcc_lo, 5, v3
	s_cbranch_vccnz .LBB24_641
; %bb.637:
	v_cmp_gt_i16_e32 vcc_lo, 8, v3
	s_cbranch_vccnz .LBB24_642
	;; [unrolled: 3-line block ×3, first 2 shown]
; %bb.639:
	v_cmp_lt_i16_e32 vcc_lo, 9, v3
	s_cbranch_vccz .LBB24_644
; %bb.640:
	global_load_b64 v[5:6], v[1:2], off
	s_mov_b32 s2, 0
	s_waitcnt vmcnt(0)
	v_cvt_f32_f64_e32 v5, v[5:6]
	s_delay_alu instid0(VALU_DEP_1)
	v_cvt_f16_f32_e32 v6, v5
	s_branch .LBB24_645
.LBB24_641:
	s_mov_b32 s2, -1
                                        ; implicit-def: $vgpr6
	s_branch .LBB24_663
.LBB24_642:
	s_mov_b32 s2, -1
                                        ; implicit-def: $vgpr6
	s_branch .LBB24_651
.LBB24_643:
	s_mov_b32 s2, -1
                                        ; implicit-def: $vgpr6
	s_branch .LBB24_648
.LBB24_644:
	s_mov_b32 s2, -1
                                        ; implicit-def: $vgpr6
.LBB24_645:
	s_delay_alu instid0(SALU_CYCLE_1)
	s_and_not1_b32 vcc_lo, exec_lo, s2
	s_cbranch_vccnz .LBB24_647
; %bb.646:
	global_load_b32 v5, v[1:2], off
	s_waitcnt vmcnt(0)
	v_cvt_f16_f32_e32 v6, v5
.LBB24_647:
	s_mov_b32 s2, 0
.LBB24_648:
	s_delay_alu instid0(SALU_CYCLE_1)
	s_and_not1_b32 vcc_lo, exec_lo, s2
	s_cbranch_vccnz .LBB24_650
; %bb.649:
	global_load_b32 v6, v[1:2], off
.LBB24_650:
	s_mov_b32 s2, 0
.LBB24_651:
	s_delay_alu instid0(SALU_CYCLE_1)
	s_and_not1_b32 vcc_lo, exec_lo, s2
	s_cbranch_vccnz .LBB24_662
; %bb.652:
	v_cmp_gt_i16_e32 vcc_lo, 6, v3
	s_cbranch_vccnz .LBB24_655
; %bb.653:
	v_cmp_lt_i16_e32 vcc_lo, 6, v3
	s_cbranch_vccz .LBB24_656
; %bb.654:
	global_load_b64 v[5:6], v[1:2], off
	s_mov_b32 s2, 0
	s_waitcnt vmcnt(0)
	v_cvt_f32_f64_e32 v5, v[5:6]
	s_delay_alu instid0(VALU_DEP_1)
	v_cvt_f16_f32_e32 v6, v5
	s_branch .LBB24_657
.LBB24_655:
	s_mov_b32 s2, -1
                                        ; implicit-def: $vgpr6
	s_branch .LBB24_660
.LBB24_656:
	s_mov_b32 s2, -1
                                        ; implicit-def: $vgpr6
.LBB24_657:
	s_delay_alu instid0(SALU_CYCLE_1)
	s_and_not1_b32 vcc_lo, exec_lo, s2
	s_cbranch_vccnz .LBB24_659
; %bb.658:
	global_load_b32 v5, v[1:2], off
	s_waitcnt vmcnt(0)
	v_cvt_f16_f32_e32 v6, v5
.LBB24_659:
	s_mov_b32 s2, 0
.LBB24_660:
	s_delay_alu instid0(SALU_CYCLE_1)
	s_and_not1_b32 vcc_lo, exec_lo, s2
	s_cbranch_vccnz .LBB24_662
; %bb.661:
	global_load_u16 v6, v[1:2], off
.LBB24_662:
	s_mov_b32 s2, 0
.LBB24_663:
	s_delay_alu instid0(SALU_CYCLE_1)
	s_and_not1_b32 vcc_lo, exec_lo, s2
	s_cbranch_vccnz .LBB24_683
; %bb.664:
	v_cmp_gt_i16_e32 vcc_lo, 2, v3
	s_cbranch_vccnz .LBB24_668
; %bb.665:
	v_cmp_gt_i16_e32 vcc_lo, 3, v3
	s_cbranch_vccnz .LBB24_669
; %bb.666:
	v_cmp_lt_i16_e32 vcc_lo, 3, v3
	s_cbranch_vccz .LBB24_670
; %bb.667:
	global_load_b64 v[5:6], v[1:2], off
	s_mov_b32 s2, 0
	s_waitcnt vmcnt(0)
	v_xor_b32_e32 v7, v5, v6
	v_cls_i32_e32 v8, v6
	s_delay_alu instid0(VALU_DEP_2) | instskip(NEXT) | instid1(VALU_DEP_2)
	v_ashrrev_i32_e32 v7, 31, v7
	v_add_nc_u32_e32 v8, -1, v8
	s_delay_alu instid0(VALU_DEP_2) | instskip(NEXT) | instid1(VALU_DEP_1)
	v_add_nc_u32_e32 v7, 32, v7
	v_min_u32_e32 v7, v8, v7
	s_delay_alu instid0(VALU_DEP_1) | instskip(NEXT) | instid1(VALU_DEP_1)
	v_lshlrev_b64 v[5:6], v7, v[5:6]
	v_min_u32_e32 v5, 1, v5
	s_delay_alu instid0(VALU_DEP_1) | instskip(SKIP_1) | instid1(VALU_DEP_2)
	v_or_b32_e32 v5, v6, v5
	v_sub_nc_u32_e32 v6, 32, v7
	v_cvt_f32_i32_e32 v5, v5
	s_delay_alu instid0(VALU_DEP_1) | instskip(NEXT) | instid1(VALU_DEP_1)
	v_ldexp_f32 v5, v5, v6
	v_cvt_f16_f32_e32 v6, v5
	s_branch .LBB24_671
.LBB24_668:
	s_mov_b32 s2, -1
                                        ; implicit-def: $vgpr6
	s_branch .LBB24_677
.LBB24_669:
	s_mov_b32 s2, -1
                                        ; implicit-def: $vgpr6
	s_branch .LBB24_674
.LBB24_670:
	s_mov_b32 s2, -1
                                        ; implicit-def: $vgpr6
.LBB24_671:
	s_delay_alu instid0(SALU_CYCLE_1)
	s_and_not1_b32 vcc_lo, exec_lo, s2
	s_cbranch_vccnz .LBB24_673
; %bb.672:
	global_load_b32 v5, v[1:2], off
	s_waitcnt vmcnt(0)
	v_cvt_f32_i32_e32 v5, v5
	s_delay_alu instid0(VALU_DEP_1)
	v_cvt_f16_f32_e32 v6, v5
.LBB24_673:
	s_mov_b32 s2, 0
.LBB24_674:
	s_delay_alu instid0(SALU_CYCLE_1)
	s_and_not1_b32 vcc_lo, exec_lo, s2
	s_cbranch_vccnz .LBB24_676
; %bb.675:
	global_load_u16 v5, v[1:2], off
	s_waitcnt vmcnt(0)
	v_cvt_f16_i16_e32 v6, v5
.LBB24_676:
	s_mov_b32 s2, 0
.LBB24_677:
	s_delay_alu instid0(SALU_CYCLE_1)
	s_and_not1_b32 vcc_lo, exec_lo, s2
	s_cbranch_vccnz .LBB24_683
; %bb.678:
	v_cmp_lt_i16_e32 vcc_lo, 0, v3
	s_mov_b32 s2, 0
	s_cbranch_vccz .LBB24_680
; %bb.679:
	global_load_i8 v5, v[1:2], off
	s_waitcnt vmcnt(0)
	v_cvt_f16_i16_e32 v6, v5
	s_branch .LBB24_681
.LBB24_680:
	s_mov_b32 s2, -1
                                        ; implicit-def: $vgpr6
.LBB24_681:
	s_delay_alu instid0(SALU_CYCLE_1)
	s_and_not1_b32 vcc_lo, exec_lo, s2
	s_cbranch_vccnz .LBB24_683
; %bb.682:
	global_load_u8 v1, v[1:2], off
	s_waitcnt vmcnt(0)
	v_cvt_f16_u16_e32 v6, v1
.LBB24_683:
	s_mov_b32 s2, -1
.LBB24_684:
	s_delay_alu instid0(SALU_CYCLE_1)
	s_and_not1_b32 vcc_lo, exec_lo, s2
	s_cbranch_vccnz .LBB24_694
; %bb.685:
	s_waitcnt vmcnt(0)
	v_cvt_f32_f16_e32 v1, v6
	s_mov_b32 s2, exec_lo
	s_delay_alu instid0(VALU_DEP_1)
	v_cmpx_nlg_f32_e64 0x7f800000, |v1|
	s_cbranch_execz .LBB24_687
; %bb.686:
	v_dual_mov_b32 v2, 0 :: v_dual_mov_b32 v5, 1.0
	global_store_b32 v2, v5, s[8:9]
.LBB24_687:
	s_or_b32 exec_lo, exec_lo, s2
	v_mov_b32_e32 v2, 0
	v_and_b32_e64 v5, 0xff, s34
	v_add_co_u32 v0, s2, s4, v0
	s_mov_b32 s26, 0
	global_load_b32 v2, v2, s[10:11]
	v_cmp_gt_i16_e32 vcc_lo, 11, v5
	s_mov_b32 s27, -1
	s_and_b32 vcc_lo, exec_lo, vcc_lo
	s_waitcnt vmcnt(0)
	v_fma_mixlo_f16 v7, v2, v1, 0
	v_add_co_ci_u32_e64 v1, null, s5, 0, s2
	v_cmp_eq_f32_e64 s2, 1.0, v2
	s_delay_alu instid0(VALU_DEP_1)
	v_cndmask_b32_e64 v2, v7, v6, s2
	s_mov_b32 s2, s43
	s_cbranch_vccnz .LBB24_695
; %bb.688:
	v_cmp_lt_i16_e32 vcc_lo, 25, v5
	s_cbranch_vccz .LBB24_736
; %bb.689:
	v_cmp_lt_i16_e32 vcc_lo, 28, v5
	s_cbranch_vccz .LBB24_737
	;; [unrolled: 3-line block ×4, first 2 shown]
; %bb.692:
	v_cmp_eq_u16_e32 vcc_lo, 46, v5
	s_mov_b32 s27, 0
	s_mov_b32 s2, -1
	s_cbranch_vccz .LBB24_740
; %bb.693:
	v_cvt_f32_f16_e32 v6, v2
	v_cmp_o_f16_e32 vcc_lo, v2, v2
	s_mov_b32 s26, -1
	s_mov_b32 s2, 0
	s_delay_alu instid0(VALU_DEP_2) | instskip(NEXT) | instid1(VALU_DEP_1)
	v_bfe_u32 v7, v6, 16, 1
	v_add3_u32 v6, v6, v7, 0x7fff
	s_delay_alu instid0(VALU_DEP_1) | instskip(NEXT) | instid1(VALU_DEP_1)
	v_lshrrev_b32_e32 v6, 16, v6
	v_cndmask_b32_e32 v6, 0x7fc0, v6, vcc_lo
	global_store_b32 v[0:1], v6, off
	s_branch .LBB24_740
.LBB24_694:
	s_mov_b32 s46, 0
	s_mov_b32 s2, s43
	s_branch .LBB24_735
.LBB24_695:
	s_and_b32 vcc_lo, exec_lo, s27
	s_cbranch_vccz .LBB24_809
; %bb.696:
	v_cmp_gt_i16_e32 vcc_lo, 5, v5
	s_mov_b32 s26, -1
	s_cbranch_vccnz .LBB24_717
; %bb.697:
	v_cmp_gt_i16_e32 vcc_lo, 8, v5
	s_cbranch_vccnz .LBB24_707
; %bb.698:
	v_cmp_gt_i16_e32 vcc_lo, 9, v5
	s_cbranch_vccnz .LBB24_704
; %bb.699:
	v_cmp_lt_i16_e32 vcc_lo, 9, v5
	s_cbranch_vccz .LBB24_701
; %bb.700:
	v_cvt_f32_f16_e32 v6, v2
	v_mov_b32_e32 v8, 0
	s_mov_b32 s26, 0
	s_delay_alu instid0(VALU_DEP_2) | instskip(NEXT) | instid1(VALU_DEP_2)
	v_cvt_f64_f32_e32 v[6:7], v6
	v_mov_b32_e32 v9, v8
	global_store_b128 v[0:1], v[6:9], off
.LBB24_701:
	s_and_not1_b32 vcc_lo, exec_lo, s26
	s_cbranch_vccnz .LBB24_703
; %bb.702:
	v_cvt_f32_f16_e32 v6, v2
	v_mov_b32_e32 v7, 0
	global_store_b64 v[0:1], v[6:7], off
.LBB24_703:
	s_mov_b32 s26, 0
.LBB24_704:
	s_delay_alu instid0(SALU_CYCLE_1)
	s_and_not1_b32 vcc_lo, exec_lo, s26
	s_cbranch_vccnz .LBB24_706
; %bb.705:
	v_and_b32_e32 v6, 0xffff, v2
	global_store_b32 v[0:1], v6, off
.LBB24_706:
	s_mov_b32 s26, 0
.LBB24_707:
	s_delay_alu instid0(SALU_CYCLE_1)
	s_and_not1_b32 vcc_lo, exec_lo, s26
	s_cbranch_vccnz .LBB24_716
; %bb.708:
	v_cmp_gt_i16_e32 vcc_lo, 6, v5
	s_mov_b32 s26, -1
	s_cbranch_vccnz .LBB24_714
; %bb.709:
	v_cmp_lt_i16_e32 vcc_lo, 6, v5
	s_cbranch_vccz .LBB24_711
; %bb.710:
	v_cvt_f32_f16_e32 v6, v2
	s_mov_b32 s26, 0
	s_delay_alu instid0(VALU_DEP_1)
	v_cvt_f64_f32_e32 v[6:7], v6
	global_store_b64 v[0:1], v[6:7], off
.LBB24_711:
	s_and_not1_b32 vcc_lo, exec_lo, s26
	s_cbranch_vccnz .LBB24_713
; %bb.712:
	v_cvt_f32_f16_e32 v6, v2
	global_store_b32 v[0:1], v6, off
.LBB24_713:
	s_mov_b32 s26, 0
.LBB24_714:
	s_delay_alu instid0(SALU_CYCLE_1)
	s_and_not1_b32 vcc_lo, exec_lo, s26
	s_cbranch_vccnz .LBB24_716
; %bb.715:
	global_store_b16 v[0:1], v2, off
.LBB24_716:
	s_mov_b32 s26, 0
.LBB24_717:
	s_delay_alu instid0(SALU_CYCLE_1)
	s_and_not1_b32 vcc_lo, exec_lo, s26
	s_cbranch_vccnz .LBB24_733
; %bb.718:
	v_cmp_gt_i16_e32 vcc_lo, 2, v5
	s_mov_b32 s26, -1
	s_cbranch_vccnz .LBB24_728
; %bb.719:
	v_cmp_gt_i16_e32 vcc_lo, 3, v5
	s_cbranch_vccnz .LBB24_725
; %bb.720:
	v_cmp_lt_i16_e32 vcc_lo, 3, v5
	s_cbranch_vccz .LBB24_722
; %bb.721:
	v_cvt_f32_f16_e32 v6, v2
	s_mov_b32 s26, 0
	s_delay_alu instid0(VALU_DEP_1) | instskip(NEXT) | instid1(VALU_DEP_1)
	v_cvt_i32_f32_e32 v6, v6
	v_ashrrev_i32_e32 v7, 31, v6
	global_store_b64 v[0:1], v[6:7], off
.LBB24_722:
	s_and_not1_b32 vcc_lo, exec_lo, s26
	s_cbranch_vccnz .LBB24_724
; %bb.723:
	v_cvt_f32_f16_e32 v6, v2
	s_delay_alu instid0(VALU_DEP_1)
	v_cvt_i32_f32_e32 v6, v6
	global_store_b32 v[0:1], v6, off
.LBB24_724:
	s_mov_b32 s26, 0
.LBB24_725:
	s_delay_alu instid0(SALU_CYCLE_1)
	s_and_not1_b32 vcc_lo, exec_lo, s26
	s_cbranch_vccnz .LBB24_727
; %bb.726:
	v_cvt_i16_f16_e32 v6, v2
	global_store_b16 v[0:1], v6, off
.LBB24_727:
	s_mov_b32 s26, 0
.LBB24_728:
	s_delay_alu instid0(SALU_CYCLE_1)
	s_and_not1_b32 vcc_lo, exec_lo, s26
	s_cbranch_vccnz .LBB24_733
; %bb.729:
	v_cmp_lt_i16_e32 vcc_lo, 0, v5
	s_mov_b32 s26, -1
	s_cbranch_vccz .LBB24_731
; %bb.730:
	v_cvt_i16_f16_e32 v5, v2
	s_mov_b32 s26, 0
	global_store_b8 v[0:1], v5, off
.LBB24_731:
	s_and_not1_b32 vcc_lo, exec_lo, s26
	s_cbranch_vccnz .LBB24_733
; %bb.732:
	v_cvt_f32_f16_e32 v2, v2
	s_delay_alu instid0(VALU_DEP_1)
	v_cvt_i32_f32_e32 v2, v2
	global_store_b8 v[0:1], v2, off
.LBB24_733:
	s_branch .LBB24_810
.LBB24_734:
	s_mov_b32 s46, 0
.LBB24_735:
                                        ; implicit-def: $vgpr4
	s_branch .LBB24_811
.LBB24_736:
	s_mov_b32 s2, s43
	s_branch .LBB24_767
.LBB24_737:
	s_mov_b32 s2, s43
	s_branch .LBB24_750
.LBB24_738:
	s_mov_b32 s2, s43
	s_branch .LBB24_746
.LBB24_739:
	s_mov_b32 s2, s43
.LBB24_740:
	s_and_b32 vcc_lo, exec_lo, s27
	s_cbranch_vccz .LBB24_745
; %bb.741:
	v_cmp_eq_u16_e32 vcc_lo, 44, v5
	s_mov_b32 s2, -1
	s_cbranch_vccz .LBB24_745
; %bb.742:
	v_cvt_f32_f16_e32 v6, v2
	v_mov_b32_e32 v7, 0xff
	s_mov_b32 s26, exec_lo
	s_delay_alu instid0(VALU_DEP_2) | instskip(NEXT) | instid1(VALU_DEP_1)
	v_bfe_u32 v8, v6, 23, 8
	v_cmpx_ne_u32_e32 0xff, v8
; %bb.743:
	v_and_b32_e32 v7, 0x400000, v6
	v_and_or_b32 v8, 0x3fffff, v6, v8
	v_lshrrev_b32_e32 v6, 23, v6
	s_delay_alu instid0(VALU_DEP_3) | instskip(NEXT) | instid1(VALU_DEP_3)
	v_cmp_ne_u32_e32 vcc_lo, 0, v7
	v_cmp_ne_u32_e64 s2, 0, v8
	s_delay_alu instid0(VALU_DEP_1) | instskip(NEXT) | instid1(SALU_CYCLE_1)
	s_and_b32 s2, vcc_lo, s2
	v_cndmask_b32_e64 v7, 0, 1, s2
	s_delay_alu instid0(VALU_DEP_1)
	v_add_nc_u32_e32 v7, v6, v7
; %bb.744:
	s_or_b32 exec_lo, exec_lo, s26
	s_mov_b32 s26, -1
	s_mov_b32 s2, 0
	global_store_b8 v[0:1], v7, off
.LBB24_745:
	s_mov_b32 s27, 0
.LBB24_746:
	s_delay_alu instid0(SALU_CYCLE_1)
	s_and_b32 vcc_lo, exec_lo, s27
	s_cbranch_vccz .LBB24_749
; %bb.747:
	v_cmp_eq_u16_e32 vcc_lo, 29, v5
	s_mov_b32 s2, -1
	s_cbranch_vccz .LBB24_749
; %bb.748:
	v_cvt_f32_f16_e32 v6, v2
	v_mov_b32_e32 v7, 0
	s_mov_b32 s2, 0
	s_mov_b32 s26, -1
	s_mov_b32 s27, 0
	v_cvt_u32_f32_e32 v6, v6
	global_store_b64 v[0:1], v[6:7], off
	s_branch .LBB24_750
.LBB24_749:
	s_mov_b32 s27, 0
.LBB24_750:
	s_delay_alu instid0(SALU_CYCLE_1)
	s_and_b32 vcc_lo, exec_lo, s27
	s_cbranch_vccz .LBB24_766
; %bb.751:
	v_cmp_gt_i16_e32 vcc_lo, 27, v5
	s_mov_b32 s26, -1
	s_cbranch_vccnz .LBB24_757
; %bb.752:
	v_cmp_lt_i16_e32 vcc_lo, 27, v5
	s_cbranch_vccz .LBB24_754
; %bb.753:
	v_cvt_f32_f16_e32 v6, v2
	s_mov_b32 s26, 0
	s_delay_alu instid0(VALU_DEP_1)
	v_cvt_u32_f32_e32 v6, v6
	global_store_b32 v[0:1], v6, off
.LBB24_754:
	s_and_not1_b32 vcc_lo, exec_lo, s26
	s_cbranch_vccnz .LBB24_756
; %bb.755:
	v_cvt_u16_f16_e32 v6, v2
	global_store_b16 v[0:1], v6, off
.LBB24_756:
	s_mov_b32 s26, 0
.LBB24_757:
	s_delay_alu instid0(SALU_CYCLE_1)
	s_and_not1_b32 vcc_lo, exec_lo, s26
	s_cbranch_vccnz .LBB24_765
; %bb.758:
	v_cvt_f32_f16_e32 v6, v2
	v_mov_b32_e32 v8, 0x80
	s_mov_b32 s26, exec_lo
	s_delay_alu instid0(VALU_DEP_2) | instskip(NEXT) | instid1(VALU_DEP_1)
	v_and_b32_e32 v7, 0x7fffffff, v6
	v_cmpx_gt_u32_e32 0x43800000, v7
	s_cbranch_execz .LBB24_764
; %bb.759:
	v_cmp_lt_u32_e32 vcc_lo, 0x3bffffff, v7
	s_mov_b32 s27, 0
                                        ; implicit-def: $vgpr7
	s_and_saveexec_b32 s46, vcc_lo
	s_delay_alu instid0(SALU_CYCLE_1)
	s_xor_b32 s46, exec_lo, s46
	s_cbranch_execz .LBB24_838
; %bb.760:
	v_bfe_u32 v7, v6, 20, 1
	s_mov_b32 s27, exec_lo
	s_delay_alu instid0(VALU_DEP_1) | instskip(NEXT) | instid1(VALU_DEP_1)
	v_add3_u32 v7, v6, v7, 0x487ffff
	v_lshrrev_b32_e32 v7, 20, v7
	s_or_saveexec_b32 s46, s46
                                        ; implicit-def: $sgpr47
	s_delay_alu instid0(SALU_CYCLE_1)
	s_xor_b32 exec_lo, exec_lo, s46
	s_cbranch_execnz .LBB24_839
.LBB24_761:
	s_or_b32 exec_lo, exec_lo, s46
	v_mov_b32_e32 v8, s47
	s_and_saveexec_b32 s46, s27
.LBB24_762:
	v_lshrrev_b32_e32 v6, 24, v6
	s_delay_alu instid0(VALU_DEP_1)
	v_and_or_b32 v8, 0x80, v6, v7
.LBB24_763:
	s_or_b32 exec_lo, exec_lo, s46
.LBB24_764:
	s_delay_alu instid0(SALU_CYCLE_1)
	s_or_b32 exec_lo, exec_lo, s26
	global_store_b8 v[0:1], v8, off
.LBB24_765:
	s_mov_b32 s26, -1
.LBB24_766:
	s_mov_b32 s27, 0
.LBB24_767:
	s_delay_alu instid0(SALU_CYCLE_1)
	s_and_b32 vcc_lo, exec_lo, s27
	s_cbranch_vccz .LBB24_808
; %bb.768:
	v_cmp_lt_i16_e32 vcc_lo, 22, v5
	s_mov_b32 s27, -1
	s_cbranch_vccz .LBB24_800
; %bb.769:
	v_cmp_gt_i16_e32 vcc_lo, 24, v5
	s_mov_b32 s26, -1
	s_cbranch_vccnz .LBB24_789
; %bb.770:
	v_cmp_lt_i16_e32 vcc_lo, 24, v5
	s_cbranch_vccz .LBB24_778
; %bb.771:
	v_cvt_f32_f16_e32 v6, v2
	v_mov_b32_e32 v8, 0x80
	s_mov_b32 s26, exec_lo
	s_delay_alu instid0(VALU_DEP_2) | instskip(NEXT) | instid1(VALU_DEP_1)
	v_and_b32_e32 v7, 0x7fffffff, v6
	v_cmpx_gt_u32_e32 0x47800000, v7
	s_cbranch_execz .LBB24_777
; %bb.772:
	v_cmp_lt_u32_e32 vcc_lo, 0x37ffffff, v7
	s_mov_b32 s27, 0
                                        ; implicit-def: $vgpr7
	s_and_saveexec_b32 s46, vcc_lo
	s_delay_alu instid0(SALU_CYCLE_1)
	s_xor_b32 s46, exec_lo, s46
	s_cbranch_execz .LBB24_841
; %bb.773:
	v_bfe_u32 v7, v6, 21, 1
	s_mov_b32 s27, exec_lo
	s_delay_alu instid0(VALU_DEP_1) | instskip(NEXT) | instid1(VALU_DEP_1)
	v_add3_u32 v7, v6, v7, 0x88fffff
	v_lshrrev_b32_e32 v7, 21, v7
	s_or_saveexec_b32 s46, s46
                                        ; implicit-def: $sgpr47
	s_delay_alu instid0(SALU_CYCLE_1)
	s_xor_b32 exec_lo, exec_lo, s46
	s_cbranch_execnz .LBB24_842
.LBB24_774:
	s_or_b32 exec_lo, exec_lo, s46
	v_mov_b32_e32 v8, s47
	s_and_saveexec_b32 s46, s27
.LBB24_775:
	v_lshrrev_b32_e32 v6, 24, v6
	s_delay_alu instid0(VALU_DEP_1)
	v_and_or_b32 v8, 0x80, v6, v7
.LBB24_776:
	s_or_b32 exec_lo, exec_lo, s46
.LBB24_777:
	s_delay_alu instid0(SALU_CYCLE_1)
	s_or_b32 exec_lo, exec_lo, s26
	s_mov_b32 s26, 0
	global_store_b8 v[0:1], v8, off
.LBB24_778:
	s_and_b32 vcc_lo, exec_lo, s26
	s_cbranch_vccz .LBB24_788
; %bb.779:
	v_cvt_f32_f16_e32 v6, v2
	s_mov_b32 s26, exec_lo
                                        ; implicit-def: $vgpr7
	s_delay_alu instid0(VALU_DEP_1) | instskip(NEXT) | instid1(VALU_DEP_1)
	v_and_b32_e32 v8, 0x7fffffff, v6
	v_cmpx_gt_u32_e32 0x43f00000, v8
	s_xor_b32 s26, exec_lo, s26
	s_cbranch_execz .LBB24_785
; %bb.780:
	s_mov_b32 s27, exec_lo
                                        ; implicit-def: $vgpr7
	v_cmpx_lt_u32_e32 0x3c7fffff, v8
	s_xor_b32 s27, exec_lo, s27
; %bb.781:
	v_bfe_u32 v7, v6, 20, 1
	s_delay_alu instid0(VALU_DEP_1) | instskip(NEXT) | instid1(VALU_DEP_1)
	v_add3_u32 v7, v6, v7, 0x407ffff
	v_and_b32_e32 v8, 0xff00000, v7
	v_lshrrev_b32_e32 v7, 20, v7
	s_delay_alu instid0(VALU_DEP_2) | instskip(NEXT) | instid1(VALU_DEP_2)
	v_cmp_ne_u32_e32 vcc_lo, 0x7f00000, v8
	v_cndmask_b32_e32 v7, 0x7e, v7, vcc_lo
; %bb.782:
	s_and_not1_saveexec_b32 s27, s27
; %bb.783:
	v_add_f32_e64 v7, 0x46800000, |v6|
; %bb.784:
	s_or_b32 exec_lo, exec_lo, s27
                                        ; implicit-def: $vgpr8
.LBB24_785:
	s_and_not1_saveexec_b32 s26, s26
; %bb.786:
	v_mov_b32_e32 v7, 0x7f
	v_cmp_lt_u32_e32 vcc_lo, 0x7f800000, v8
	s_delay_alu instid0(VALU_DEP_2)
	v_cndmask_b32_e32 v7, 0x7e, v7, vcc_lo
; %bb.787:
	s_or_b32 exec_lo, exec_lo, s26
	v_lshrrev_b32_e32 v6, 24, v6
	s_delay_alu instid0(VALU_DEP_1)
	v_and_or_b32 v6, 0x80, v6, v7
	global_store_b8 v[0:1], v6, off
.LBB24_788:
	s_mov_b32 s26, 0
.LBB24_789:
	s_delay_alu instid0(SALU_CYCLE_1)
	s_and_not1_b32 vcc_lo, exec_lo, s26
	s_cbranch_vccnz .LBB24_799
; %bb.790:
	v_cvt_f32_f16_e32 v6, v2
	s_mov_b32 s26, exec_lo
                                        ; implicit-def: $vgpr7
	s_delay_alu instid0(VALU_DEP_1) | instskip(NEXT) | instid1(VALU_DEP_1)
	v_and_b32_e32 v8, 0x7fffffff, v6
	v_cmpx_gt_u32_e32 0x47800000, v8
	s_xor_b32 s26, exec_lo, s26
	s_cbranch_execz .LBB24_796
; %bb.791:
	s_mov_b32 s27, exec_lo
                                        ; implicit-def: $vgpr7
	v_cmpx_lt_u32_e32 0x387fffff, v8
	s_xor_b32 s27, exec_lo, s27
; %bb.792:
	v_bfe_u32 v7, v6, 21, 1
	s_delay_alu instid0(VALU_DEP_1) | instskip(NEXT) | instid1(VALU_DEP_1)
	v_add3_u32 v7, v6, v7, 0x80fffff
	v_lshrrev_b32_e32 v7, 21, v7
; %bb.793:
	s_and_not1_saveexec_b32 s27, s27
; %bb.794:
	v_add_f32_e64 v7, 0x43000000, |v6|
; %bb.795:
	s_or_b32 exec_lo, exec_lo, s27
                                        ; implicit-def: $vgpr8
.LBB24_796:
	s_and_not1_saveexec_b32 s26, s26
; %bb.797:
	v_mov_b32_e32 v7, 0x7f
	v_cmp_lt_u32_e32 vcc_lo, 0x7f800000, v8
	s_delay_alu instid0(VALU_DEP_2)
	v_cndmask_b32_e32 v7, 0x7c, v7, vcc_lo
; %bb.798:
	s_or_b32 exec_lo, exec_lo, s26
	v_lshrrev_b32_e32 v6, 24, v6
	s_delay_alu instid0(VALU_DEP_1)
	v_and_or_b32 v6, 0x80, v6, v7
	global_store_b8 v[0:1], v6, off
.LBB24_799:
	s_mov_b32 s27, 0
	s_mov_b32 s26, -1
.LBB24_800:
	s_and_not1_b32 vcc_lo, exec_lo, s27
	s_cbranch_vccnz .LBB24_808
; %bb.801:
	v_cmp_lt_i16_e32 vcc_lo, 14, v5
	s_mov_b32 s27, -1
	s_cbranch_vccz .LBB24_805
; %bb.802:
	v_cmp_eq_u16_e32 vcc_lo, 15, v5
	s_mov_b32 s2, -1
	s_cbranch_vccz .LBB24_804
; %bb.803:
	v_cvt_f32_f16_e32 v6, v2
	v_cmp_o_f16_e32 vcc_lo, v2, v2
	s_mov_b32 s26, -1
	s_mov_b32 s2, 0
	s_delay_alu instid0(VALU_DEP_2) | instskip(NEXT) | instid1(VALU_DEP_1)
	v_bfe_u32 v7, v6, 16, 1
	v_add3_u32 v6, v6, v7, 0x7fff
	s_delay_alu instid0(VALU_DEP_1) | instskip(NEXT) | instid1(VALU_DEP_1)
	v_lshrrev_b32_e32 v6, 16, v6
	v_cndmask_b32_e32 v6, 0x7fc0, v6, vcc_lo
	global_store_b16 v[0:1], v6, off
.LBB24_804:
	s_mov_b32 s27, 0
.LBB24_805:
	s_delay_alu instid0(SALU_CYCLE_1)
	s_and_b32 vcc_lo, exec_lo, s27
	s_cbranch_vccz .LBB24_808
; %bb.806:
	v_cmp_eq_u16_e32 vcc_lo, 11, v5
	s_mov_b32 s2, -1
	s_cbranch_vccz .LBB24_808
; %bb.807:
	v_cmp_neq_f16_e32 vcc_lo, 0, v2
	s_mov_b32 s2, 0
	s_mov_b32 s26, -1
	v_cndmask_b32_e64 v6, 0, 1, vcc_lo
	global_store_b8 v[0:1], v6, off
.LBB24_808:
.LBB24_809:
	s_and_not1_b32 vcc_lo, exec_lo, s26
	s_cbranch_vccnz .LBB24_734
.LBB24_810:
	v_add_nc_u32_e32 v4, 0x80, v4
	s_mov_b32 s46, -1
.LBB24_811:
	s_and_not1_b32 s26, s43, exec_lo
	s_and_b32 s2, s2, exec_lo
	s_and_not1_b32 s47, s42, exec_lo
	s_and_b32 s3, s3, exec_lo
	s_or_b32 s27, s26, s2
	s_or_b32 s26, s47, s3
	s_or_not1_b32 s47, s46, exec_lo
.LBB24_812:
	s_or_b32 exec_lo, exec_lo, s45
	s_mov_b32 s2, 0
	s_mov_b32 s3, 0
	;; [unrolled: 1-line block ×3, first 2 shown]
                                        ; implicit-def: $vgpr1_vgpr2
                                        ; implicit-def: $vgpr0
                                        ; implicit-def: $vgpr5
	s_and_saveexec_b32 s45, s47
	s_cbranch_execz .LBB24_910
; %bb.813:
	v_cmp_gt_i32_e32 vcc_lo, s36, v4
	s_mov_b32 s48, s26
	s_mov_b32 s47, 0
                                        ; implicit-def: $vgpr1_vgpr2
                                        ; implicit-def: $vgpr0
                                        ; implicit-def: $vgpr5
	s_and_saveexec_b32 s36, vcc_lo
	s_cbranch_execz .LBB24_909
; %bb.814:
	s_and_not1_b32 vcc_lo, exec_lo, s31
	s_cbranch_vccnz .LBB24_819
; %bb.815:
	v_dual_mov_b32 v0, 0 :: v_dual_mov_b32 v1, 0
	s_and_not1_b32 vcc_lo, exec_lo, s38
	s_mov_b32 s38, 0
	s_cbranch_vccnz .LBB24_824
; %bb.816:
	v_mov_b32_e32 v0, 0
	s_add_i32 s46, s37, 1
	s_cmp_eq_u32 s29, 2
	s_mov_b32 s37, 0
	s_cbranch_scc1 .LBB24_820
; %bb.817:
	v_dual_mov_b32 v1, 0 :: v_dual_mov_b32 v0, 0
	v_mov_b32_e32 v2, v4
	s_and_b32 s37, s46, 28
	s_mov_b64 s[2:3], s[20:21]
.LBB24_818:                             ; =>This Inner Loop Header: Depth=1
	s_clause 0x1
	s_load_b256 s[48:55], s[2:3], 0x4
	s_load_b128 s[64:67], s[2:3], 0x24
	s_load_b256 s[56:63], s[24:25], 0x0
	s_add_u32 s2, s2, 48
	s_addc_u32 s3, s3, 0
	s_add_i32 s47, s47, 4
	s_add_u32 s24, s24, 32
	s_addc_u32 s25, s25, 0
	s_cmp_eq_u32 s37, s47
	s_waitcnt lgkmcnt(0)
	v_mul_hi_u32 v5, s49, v2
	s_delay_alu instid0(VALU_DEP_1) | instskip(NEXT) | instid1(VALU_DEP_1)
	v_add_nc_u32_e32 v5, v2, v5
	v_lshrrev_b32_e32 v5, s50, v5
	s_waitcnt vmcnt(0)
	s_delay_alu instid0(VALU_DEP_1) | instskip(SKIP_1) | instid1(VALU_DEP_2)
	v_mul_hi_u32 v6, s52, v5
	v_mul_lo_u32 v8, v5, s48
	v_add_nc_u32_e32 v6, v5, v6
	s_delay_alu instid0(VALU_DEP_2) | instskip(NEXT) | instid1(VALU_DEP_2)
	v_sub_nc_u32_e32 v2, v2, v8
	v_lshrrev_b32_e32 v6, s53, v6
	s_delay_alu instid0(VALU_DEP_2) | instskip(SKIP_1) | instid1(VALU_DEP_3)
	v_mul_lo_u32 v8, v2, s56
	v_mul_lo_u32 v10, v2, s57
	v_mul_hi_u32 v7, s55, v6
	s_delay_alu instid0(VALU_DEP_1) | instskip(NEXT) | instid1(VALU_DEP_1)
	v_add_nc_u32_e32 v7, v6, v7
	v_lshrrev_b32_e32 v7, s64, v7
	s_delay_alu instid0(VALU_DEP_1) | instskip(SKIP_1) | instid1(VALU_DEP_2)
	v_mul_hi_u32 v9, s66, v7
	v_mul_lo_u32 v11, v7, s54
	v_add_nc_u32_e32 v2, v7, v9
	v_mul_lo_u32 v9, v6, s51
	s_delay_alu instid0(VALU_DEP_3) | instskip(NEXT) | instid1(VALU_DEP_3)
	v_sub_nc_u32_e32 v6, v6, v11
	v_lshrrev_b32_e32 v2, s67, v2
	s_delay_alu instid0(VALU_DEP_2) | instskip(SKIP_2) | instid1(VALU_DEP_4)
	v_mul_lo_u32 v11, v6, s60
	v_mul_lo_u32 v6, v6, s61
	v_sub_nc_u32_e32 v5, v5, v9
	v_mul_lo_u32 v12, v2, s65
	s_delay_alu instid0(VALU_DEP_2) | instskip(SKIP_1) | instid1(VALU_DEP_3)
	v_mul_lo_u32 v9, v5, s58
	v_mul_lo_u32 v5, v5, s59
	v_sub_nc_u32_e32 v7, v7, v12
	s_delay_alu instid0(VALU_DEP_3) | instskip(NEXT) | instid1(VALU_DEP_2)
	v_add3_u32 v0, v8, v0, v9
	v_mul_lo_u32 v12, v7, s62
	v_mul_lo_u32 v7, v7, s63
	v_add3_u32 v1, v10, v1, v5
	s_delay_alu instid0(VALU_DEP_3) | instskip(NEXT) | instid1(VALU_DEP_2)
	v_add3_u32 v0, v11, v0, v12
	v_add3_u32 v1, v6, v1, v7
	s_cbranch_scc0 .LBB24_818
	s_branch .LBB24_821
.LBB24_819:
	s_mov_b32 s38, -1
                                        ; implicit-def: $vgpr0
                                        ; implicit-def: $vgpr1
	s_branch .LBB24_824
.LBB24_820:
	v_dual_mov_b32 v2, v4 :: v_dual_mov_b32 v1, 0
.LBB24_821:
	s_and_b32 s46, s46, 3
	s_delay_alu instid0(SALU_CYCLE_1)
	s_cmp_eq_u32 s46, 0
	s_cbranch_scc1 .LBB24_824
; %bb.822:
	s_lshl_b32 s2, s37, 3
	s_mul_i32 s24, s37, 12
	s_add_u32 s2, s2, s20
	s_addc_u32 s3, s21, 0
	s_add_u32 s2, s2, 0xc4
	s_addc_u32 s3, s3, 0
	;; [unrolled: 2-line block ×3, first 2 shown]
.LBB24_823:                             ; =>This Inner Loop Header: Depth=1
	s_clause 0x1
	s_load_b64 s[48:49], s[24:25], 0x4
	s_load_b32 s37, s[24:25], 0xc
	s_load_b64 s[50:51], s[2:3], 0x0
	s_add_u32 s24, s24, 12
	s_addc_u32 s25, s25, 0
	s_add_u32 s2, s2, 8
	s_addc_u32 s3, s3, 0
	s_add_i32 s46, s46, -1
	s_delay_alu instid0(SALU_CYCLE_1) | instskip(SKIP_2) | instid1(VALU_DEP_1)
	s_cmp_lg_u32 s46, 0
	s_waitcnt lgkmcnt(0)
	v_mul_hi_u32 v5, s49, v2
	v_add_nc_u32_e32 v5, v2, v5
	s_delay_alu instid0(VALU_DEP_1) | instskip(NEXT) | instid1(VALU_DEP_1)
	v_lshrrev_b32_e32 v8, s37, v5
	v_mul_lo_u32 v5, v8, s48
	s_delay_alu instid0(VALU_DEP_1) | instskip(SKIP_1) | instid1(VALU_DEP_1)
	v_sub_nc_u32_e32 v2, v2, v5
	s_waitcnt vmcnt(0)
	v_mad_u64_u32 v[5:6], null, v2, s50, v[0:1]
	v_mad_u64_u32 v[6:7], null, v2, s51, v[1:2]
	v_mov_b32_e32 v2, v8
	s_delay_alu instid0(VALU_DEP_2)
	v_dual_mov_b32 v0, v5 :: v_dual_mov_b32 v1, v6
	s_cbranch_scc1 .LBB24_823
.LBB24_824:
	s_and_not1_b32 vcc_lo, exec_lo, s38
	s_cbranch_vccnz .LBB24_827
; %bb.825:
	v_mul_hi_u32 v0, s17, v4
	s_and_not1_b32 vcc_lo, exec_lo, s35
	s_delay_alu instid0(VALU_DEP_1) | instskip(NEXT) | instid1(VALU_DEP_1)
	v_add_nc_u32_e32 v0, v4, v0
	v_lshrrev_b32_e32 v2, s18, v0
	s_delay_alu instid0(VALU_DEP_1) | instskip(NEXT) | instid1(VALU_DEP_1)
	v_mul_lo_u32 v0, v2, s16
	v_sub_nc_u32_e32 v1, v4, v0
	s_delay_alu instid0(VALU_DEP_1)
	v_mul_lo_u32 v0, v1, s12
	v_mul_lo_u32 v1, v1, s13
	s_cbranch_vccnz .LBB24_827
; %bb.826:
	v_mul_hi_u32 v4, s22, v2
	s_delay_alu instid0(VALU_DEP_1) | instskip(NEXT) | instid1(VALU_DEP_1)
	v_add_nc_u32_e32 v4, v2, v4
	v_lshrrev_b32_e32 v4, s23, v4
	s_delay_alu instid0(VALU_DEP_1) | instskip(NEXT) | instid1(VALU_DEP_1)
	v_mul_lo_u32 v4, v4, s19
	v_sub_nc_u32_e32 v2, v2, v4
	s_delay_alu instid0(VALU_DEP_1) | instskip(SKIP_2) | instid1(VALU_DEP_1)
	v_mad_u64_u32 v[4:5], null, v2, s14, v[0:1]
	s_waitcnt vmcnt(0)
	v_mad_u64_u32 v[5:6], null, v2, s15, v[1:2]
	v_dual_mov_b32 v0, v4 :: v_dual_mov_b32 v1, v5
.LBB24_827:
	v_cmp_gt_i16_e32 vcc_lo, 11, v3
	s_delay_alu instid0(VALU_DEP_2) | instskip(NEXT) | instid1(VALU_DEP_1)
	v_add_co_u32 v1, s2, s6, v1
	v_add_co_ci_u32_e64 v2, null, s7, 0, s2
	s_mov_b32 s6, 0
	s_cbranch_vccnz .LBB24_834
; %bb.828:
	v_cmp_lt_i16_e32 vcc_lo, 25, v3
	s_mov_b32 s3, 0
	s_cbranch_vccz .LBB24_835
; %bb.829:
	v_cmp_lt_i16_e32 vcc_lo, 28, v3
	s_cbranch_vccz .LBB24_836
; %bb.830:
	v_cmp_lt_i16_e32 vcc_lo, 43, v3
	;; [unrolled: 3-line block ×3, first 2 shown]
	s_cbranch_vccz .LBB24_840
; %bb.832:
	v_cmp_eq_u16_e32 vcc_lo, 46, v3
	s_mov_b32 s7, 0
	s_cbranch_vccz .LBB24_843
; %bb.833:
	global_load_b32 v4, v[1:2], off
	s_mov_b32 s2, 0
	s_mov_b32 s6, -1
	s_waitcnt vmcnt(0)
	v_lshlrev_b32_e32 v4, 16, v4
	s_delay_alu instid0(VALU_DEP_1)
	v_cvt_f16_f32_e32 v5, v4
	s_branch .LBB24_845
.LBB24_834:
	s_mov_b32 s7, -1
	s_mov_b32 s3, 0
	s_mov_b32 s2, s26
                                        ; implicit-def: $vgpr5
	s_branch .LBB24_908
.LBB24_835:
	s_mov_b32 s7, -1
	s_mov_b32 s2, s26
                                        ; implicit-def: $vgpr5
	s_branch .LBB24_874
.LBB24_836:
	s_mov_b32 s7, -1
	s_mov_b32 s2, s26
                                        ; implicit-def: $vgpr5
	s_branch .LBB24_855
.LBB24_837:
	s_mov_b32 s7, -1
	s_mov_b32 s2, s26
                                        ; implicit-def: $vgpr5
	s_branch .LBB24_850
.LBB24_838:
	s_or_saveexec_b32 s46, s46
                                        ; implicit-def: $sgpr47
	s_delay_alu instid0(SALU_CYCLE_1)
	s_xor_b32 exec_lo, exec_lo, s46
	s_cbranch_execz .LBB24_761
.LBB24_839:
	v_add_f32_e64 v7, 0x46000000, |v6|
	s_and_not1_b32 s27, s27, exec_lo
	s_mov_b32 s47, 0
	s_delay_alu instid0(VALU_DEP_1) | instskip(NEXT) | instid1(VALU_DEP_1)
	v_and_b32_e32 v7, 0xff, v7
	v_cmp_ne_u32_e32 vcc_lo, 0, v7
	s_and_b32 s48, vcc_lo, exec_lo
	s_delay_alu instid0(SALU_CYCLE_1)
	s_or_b32 s27, s27, s48
	s_or_b32 exec_lo, exec_lo, s46
	v_mov_b32_e32 v8, s47
	s_and_saveexec_b32 s46, s27
	s_cbranch_execnz .LBB24_762
	s_branch .LBB24_763
.LBB24_840:
	s_mov_b32 s7, -1
	s_mov_b32 s2, s26
	s_branch .LBB24_844
.LBB24_841:
	s_or_saveexec_b32 s46, s46
                                        ; implicit-def: $sgpr47
	s_delay_alu instid0(SALU_CYCLE_1)
	s_xor_b32 exec_lo, exec_lo, s46
	s_cbranch_execz .LBB24_774
.LBB24_842:
	v_add_f32_e64 v7, 0x42800000, |v6|
	s_and_not1_b32 s27, s27, exec_lo
	s_mov_b32 s47, 0
	s_delay_alu instid0(VALU_DEP_1) | instskip(NEXT) | instid1(VALU_DEP_1)
	v_and_b32_e32 v7, 0xff, v7
	v_cmp_ne_u32_e32 vcc_lo, 0, v7
	s_and_b32 s48, vcc_lo, exec_lo
	s_delay_alu instid0(SALU_CYCLE_1)
	s_or_b32 s27, s27, s48
	s_or_b32 exec_lo, exec_lo, s46
	v_mov_b32_e32 v8, s47
	s_and_saveexec_b32 s46, s27
	s_cbranch_execnz .LBB24_775
	s_branch .LBB24_776
.LBB24_843:
	s_mov_b32 s2, -1
.LBB24_844:
                                        ; implicit-def: $vgpr5
.LBB24_845:
	s_and_b32 vcc_lo, exec_lo, s7
	s_cbranch_vccz .LBB24_849
; %bb.846:
	v_cmp_eq_u16_e32 vcc_lo, 44, v3
	s_cbranch_vccz .LBB24_848
; %bb.847:
	global_load_u8 v4, v[1:2], off
	s_mov_b32 s2, 0
	s_mov_b32 s6, -1
	s_waitcnt vmcnt(0)
	v_lshlrev_b32_e32 v5, 23, v4
	v_cmp_ne_u32_e32 vcc_lo, 0xff, v4
	s_delay_alu instid0(VALU_DEP_2) | instskip(NEXT) | instid1(VALU_DEP_1)
	v_cvt_f16_f32_e32 v5, v5
	v_cndmask_b32_e32 v5, 0x7e00, v5, vcc_lo
	v_cmp_ne_u32_e32 vcc_lo, 0, v4
	s_delay_alu instid0(VALU_DEP_2)
	v_cndmask_b32_e32 v5, 0, v5, vcc_lo
	s_branch .LBB24_849
.LBB24_848:
	s_mov_b32 s2, -1
                                        ; implicit-def: $vgpr5
.LBB24_849:
	s_mov_b32 s7, 0
.LBB24_850:
	s_delay_alu instid0(SALU_CYCLE_1)
	s_and_b32 vcc_lo, exec_lo, s7
	s_cbranch_vccz .LBB24_854
; %bb.851:
	v_cmp_eq_u16_e32 vcc_lo, 29, v3
	s_cbranch_vccz .LBB24_853
; %bb.852:
	global_load_b64 v[4:5], v[1:2], off
	s_mov_b32 s2, 0
	s_mov_b32 s6, -1
	s_mov_b32 s7, 0
	s_waitcnt vmcnt(0)
	v_clz_i32_u32_e32 v6, v5
	s_delay_alu instid0(VALU_DEP_1) | instskip(NEXT) | instid1(VALU_DEP_1)
	v_min_u32_e32 v6, 32, v6
	v_lshlrev_b64 v[4:5], v6, v[4:5]
	s_delay_alu instid0(VALU_DEP_1) | instskip(NEXT) | instid1(VALU_DEP_1)
	v_min_u32_e32 v4, 1, v4
	v_or_b32_e32 v4, v5, v4
	v_sub_nc_u32_e32 v5, 32, v6
	s_delay_alu instid0(VALU_DEP_2) | instskip(NEXT) | instid1(VALU_DEP_1)
	v_cvt_f32_u32_e32 v4, v4
	v_ldexp_f32 v4, v4, v5
	s_delay_alu instid0(VALU_DEP_1)
	v_cvt_f16_f32_e32 v5, v4
	s_branch .LBB24_855
.LBB24_853:
	s_mov_b32 s2, -1
                                        ; implicit-def: $vgpr5
.LBB24_854:
	s_mov_b32 s7, 0
.LBB24_855:
	s_delay_alu instid0(SALU_CYCLE_1)
	s_and_b32 vcc_lo, exec_lo, s7
	s_cbranch_vccz .LBB24_873
; %bb.856:
	v_cmp_gt_i16_e32 vcc_lo, 27, v3
	s_cbranch_vccnz .LBB24_859
; %bb.857:
	v_cmp_lt_i16_e32 vcc_lo, 27, v3
	s_cbranch_vccz .LBB24_860
; %bb.858:
	global_load_b32 v4, v[1:2], off
	s_mov_b32 s6, 0
	s_waitcnt vmcnt(0)
	v_cvt_f32_u32_e32 v4, v4
	s_delay_alu instid0(VALU_DEP_1)
	v_cvt_f16_f32_e32 v5, v4
	s_branch .LBB24_861
.LBB24_859:
	s_mov_b32 s6, -1
                                        ; implicit-def: $vgpr5
	s_branch .LBB24_864
.LBB24_860:
	s_mov_b32 s6, -1
                                        ; implicit-def: $vgpr5
.LBB24_861:
	s_delay_alu instid0(SALU_CYCLE_1)
	s_and_not1_b32 vcc_lo, exec_lo, s6
	s_cbranch_vccnz .LBB24_863
; %bb.862:
	global_load_u16 v4, v[1:2], off
	s_waitcnt vmcnt(0)
	v_cvt_f16_u16_e32 v5, v4
.LBB24_863:
	s_mov_b32 s6, 0
.LBB24_864:
	s_delay_alu instid0(SALU_CYCLE_1)
	s_and_not1_b32 vcc_lo, exec_lo, s6
	s_cbranch_vccnz .LBB24_872
; %bb.865:
	global_load_u8 v4, v[1:2], off
	s_mov_b32 s6, 0
	s_mov_b32 s12, exec_lo
                                        ; implicit-def: $sgpr7
	s_waitcnt vmcnt(0)
	v_cmpx_lt_i16_e32 0x7f, v4
	s_xor_b32 s12, exec_lo, s12
	s_cbranch_execz .LBB24_886
; %bb.866:
	s_mov_b32 s6, -1
	s_mov_b32 s13, exec_lo
                                        ; implicit-def: $sgpr7
	v_cmpx_eq_u16_e32 0x80, v4
; %bb.867:
	s_movk_i32 s7, 0x7e00
	s_xor_b32 s6, exec_lo, -1
; %bb.868:
	s_or_b32 exec_lo, exec_lo, s13
	s_delay_alu instid0(SALU_CYCLE_1)
	s_and_b32 s6, s6, exec_lo
	s_or_saveexec_b32 s12, s12
	v_mov_b32_e32 v5, s7
	s_xor_b32 exec_lo, exec_lo, s12
	s_cbranch_execnz .LBB24_887
.LBB24_869:
	s_or_b32 exec_lo, exec_lo, s12
	s_and_saveexec_b32 s7, s6
	s_cbranch_execz .LBB24_871
.LBB24_870:
	v_and_b32_e32 v5, 0xffff, v4
	v_lshlrev_b32_e32 v4, 24, v4
	s_delay_alu instid0(VALU_DEP_2) | instskip(NEXT) | instid1(VALU_DEP_2)
	v_and_b32_e32 v6, 7, v5
	v_and_b32_e32 v4, 0x80000000, v4
	s_delay_alu instid0(VALU_DEP_2) | instskip(NEXT) | instid1(VALU_DEP_1)
	v_clz_i32_u32_e32 v7, v6
	v_min_u32_e32 v7, 32, v7
	s_delay_alu instid0(VALU_DEP_1) | instskip(SKIP_1) | instid1(VALU_DEP_2)
	v_subrev_nc_u32_e32 v8, 28, v7
	v_sub_nc_u32_e32 v7, 29, v7
	v_lshlrev_b32_e32 v8, v8, v5
	v_bfe_u32 v5, v5, 3, 4
	s_delay_alu instid0(VALU_DEP_2) | instskip(NEXT) | instid1(VALU_DEP_2)
	v_and_b32_e32 v8, 7, v8
	v_cmp_eq_u32_e32 vcc_lo, 0, v5
	s_delay_alu instid0(VALU_DEP_2) | instskip(NEXT) | instid1(VALU_DEP_1)
	v_dual_cndmask_b32 v5, v5, v7 :: v_dual_cndmask_b32 v6, v6, v8
	v_lshl_add_u32 v5, v5, 23, 0x3b800000
	s_delay_alu instid0(VALU_DEP_2) | instskip(NEXT) | instid1(VALU_DEP_1)
	v_lshlrev_b32_e32 v6, 20, v6
	v_or3_b32 v4, v4, v5, v6
	s_delay_alu instid0(VALU_DEP_1)
	v_cvt_f16_f32_e32 v5, v4
.LBB24_871:
	s_or_b32 exec_lo, exec_lo, s7
.LBB24_872:
	s_mov_b32 s6, -1
.LBB24_873:
	s_mov_b32 s7, 0
.LBB24_874:
	s_delay_alu instid0(SALU_CYCLE_1)
	s_and_b32 vcc_lo, exec_lo, s7
	s_cbranch_vccz .LBB24_907
; %bb.875:
	v_cmp_lt_i16_e32 vcc_lo, 22, v3
	s_cbranch_vccz .LBB24_885
; %bb.876:
	v_cmp_gt_i16_e32 vcc_lo, 24, v3
	s_cbranch_vccnz .LBB24_888
; %bb.877:
	v_cmp_lt_i16_e32 vcc_lo, 24, v3
	s_cbranch_vccz .LBB24_889
; %bb.878:
	global_load_u8 v4, v[1:2], off
	s_mov_b32 s7, exec_lo
                                        ; implicit-def: $sgpr6
	s_waitcnt vmcnt(0)
	v_cmpx_lt_i16_e32 0x7f, v4
	s_xor_b32 s7, exec_lo, s7
	s_cbranch_execz .LBB24_901
; %bb.879:
	s_mov_b32 s3, -1
	s_mov_b32 s12, exec_lo
                                        ; implicit-def: $sgpr6
	v_cmpx_eq_u16_e32 0x80, v4
; %bb.880:
	s_movk_i32 s6, 0x7e00
	s_xor_b32 s3, exec_lo, -1
; %bb.881:
	s_or_b32 exec_lo, exec_lo, s12
	s_delay_alu instid0(SALU_CYCLE_1)
	s_and_b32 s3, s3, exec_lo
	s_or_saveexec_b32 s7, s7
	v_mov_b32_e32 v5, s6
	s_xor_b32 exec_lo, exec_lo, s7
	s_cbranch_execnz .LBB24_902
.LBB24_882:
	s_or_b32 exec_lo, exec_lo, s7
	s_and_saveexec_b32 s6, s3
	s_cbranch_execz .LBB24_884
.LBB24_883:
	v_and_b32_e32 v5, 0xffff, v4
	v_lshlrev_b32_e32 v4, 24, v4
	s_delay_alu instid0(VALU_DEP_2) | instskip(NEXT) | instid1(VALU_DEP_2)
	v_and_b32_e32 v6, 3, v5
	v_and_b32_e32 v4, 0x80000000, v4
	s_delay_alu instid0(VALU_DEP_2) | instskip(NEXT) | instid1(VALU_DEP_1)
	v_clz_i32_u32_e32 v7, v6
	v_min_u32_e32 v7, 32, v7
	s_delay_alu instid0(VALU_DEP_1) | instskip(SKIP_1) | instid1(VALU_DEP_2)
	v_subrev_nc_u32_e32 v8, 29, v7
	v_sub_nc_u32_e32 v7, 30, v7
	v_lshlrev_b32_e32 v8, v8, v5
	v_bfe_u32 v5, v5, 2, 5
	s_delay_alu instid0(VALU_DEP_2) | instskip(NEXT) | instid1(VALU_DEP_2)
	v_and_b32_e32 v8, 3, v8
	v_cmp_eq_u32_e32 vcc_lo, 0, v5
	s_delay_alu instid0(VALU_DEP_2) | instskip(NEXT) | instid1(VALU_DEP_1)
	v_dual_cndmask_b32 v5, v5, v7 :: v_dual_cndmask_b32 v6, v6, v8
	v_lshl_add_u32 v5, v5, 23, 0x37800000
	s_delay_alu instid0(VALU_DEP_2) | instskip(NEXT) | instid1(VALU_DEP_1)
	v_lshlrev_b32_e32 v6, 21, v6
	v_or3_b32 v4, v4, v5, v6
	s_delay_alu instid0(VALU_DEP_1)
	v_cvt_f16_f32_e32 v5, v4
.LBB24_884:
	s_or_b32 exec_lo, exec_lo, s6
	s_mov_b32 s3, 0
	s_branch .LBB24_890
.LBB24_885:
	s_mov_b32 s3, -1
                                        ; implicit-def: $vgpr5
	s_branch .LBB24_896
.LBB24_886:
	s_or_saveexec_b32 s12, s12
	v_mov_b32_e32 v5, s7
	s_xor_b32 exec_lo, exec_lo, s12
	s_cbranch_execz .LBB24_869
.LBB24_887:
	v_cmp_ne_u16_e32 vcc_lo, 0, v4
	v_mov_b32_e32 v5, v4
	s_and_not1_b32 s6, s6, exec_lo
	s_and_b32 s7, vcc_lo, exec_lo
	s_delay_alu instid0(SALU_CYCLE_1)
	s_or_b32 s6, s6, s7
	s_or_b32 exec_lo, exec_lo, s12
	s_and_saveexec_b32 s7, s6
	s_cbranch_execnz .LBB24_870
	s_branch .LBB24_871
.LBB24_888:
	s_mov_b32 s3, -1
                                        ; implicit-def: $vgpr5
	s_branch .LBB24_893
.LBB24_889:
	s_mov_b32 s3, -1
                                        ; implicit-def: $vgpr5
.LBB24_890:
	s_delay_alu instid0(SALU_CYCLE_1)
	s_and_b32 vcc_lo, exec_lo, s3
	s_cbranch_vccz .LBB24_892
; %bb.891:
	global_load_u8 v4, v[1:2], off
	s_waitcnt vmcnt(0)
	v_lshlrev_b32_e32 v4, 24, v4
	s_delay_alu instid0(VALU_DEP_1) | instskip(NEXT) | instid1(VALU_DEP_1)
	v_and_b32_e32 v5, 0x7f000000, v4
	v_clz_i32_u32_e32 v6, v5
	v_add_nc_u32_e32 v8, 0x1000000, v5
	v_cmp_ne_u32_e32 vcc_lo, 0, v5
	s_delay_alu instid0(VALU_DEP_3) | instskip(NEXT) | instid1(VALU_DEP_1)
	v_min_u32_e32 v6, 32, v6
	v_sub_nc_u32_e64 v6, v6, 4 clamp
	s_delay_alu instid0(VALU_DEP_1) | instskip(SKIP_1) | instid1(VALU_DEP_2)
	v_lshlrev_b32_e32 v7, v6, v5
	v_lshlrev_b32_e32 v6, 23, v6
	v_lshrrev_b32_e32 v7, 4, v7
	s_delay_alu instid0(VALU_DEP_1) | instskip(SKIP_1) | instid1(VALU_DEP_2)
	v_sub_nc_u32_e32 v6, v7, v6
	v_ashrrev_i32_e32 v7, 8, v8
	v_add_nc_u32_e32 v6, 0x3c000000, v6
	s_delay_alu instid0(VALU_DEP_1) | instskip(NEXT) | instid1(VALU_DEP_1)
	v_and_or_b32 v6, 0x7f800000, v7, v6
	v_cndmask_b32_e32 v5, 0, v6, vcc_lo
	s_delay_alu instid0(VALU_DEP_1) | instskip(NEXT) | instid1(VALU_DEP_1)
	v_and_or_b32 v4, 0x80000000, v4, v5
	v_cvt_f16_f32_e32 v5, v4
.LBB24_892:
	s_mov_b32 s3, 0
.LBB24_893:
	s_delay_alu instid0(SALU_CYCLE_1)
	s_and_not1_b32 vcc_lo, exec_lo, s3
	s_cbranch_vccnz .LBB24_895
; %bb.894:
	global_load_u8 v4, v[1:2], off
	s_waitcnt vmcnt(0)
	v_lshlrev_b32_e32 v5, 25, v4
	v_lshlrev_b16 v4, 8, v4
	s_delay_alu instid0(VALU_DEP_2) | instskip(NEXT) | instid1(VALU_DEP_2)
	v_lshrrev_b32_e32 v6, 4, v5
	v_and_or_b32 v7, 0x7f00, v4, 0.5
	v_bfe_i32 v4, v4, 0, 16
	s_delay_alu instid0(VALU_DEP_3) | instskip(NEXT) | instid1(VALU_DEP_1)
	v_or_b32_e32 v6, 0x70000000, v6
	v_dual_add_f32 v7, -0.5, v7 :: v_dual_mul_f32 v6, 0x7800000, v6
	v_cmp_gt_u32_e32 vcc_lo, 0x8000000, v5
	s_delay_alu instid0(VALU_DEP_2) | instskip(NEXT) | instid1(VALU_DEP_1)
	v_cndmask_b32_e32 v5, v6, v7, vcc_lo
	v_and_or_b32 v4, 0x80000000, v4, v5
	s_delay_alu instid0(VALU_DEP_1)
	v_cvt_f16_f32_e32 v5, v4
.LBB24_895:
	s_mov_b32 s3, 0
	s_mov_b32 s6, -1
.LBB24_896:
	s_and_not1_b32 vcc_lo, exec_lo, s3
	s_mov_b32 s3, 0
	s_cbranch_vccnz .LBB24_907
; %bb.897:
	v_cmp_lt_i16_e32 vcc_lo, 14, v3
	s_cbranch_vccz .LBB24_900
; %bb.898:
	v_cmp_eq_u16_e32 vcc_lo, 15, v3
	s_cbranch_vccz .LBB24_903
; %bb.899:
	global_load_u16 v4, v[1:2], off
	s_mov_b32 s2, 0
	s_mov_b32 s6, -1
	s_waitcnt vmcnt(0)
	v_lshlrev_b32_e32 v4, 16, v4
	s_delay_alu instid0(VALU_DEP_1)
	v_cvt_f16_f32_e32 v5, v4
	s_branch .LBB24_905
.LBB24_900:
	s_mov_b32 s3, -1
	s_branch .LBB24_904
.LBB24_901:
	s_or_saveexec_b32 s7, s7
	v_mov_b32_e32 v5, s6
	s_xor_b32 exec_lo, exec_lo, s7
	s_cbranch_execz .LBB24_882
.LBB24_902:
	v_cmp_ne_u16_e32 vcc_lo, 0, v4
	v_mov_b32_e32 v5, v4
	s_and_not1_b32 s3, s3, exec_lo
	s_and_b32 s6, vcc_lo, exec_lo
	s_delay_alu instid0(SALU_CYCLE_1)
	s_or_b32 s3, s3, s6
	s_or_b32 exec_lo, exec_lo, s7
	s_and_saveexec_b32 s6, s3
	s_cbranch_execnz .LBB24_883
	s_branch .LBB24_884
.LBB24_903:
	s_mov_b32 s2, -1
.LBB24_904:
                                        ; implicit-def: $vgpr5
.LBB24_905:
	s_and_b32 vcc_lo, exec_lo, s3
	s_mov_b32 s3, 0
	s_cbranch_vccz .LBB24_907
; %bb.906:
	v_cmp_ne_u16_e32 vcc_lo, 11, v3
	s_and_not1_b32 s2, s2, exec_lo
	s_mov_b32 s3, -1
                                        ; implicit-def: $vgpr5
	s_and_b32 s7, vcc_lo, exec_lo
	s_delay_alu instid0(SALU_CYCLE_1)
	s_or_b32 s2, s2, s7
.LBB24_907:
	s_mov_b32 s7, 0
.LBB24_908:
	s_and_b32 s46, s6, exec_lo
	s_and_b32 s47, s7, exec_lo
	s_and_not1_b32 s6, s26, exec_lo
	s_and_b32 s7, s2, exec_lo
	s_and_b32 s2, s3, exec_lo
	s_or_b32 s48, s6, s7
.LBB24_909:
	s_or_b32 exec_lo, exec_lo, s36
	s_delay_alu instid0(SALU_CYCLE_1)
	s_and_not1_b32 s6, s26, exec_lo
	s_and_b32 s7, s48, exec_lo
	s_and_b32 s46, s46, exec_lo
	;; [unrolled: 1-line block ×4, first 2 shown]
	s_or_b32 s26, s6, s7
.LBB24_910:
	s_or_b32 exec_lo, exec_lo, s45
	s_delay_alu instid0(SALU_CYCLE_1)
	s_and_not1_b32 s6, s43, exec_lo
	s_and_b32 s7, s27, exec_lo
	s_and_b32 s45, s46, exec_lo
	s_or_b32 s43, s6, s7
	s_and_not1_b32 s6, s42, exec_lo
	s_and_b32 s7, s26, exec_lo
	s_and_b32 s27, s3, exec_lo
	;; [unrolled: 1-line block ×3, first 2 shown]
	s_or_b32 s42, s6, s7
.LBB24_911:
	s_or_b32 exec_lo, exec_lo, s44
	s_delay_alu instid0(SALU_CYCLE_1)
	s_and_not1_b32 s2, s39, exec_lo
	s_and_b32 s6, s43, exec_lo
	s_and_b32 s7, s42, exec_lo
	s_or_b32 s39, s2, s6
	s_and_not1_b32 s6, s40, exec_lo
	s_and_b32 s2, s45, exec_lo
	s_and_b32 s26, s27, exec_lo
	;; [unrolled: 1-line block ×3, first 2 shown]
	s_or_b32 s40, s6, s7
.LBB24_912:
	s_or_b32 exec_lo, exec_lo, s41
	s_mov_b32 s3, 0
	s_and_saveexec_b32 s6, s40
	s_cbranch_execnz .LBB24_924
; %bb.913:
	s_or_b32 exec_lo, exec_lo, s6
	s_and_saveexec_b32 s6, s42
	s_delay_alu instid0(SALU_CYCLE_1)
	s_xor_b32 s6, exec_lo, s6
	s_cbranch_execz .LBB24_915
.LBB24_914:
	global_load_u8 v4, v[1:2], off
	s_or_b32 s2, s2, exec_lo
	s_waitcnt vmcnt(0)
	v_cmp_ne_u16_e32 vcc_lo, 0, v4
	v_cndmask_b32_e64 v5, 0, 0x3c00, vcc_lo
.LBB24_915:
	s_or_b32 exec_lo, exec_lo, s6
	s_and_saveexec_b32 s6, s26
	s_cbranch_execz .LBB24_963
; %bb.916:
	v_cmp_gt_i16_e32 vcc_lo, 5, v3
	s_cbranch_vccnz .LBB24_921
; %bb.917:
	v_cmp_gt_i16_e32 vcc_lo, 8, v3
	s_cbranch_vccnz .LBB24_922
; %bb.918:
	v_cmp_gt_i16_e32 vcc_lo, 9, v3
	s_cbranch_vccnz .LBB24_923
; %bb.919:
	v_cmp_lt_i16_e32 vcc_lo, 9, v3
	s_cbranch_vccz .LBB24_926
; %bb.920:
	global_load_b64 v[4:5], v[1:2], off
	s_mov_b32 s7, 0
	s_waitcnt vmcnt(0)
	v_cvt_f32_f64_e32 v4, v[4:5]
	s_delay_alu instid0(VALU_DEP_1)
	v_cvt_f16_f32_e32 v5, v4
	s_branch .LBB24_927
.LBB24_921:
                                        ; implicit-def: $vgpr5
	s_branch .LBB24_944
.LBB24_922:
                                        ; implicit-def: $vgpr5
	s_branch .LBB24_933
.LBB24_923:
	s_mov_b32 s7, -1
                                        ; implicit-def: $vgpr5
	s_branch .LBB24_930
.LBB24_924:
	s_cbranch_execnz .LBB24_1196
; %bb.925:
	s_mov_b32 s3, exec_lo
	s_and_not1_b32 s42, s42, exec_lo
                                        ; implicit-def: $vgpr5
	s_or_b32 exec_lo, exec_lo, s6
	s_and_saveexec_b32 s6, s42
	s_delay_alu instid0(SALU_CYCLE_1)
	s_xor_b32 s6, exec_lo, s6
	s_cbranch_execnz .LBB24_914
	s_branch .LBB24_915
.LBB24_926:
	s_mov_b32 s7, -1
                                        ; implicit-def: $vgpr5
.LBB24_927:
	s_delay_alu instid0(SALU_CYCLE_1)
	s_and_not1_b32 vcc_lo, exec_lo, s7
	s_cbranch_vccnz .LBB24_929
; %bb.928:
	global_load_b32 v4, v[1:2], off
	s_waitcnt vmcnt(0)
	v_cvt_f16_f32_e32 v5, v4
.LBB24_929:
	s_mov_b32 s7, 0
.LBB24_930:
	s_delay_alu instid0(SALU_CYCLE_1)
	s_and_not1_b32 vcc_lo, exec_lo, s7
	s_cbranch_vccnz .LBB24_932
; %bb.931:
	global_load_b32 v5, v[1:2], off
.LBB24_932:
	s_cbranch_execnz .LBB24_943
.LBB24_933:
	v_cmp_gt_i16_e32 vcc_lo, 6, v3
	s_cbranch_vccnz .LBB24_936
; %bb.934:
	v_cmp_lt_i16_e32 vcc_lo, 6, v3
	s_cbranch_vccz .LBB24_937
; %bb.935:
	global_load_b64 v[4:5], v[1:2], off
	s_mov_b32 s7, 0
	s_waitcnt vmcnt(0)
	v_cvt_f32_f64_e32 v4, v[4:5]
	s_delay_alu instid0(VALU_DEP_1)
	v_cvt_f16_f32_e32 v5, v4
	s_branch .LBB24_938
.LBB24_936:
	s_mov_b32 s7, -1
                                        ; implicit-def: $vgpr5
	s_branch .LBB24_941
.LBB24_937:
	s_mov_b32 s7, -1
                                        ; implicit-def: $vgpr5
.LBB24_938:
	s_delay_alu instid0(SALU_CYCLE_1)
	s_and_not1_b32 vcc_lo, exec_lo, s7
	s_cbranch_vccnz .LBB24_940
; %bb.939:
	global_load_b32 v4, v[1:2], off
	s_waitcnt vmcnt(0)
	v_cvt_f16_f32_e32 v5, v4
.LBB24_940:
	s_mov_b32 s7, 0
.LBB24_941:
	s_delay_alu instid0(SALU_CYCLE_1)
	s_and_not1_b32 vcc_lo, exec_lo, s7
	s_cbranch_vccnz .LBB24_943
; %bb.942:
	global_load_u16 v5, v[1:2], off
.LBB24_943:
	s_cbranch_execnz .LBB24_962
.LBB24_944:
	v_cmp_gt_i16_e32 vcc_lo, 2, v3
	s_cbranch_vccnz .LBB24_948
; %bb.945:
	v_cmp_gt_i16_e32 vcc_lo, 3, v3
	s_cbranch_vccnz .LBB24_949
; %bb.946:
	v_cmp_lt_i16_e32 vcc_lo, 3, v3
	s_cbranch_vccz .LBB24_950
; %bb.947:
	global_load_b64 v[4:5], v[1:2], off
	s_mov_b32 s7, 0
	s_waitcnt vmcnt(0)
	v_xor_b32_e32 v6, v4, v5
	v_cls_i32_e32 v7, v5
	s_delay_alu instid0(VALU_DEP_2) | instskip(NEXT) | instid1(VALU_DEP_2)
	v_ashrrev_i32_e32 v6, 31, v6
	v_add_nc_u32_e32 v7, -1, v7
	s_delay_alu instid0(VALU_DEP_2) | instskip(NEXT) | instid1(VALU_DEP_1)
	v_add_nc_u32_e32 v6, 32, v6
	v_min_u32_e32 v6, v7, v6
	s_delay_alu instid0(VALU_DEP_1) | instskip(NEXT) | instid1(VALU_DEP_1)
	v_lshlrev_b64 v[4:5], v6, v[4:5]
	v_min_u32_e32 v4, 1, v4
	s_delay_alu instid0(VALU_DEP_1) | instskip(SKIP_1) | instid1(VALU_DEP_2)
	v_or_b32_e32 v4, v5, v4
	v_sub_nc_u32_e32 v5, 32, v6
	v_cvt_f32_i32_e32 v4, v4
	s_delay_alu instid0(VALU_DEP_1) | instskip(NEXT) | instid1(VALU_DEP_1)
	v_ldexp_f32 v4, v4, v5
	v_cvt_f16_f32_e32 v5, v4
	s_branch .LBB24_951
.LBB24_948:
                                        ; implicit-def: $vgpr5
	s_branch .LBB24_957
.LBB24_949:
	s_mov_b32 s7, -1
                                        ; implicit-def: $vgpr5
	s_branch .LBB24_954
.LBB24_950:
	s_mov_b32 s7, -1
                                        ; implicit-def: $vgpr5
.LBB24_951:
	s_delay_alu instid0(SALU_CYCLE_1)
	s_and_not1_b32 vcc_lo, exec_lo, s7
	s_cbranch_vccnz .LBB24_953
; %bb.952:
	global_load_b32 v4, v[1:2], off
	s_waitcnt vmcnt(0)
	v_cvt_f32_i32_e32 v4, v4
	s_delay_alu instid0(VALU_DEP_1)
	v_cvt_f16_f32_e32 v5, v4
.LBB24_953:
	s_mov_b32 s7, 0
.LBB24_954:
	s_delay_alu instid0(SALU_CYCLE_1)
	s_and_not1_b32 vcc_lo, exec_lo, s7
	s_cbranch_vccnz .LBB24_956
; %bb.955:
	global_load_u16 v4, v[1:2], off
	s_waitcnt vmcnt(0)
	v_cvt_f16_i16_e32 v5, v4
.LBB24_956:
	s_cbranch_execnz .LBB24_962
.LBB24_957:
	v_cmp_lt_i16_e32 vcc_lo, 0, v3
	s_mov_b32 s7, 0
	s_cbranch_vccz .LBB24_959
; %bb.958:
	global_load_i8 v3, v[1:2], off
	s_waitcnt vmcnt(0)
	v_cvt_f16_i16_e32 v5, v3
	s_branch .LBB24_960
.LBB24_959:
	s_mov_b32 s7, -1
                                        ; implicit-def: $vgpr5
.LBB24_960:
	s_delay_alu instid0(SALU_CYCLE_1)
	s_and_not1_b32 vcc_lo, exec_lo, s7
	s_cbranch_vccnz .LBB24_962
; %bb.961:
	global_load_u8 v1, v[1:2], off
	s_waitcnt vmcnt(0)
	v_cvt_f16_u16_e32 v5, v1
.LBB24_962:
	s_or_b32 s2, s2, exec_lo
.LBB24_963:
	s_or_b32 exec_lo, exec_lo, s6
	s_mov_b32 s12, 0
	s_mov_b32 s7, 0
                                        ; implicit-def: $vgpr4
                                        ; implicit-def: $vgpr1_vgpr2
                                        ; implicit-def: $vgpr3
	s_and_saveexec_b32 s6, s2
	s_cbranch_execz .LBB24_1042
; %bb.964:
	s_waitcnt vmcnt(0)
	v_cvt_f32_f16_e32 v1, v5
	s_mov_b32 s2, exec_lo
	s_delay_alu instid0(VALU_DEP_1)
	v_cmpx_nlg_f32_e64 0x7f800000, |v1|
	s_cbranch_execz .LBB24_966
; %bb.965:
	v_dual_mov_b32 v2, 0 :: v_dual_mov_b32 v3, 1.0
	global_store_b32 v2, v3, s[8:9]
.LBB24_966:
	s_or_b32 exec_lo, exec_lo, s2
	v_mov_b32_e32 v2, 0
	v_and_b32_e64 v4, 0xff, s34
	s_mov_b32 s8, 0
	global_load_b32 v3, v2, s[10:11]
	v_cmp_gt_i16_e32 vcc_lo, 11, v4
	s_and_b32 vcc_lo, exec_lo, vcc_lo
	s_waitcnt vmcnt(0)
	v_fma_mixlo_f16 v6, v3, v1, 0
	v_add_co_u32 v1, s2, s4, v0
	s_delay_alu instid0(VALU_DEP_1) | instskip(SKIP_2) | instid1(VALU_DEP_1)
	v_add_co_ci_u32_e64 v2, null, s5, 0, s2
	v_cmp_eq_f32_e64 s2, 1.0, v3
	s_mov_b32 s4, -1
	v_cndmask_b32_e64 v3, v6, v5, s2
	s_mov_b32 s2, s39
	s_cbranch_vccnz .LBB24_1041
; %bb.967:
	v_cmp_lt_i16_e32 vcc_lo, 25, v4
	s_mov_b32 s2, s39
	s_cbranch_vccz .LBB24_1000
; %bb.968:
	v_cmp_lt_i16_e32 vcc_lo, 28, v4
	s_mov_b32 s2, s39
	s_cbranch_vccz .LBB24_984
	;; [unrolled: 4-line block ×4, first 2 shown]
; %bb.971:
	v_cmp_eq_u16_e32 vcc_lo, 46, v4
	s_mov_b32 s2, -1
	s_cbranch_vccz .LBB24_973
; %bb.972:
	v_cvt_f32_f16_e32 v0, v3
	v_cmp_o_f16_e32 vcc_lo, v3, v3
	s_mov_b32 s2, 0
	s_delay_alu instid0(VALU_DEP_2) | instskip(NEXT) | instid1(VALU_DEP_1)
	v_bfe_u32 v5, v0, 16, 1
	v_add3_u32 v0, v0, v5, 0x7fff
	s_delay_alu instid0(VALU_DEP_1) | instskip(NEXT) | instid1(VALU_DEP_1)
	v_lshrrev_b32_e32 v0, 16, v0
	v_cndmask_b32_e32 v0, 0x7fc0, v0, vcc_lo
	global_store_b32 v[1:2], v0, off
.LBB24_973:
	s_mov_b32 s4, 0
.LBB24_974:
	s_delay_alu instid0(SALU_CYCLE_1)
	s_and_b32 vcc_lo, exec_lo, s4
	s_cbranch_vccz .LBB24_979
; %bb.975:
	v_cmp_eq_u16_e32 vcc_lo, 44, v4
	s_mov_b32 s2, -1
	s_cbranch_vccz .LBB24_979
; %bb.976:
	v_cvt_f32_f16_e32 v0, v3
	v_mov_b32_e32 v5, 0xff
	s_mov_b32 s4, exec_lo
	s_delay_alu instid0(VALU_DEP_2) | instskip(NEXT) | instid1(VALU_DEP_1)
	v_bfe_u32 v6, v0, 23, 8
	v_cmpx_ne_u32_e32 0xff, v6
; %bb.977:
	v_and_b32_e32 v5, 0x400000, v0
	v_and_or_b32 v6, 0x3fffff, v0, v6
	v_lshrrev_b32_e32 v0, 23, v0
	s_delay_alu instid0(VALU_DEP_3) | instskip(NEXT) | instid1(VALU_DEP_3)
	v_cmp_ne_u32_e32 vcc_lo, 0, v5
	v_cmp_ne_u32_e64 s2, 0, v6
	s_delay_alu instid0(VALU_DEP_1) | instskip(NEXT) | instid1(SALU_CYCLE_1)
	s_and_b32 s2, vcc_lo, s2
	v_cndmask_b32_e64 v5, 0, 1, s2
	s_delay_alu instid0(VALU_DEP_1)
	v_add_nc_u32_e32 v5, v0, v5
; %bb.978:
	s_or_b32 exec_lo, exec_lo, s4
	s_mov_b32 s2, 0
	global_store_b8 v[1:2], v5, off
.LBB24_979:
	s_mov_b32 s4, 0
.LBB24_980:
	s_delay_alu instid0(SALU_CYCLE_1)
	s_and_b32 vcc_lo, exec_lo, s4
	s_cbranch_vccz .LBB24_983
; %bb.981:
	v_cmp_eq_u16_e32 vcc_lo, 29, v4
	s_mov_b32 s2, -1
	s_cbranch_vccz .LBB24_983
; %bb.982:
	v_cvt_f32_f16_e32 v0, v3
	v_mov_b32_e32 v6, 0
	s_mov_b32 s2, 0
	s_delay_alu instid0(VALU_DEP_2)
	v_cvt_u32_f32_e32 v5, v0
	global_store_b64 v[1:2], v[5:6], off
.LBB24_983:
	s_mov_b32 s4, 0
.LBB24_984:
	s_delay_alu instid0(SALU_CYCLE_1)
	s_and_b32 vcc_lo, exec_lo, s4
	s_cbranch_vccz .LBB24_999
; %bb.985:
	v_cmp_gt_i16_e32 vcc_lo, 27, v4
	s_mov_b32 s4, -1
	s_cbranch_vccnz .LBB24_991
; %bb.986:
	v_cmp_lt_i16_e32 vcc_lo, 27, v4
	s_cbranch_vccz .LBB24_988
; %bb.987:
	v_cvt_f32_f16_e32 v0, v3
	s_mov_b32 s4, 0
	s_delay_alu instid0(VALU_DEP_1)
	v_cvt_u32_f32_e32 v0, v0
	global_store_b32 v[1:2], v0, off
.LBB24_988:
	s_and_not1_b32 vcc_lo, exec_lo, s4
	s_cbranch_vccnz .LBB24_990
; %bb.989:
	v_cvt_u16_f16_e32 v0, v3
	global_store_b16 v[1:2], v0, off
.LBB24_990:
	s_mov_b32 s4, 0
.LBB24_991:
	s_delay_alu instid0(SALU_CYCLE_1)
	s_and_not1_b32 vcc_lo, exec_lo, s4
	s_cbranch_vccnz .LBB24_999
; %bb.992:
	v_cvt_f32_f16_e32 v0, v3
	v_mov_b32_e32 v6, 0x80
	s_mov_b32 s4, exec_lo
	s_delay_alu instid0(VALU_DEP_2) | instskip(NEXT) | instid1(VALU_DEP_1)
	v_and_b32_e32 v5, 0x7fffffff, v0
	v_cmpx_gt_u32_e32 0x43800000, v5
	s_cbranch_execz .LBB24_998
; %bb.993:
	v_cmp_lt_u32_e32 vcc_lo, 0x3bffffff, v5
	s_mov_b32 s5, 0
                                        ; implicit-def: $vgpr5
	s_and_saveexec_b32 s7, vcc_lo
	s_delay_alu instid0(SALU_CYCLE_1)
	s_xor_b32 s7, exec_lo, s7
	s_cbranch_execz .LBB24_1289
; %bb.994:
	v_bfe_u32 v5, v0, 20, 1
	s_mov_b32 s5, exec_lo
	s_delay_alu instid0(VALU_DEP_1) | instskip(NEXT) | instid1(VALU_DEP_1)
	v_add3_u32 v5, v0, v5, 0x487ffff
	v_lshrrev_b32_e32 v5, 20, v5
	s_or_saveexec_b32 s7, s7
                                        ; implicit-def: $sgpr8
	s_delay_alu instid0(SALU_CYCLE_1)
	s_xor_b32 exec_lo, exec_lo, s7
	s_cbranch_execnz .LBB24_1290
.LBB24_995:
	s_or_b32 exec_lo, exec_lo, s7
	v_mov_b32_e32 v6, s8
	s_and_saveexec_b32 s7, s5
.LBB24_996:
	v_lshrrev_b32_e32 v0, 24, v0
	s_delay_alu instid0(VALU_DEP_1)
	v_and_or_b32 v6, 0x80, v0, v5
.LBB24_997:
	s_or_b32 exec_lo, exec_lo, s7
.LBB24_998:
	s_delay_alu instid0(SALU_CYCLE_1)
	s_or_b32 exec_lo, exec_lo, s4
	global_store_b8 v[1:2], v6, off
.LBB24_999:
	s_mov_b32 s4, 0
.LBB24_1000:
	s_delay_alu instid0(SALU_CYCLE_1)
	s_and_b32 vcc_lo, exec_lo, s4
	s_mov_b32 s4, 0
	s_cbranch_vccz .LBB24_1040
; %bb.1001:
	v_cmp_lt_i16_e32 vcc_lo, 22, v4
	s_mov_b32 s5, -1
	s_cbranch_vccz .LBB24_1033
; %bb.1002:
	v_cmp_gt_i16_e32 vcc_lo, 24, v4
	s_cbranch_vccnz .LBB24_1022
; %bb.1003:
	v_cmp_lt_i16_e32 vcc_lo, 24, v4
	s_cbranch_vccz .LBB24_1011
; %bb.1004:
	v_cvt_f32_f16_e32 v0, v3
	v_mov_b32_e32 v6, 0x80
	s_mov_b32 s5, exec_lo
	s_delay_alu instid0(VALU_DEP_2) | instskip(NEXT) | instid1(VALU_DEP_1)
	v_and_b32_e32 v5, 0x7fffffff, v0
	v_cmpx_gt_u32_e32 0x47800000, v5
	s_cbranch_execz .LBB24_1010
; %bb.1005:
	v_cmp_lt_u32_e32 vcc_lo, 0x37ffffff, v5
	s_mov_b32 s7, 0
                                        ; implicit-def: $vgpr5
	s_and_saveexec_b32 s8, vcc_lo
	s_delay_alu instid0(SALU_CYCLE_1)
	s_xor_b32 s8, exec_lo, s8
	s_cbranch_execz .LBB24_1333
; %bb.1006:
	v_bfe_u32 v5, v0, 21, 1
	s_mov_b32 s7, exec_lo
	s_delay_alu instid0(VALU_DEP_1) | instskip(NEXT) | instid1(VALU_DEP_1)
	v_add3_u32 v5, v0, v5, 0x88fffff
	v_lshrrev_b32_e32 v5, 21, v5
	s_or_saveexec_b32 s8, s8
                                        ; implicit-def: $sgpr9
	s_delay_alu instid0(SALU_CYCLE_1)
	s_xor_b32 exec_lo, exec_lo, s8
	s_cbranch_execnz .LBB24_1334
.LBB24_1007:
	s_or_b32 exec_lo, exec_lo, s8
	v_mov_b32_e32 v6, s9
	s_and_saveexec_b32 s8, s7
.LBB24_1008:
	v_lshrrev_b32_e32 v0, 24, v0
	s_delay_alu instid0(VALU_DEP_1)
	v_and_or_b32 v6, 0x80, v0, v5
.LBB24_1009:
	s_or_b32 exec_lo, exec_lo, s8
.LBB24_1010:
	s_delay_alu instid0(SALU_CYCLE_1)
	s_or_b32 exec_lo, exec_lo, s5
	s_mov_b32 s5, 0
	global_store_b8 v[1:2], v6, off
.LBB24_1011:
	s_and_b32 vcc_lo, exec_lo, s5
	s_cbranch_vccz .LBB24_1021
; %bb.1012:
	v_cvt_f32_f16_e32 v0, v3
	s_mov_b32 s5, exec_lo
                                        ; implicit-def: $vgpr5
	s_delay_alu instid0(VALU_DEP_1) | instskip(NEXT) | instid1(VALU_DEP_1)
	v_and_b32_e32 v6, 0x7fffffff, v0
	v_cmpx_gt_u32_e32 0x43f00000, v6
	s_xor_b32 s5, exec_lo, s5
	s_cbranch_execz .LBB24_1018
; %bb.1013:
	s_mov_b32 s7, exec_lo
                                        ; implicit-def: $vgpr5
	v_cmpx_lt_u32_e32 0x3c7fffff, v6
	s_xor_b32 s7, exec_lo, s7
; %bb.1014:
	v_bfe_u32 v5, v0, 20, 1
	s_delay_alu instid0(VALU_DEP_1) | instskip(NEXT) | instid1(VALU_DEP_1)
	v_add3_u32 v5, v0, v5, 0x407ffff
	v_and_b32_e32 v6, 0xff00000, v5
	v_lshrrev_b32_e32 v5, 20, v5
	s_delay_alu instid0(VALU_DEP_2) | instskip(NEXT) | instid1(VALU_DEP_2)
	v_cmp_ne_u32_e32 vcc_lo, 0x7f00000, v6
	v_cndmask_b32_e32 v5, 0x7e, v5, vcc_lo
; %bb.1015:
	s_and_not1_saveexec_b32 s7, s7
; %bb.1016:
	v_add_f32_e64 v5, 0x46800000, |v0|
; %bb.1017:
	s_or_b32 exec_lo, exec_lo, s7
                                        ; implicit-def: $vgpr6
.LBB24_1018:
	s_and_not1_saveexec_b32 s5, s5
; %bb.1019:
	v_mov_b32_e32 v5, 0x7f
	v_cmp_lt_u32_e32 vcc_lo, 0x7f800000, v6
	s_delay_alu instid0(VALU_DEP_2)
	v_cndmask_b32_e32 v5, 0x7e, v5, vcc_lo
; %bb.1020:
	s_or_b32 exec_lo, exec_lo, s5
	v_lshrrev_b32_e32 v0, 24, v0
	s_delay_alu instid0(VALU_DEP_1)
	v_and_or_b32 v0, 0x80, v0, v5
	global_store_b8 v[1:2], v0, off
.LBB24_1021:
	s_mov_b32 s5, 0
.LBB24_1022:
	s_delay_alu instid0(SALU_CYCLE_1)
	s_and_not1_b32 vcc_lo, exec_lo, s5
	s_cbranch_vccnz .LBB24_1032
; %bb.1023:
	v_cvt_f32_f16_e32 v0, v3
	s_mov_b32 s5, exec_lo
                                        ; implicit-def: $vgpr5
	s_delay_alu instid0(VALU_DEP_1) | instskip(NEXT) | instid1(VALU_DEP_1)
	v_and_b32_e32 v6, 0x7fffffff, v0
	v_cmpx_gt_u32_e32 0x47800000, v6
	s_xor_b32 s5, exec_lo, s5
	s_cbranch_execz .LBB24_1029
; %bb.1024:
	s_mov_b32 s7, exec_lo
                                        ; implicit-def: $vgpr5
	v_cmpx_lt_u32_e32 0x387fffff, v6
	s_xor_b32 s7, exec_lo, s7
; %bb.1025:
	v_bfe_u32 v5, v0, 21, 1
	s_delay_alu instid0(VALU_DEP_1) | instskip(NEXT) | instid1(VALU_DEP_1)
	v_add3_u32 v5, v0, v5, 0x80fffff
	v_lshrrev_b32_e32 v5, 21, v5
; %bb.1026:
	s_and_not1_saveexec_b32 s7, s7
; %bb.1027:
	v_add_f32_e64 v5, 0x43000000, |v0|
; %bb.1028:
	s_or_b32 exec_lo, exec_lo, s7
                                        ; implicit-def: $vgpr6
.LBB24_1029:
	s_and_not1_saveexec_b32 s5, s5
; %bb.1030:
	v_mov_b32_e32 v5, 0x7f
	v_cmp_lt_u32_e32 vcc_lo, 0x7f800000, v6
	s_delay_alu instid0(VALU_DEP_2)
	v_cndmask_b32_e32 v5, 0x7c, v5, vcc_lo
; %bb.1031:
	s_or_b32 exec_lo, exec_lo, s5
	v_lshrrev_b32_e32 v0, 24, v0
	s_delay_alu instid0(VALU_DEP_1)
	v_and_or_b32 v0, 0x80, v0, v5
	global_store_b8 v[1:2], v0, off
.LBB24_1032:
	s_mov_b32 s5, 0
.LBB24_1033:
	s_delay_alu instid0(SALU_CYCLE_1)
	s_and_not1_b32 vcc_lo, exec_lo, s5
	s_mov_b32 s8, 0
	s_cbranch_vccnz .LBB24_1041
; %bb.1034:
	v_cmp_lt_i16_e32 vcc_lo, 14, v4
	s_mov_b32 s5, -1
	s_cbranch_vccz .LBB24_1038
; %bb.1035:
	v_cmp_eq_u16_e32 vcc_lo, 15, v4
	s_mov_b32 s2, -1
	s_cbranch_vccz .LBB24_1037
; %bb.1036:
	v_cvt_f32_f16_e32 v0, v3
	v_cmp_o_f16_e32 vcc_lo, v3, v3
	s_mov_b32 s2, 0
	s_delay_alu instid0(VALU_DEP_2) | instskip(NEXT) | instid1(VALU_DEP_1)
	v_bfe_u32 v5, v0, 16, 1
	v_add3_u32 v0, v0, v5, 0x7fff
	s_delay_alu instid0(VALU_DEP_1) | instskip(NEXT) | instid1(VALU_DEP_1)
	v_lshrrev_b32_e32 v0, 16, v0
	v_cndmask_b32_e32 v0, 0x7fc0, v0, vcc_lo
	global_store_b16 v[1:2], v0, off
.LBB24_1037:
	s_mov_b32 s5, 0
.LBB24_1038:
	s_delay_alu instid0(SALU_CYCLE_1)
	s_and_b32 vcc_lo, exec_lo, s5
	s_cbranch_vccz .LBB24_1041
; %bb.1039:
	v_cmp_ne_u16_e32 vcc_lo, 11, v4
	s_and_not1_b32 s2, s2, exec_lo
	s_mov_b32 s8, -1
	s_and_b32 s5, vcc_lo, exec_lo
	s_delay_alu instid0(SALU_CYCLE_1)
	s_or_b32 s2, s2, s5
	s_branch .LBB24_1041
.LBB24_1040:
	s_mov_b32 s8, 0
.LBB24_1041:
	s_and_b32 s7, s4, exec_lo
	s_and_not1_b32 s4, s39, exec_lo
	s_and_b32 s2, s2, exec_lo
	s_and_b32 s12, s8, exec_lo
	s_or_b32 s39, s4, s2
.LBB24_1042:
	s_or_b32 exec_lo, exec_lo, s6
	s_and_saveexec_b32 s2, s39
	s_cbranch_execnz .LBB24_1156
; %bb.1043:
	s_or_b32 exec_lo, exec_lo, s2
	s_and_saveexec_b32 s2, s12
	s_delay_alu instid0(SALU_CYCLE_1)
	s_xor_b32 s2, exec_lo, s2
	s_cbranch_execz .LBB24_1045
.LBB24_1044:
	v_cmp_neq_f16_e32 vcc_lo, 0, v3
	v_cndmask_b32_e64 v0, 0, 1, vcc_lo
	global_store_b8 v[1:2], v0, off
.LBB24_1045:
	s_or_b32 exec_lo, exec_lo, s2
	s_and_saveexec_b32 s2, s7
	s_delay_alu instid0(SALU_CYCLE_1)
	s_xor_b32 s2, exec_lo, s2
	s_cbranch_execz .LBB24_1083
; %bb.1046:
	v_cmp_gt_i16_e32 vcc_lo, 5, v4
	s_mov_b32 s4, -1
	s_cbranch_vccnz .LBB24_1067
; %bb.1047:
	v_cmp_gt_i16_e32 vcc_lo, 8, v4
	s_cbranch_vccnz .LBB24_1057
; %bb.1048:
	v_cmp_gt_i16_e32 vcc_lo, 9, v4
	s_cbranch_vccnz .LBB24_1054
; %bb.1049:
	v_cmp_lt_i16_e32 vcc_lo, 9, v4
	s_cbranch_vccz .LBB24_1051
; %bb.1050:
	v_cvt_f32_f16_e32 v0, v3
	v_mov_b32_e32 v7, 0
	s_mov_b32 s4, 0
	s_waitcnt vmcnt(0)
	s_delay_alu instid0(VALU_DEP_2) | instskip(NEXT) | instid1(VALU_DEP_2)
	v_cvt_f64_f32_e32 v[5:6], v0
	v_mov_b32_e32 v8, v7
	global_store_b128 v[1:2], v[5:8], off
.LBB24_1051:
	s_and_not1_b32 vcc_lo, exec_lo, s4
	s_cbranch_vccnz .LBB24_1053
; %bb.1052:
	s_waitcnt vmcnt(0)
	v_cvt_f32_f16_e32 v5, v3
	v_mov_b32_e32 v6, 0
	global_store_b64 v[1:2], v[5:6], off
.LBB24_1053:
	s_mov_b32 s4, 0
.LBB24_1054:
	s_delay_alu instid0(SALU_CYCLE_1)
	s_and_not1_b32 vcc_lo, exec_lo, s4
	s_cbranch_vccnz .LBB24_1056
; %bb.1055:
	v_and_b32_e32 v0, 0xffff, v3
	global_store_b32 v[1:2], v0, off
.LBB24_1056:
	s_mov_b32 s4, 0
.LBB24_1057:
	s_delay_alu instid0(SALU_CYCLE_1)
	s_and_not1_b32 vcc_lo, exec_lo, s4
	s_cbranch_vccnz .LBB24_1066
; %bb.1058:
	v_cmp_gt_i16_e32 vcc_lo, 6, v4
	s_mov_b32 s4, -1
	s_cbranch_vccnz .LBB24_1064
; %bb.1059:
	v_cmp_lt_i16_e32 vcc_lo, 6, v4
	s_cbranch_vccz .LBB24_1061
; %bb.1060:
	v_cvt_f32_f16_e32 v0, v3
	s_mov_b32 s4, 0
	s_waitcnt vmcnt(0)
	s_delay_alu instid0(VALU_DEP_1)
	v_cvt_f64_f32_e32 v[5:6], v0
	global_store_b64 v[1:2], v[5:6], off
.LBB24_1061:
	s_and_not1_b32 vcc_lo, exec_lo, s4
	s_cbranch_vccnz .LBB24_1063
; %bb.1062:
	v_cvt_f32_f16_e32 v0, v3
	global_store_b32 v[1:2], v0, off
.LBB24_1063:
	s_mov_b32 s4, 0
.LBB24_1064:
	s_delay_alu instid0(SALU_CYCLE_1)
	s_and_not1_b32 vcc_lo, exec_lo, s4
	s_cbranch_vccnz .LBB24_1066
; %bb.1065:
	global_store_b16 v[1:2], v3, off
.LBB24_1066:
	s_mov_b32 s4, 0
.LBB24_1067:
	s_delay_alu instid0(SALU_CYCLE_1)
	s_and_not1_b32 vcc_lo, exec_lo, s4
	s_cbranch_vccnz .LBB24_1083
; %bb.1068:
	v_cmp_gt_i16_e32 vcc_lo, 2, v4
	s_mov_b32 s4, -1
	s_cbranch_vccnz .LBB24_1078
; %bb.1069:
	v_cmp_gt_i16_e32 vcc_lo, 3, v4
	s_cbranch_vccnz .LBB24_1075
; %bb.1070:
	v_cmp_lt_i16_e32 vcc_lo, 3, v4
	s_cbranch_vccz .LBB24_1072
; %bb.1071:
	v_cvt_f32_f16_e32 v0, v3
	s_mov_b32 s4, 0
	s_waitcnt vmcnt(0)
	s_delay_alu instid0(VALU_DEP_1) | instskip(NEXT) | instid1(VALU_DEP_1)
	v_cvt_i32_f32_e32 v5, v0
	v_ashrrev_i32_e32 v6, 31, v5
	global_store_b64 v[1:2], v[5:6], off
.LBB24_1072:
	s_and_not1_b32 vcc_lo, exec_lo, s4
	s_cbranch_vccnz .LBB24_1074
; %bb.1073:
	v_cvt_f32_f16_e32 v0, v3
	s_delay_alu instid0(VALU_DEP_1)
	v_cvt_i32_f32_e32 v0, v0
	global_store_b32 v[1:2], v0, off
.LBB24_1074:
	s_mov_b32 s4, 0
.LBB24_1075:
	s_delay_alu instid0(SALU_CYCLE_1)
	s_and_not1_b32 vcc_lo, exec_lo, s4
	s_cbranch_vccnz .LBB24_1077
; %bb.1076:
	v_cvt_i16_f16_e32 v0, v3
	global_store_b16 v[1:2], v0, off
.LBB24_1077:
	s_mov_b32 s4, 0
.LBB24_1078:
	s_delay_alu instid0(SALU_CYCLE_1)
	s_and_not1_b32 vcc_lo, exec_lo, s4
	s_cbranch_vccnz .LBB24_1083
; %bb.1079:
	v_cmp_lt_i16_e32 vcc_lo, 0, v4
	s_mov_b32 s4, -1
	s_cbranch_vccz .LBB24_1081
; %bb.1080:
	v_cvt_i16_f16_e32 v0, v3
	s_mov_b32 s4, 0
	global_store_b8 v[1:2], v0, off
.LBB24_1081:
	s_and_not1_b32 vcc_lo, exec_lo, s4
	s_cbranch_vccnz .LBB24_1083
; %bb.1082:
	v_cvt_f32_f16_e32 v0, v3
	s_delay_alu instid0(VALU_DEP_1)
	v_cvt_i32_f32_e32 v0, v0
	global_store_b8 v[1:2], v0, off
.LBB24_1083:
	s_or_b32 exec_lo, exec_lo, s2
	s_delay_alu instid0(SALU_CYCLE_1)
	s_and_b32 s12, s3, exec_lo
                                        ; implicit-def: $vgpr8
                                        ; implicit-def: $vgpr4
.LBB24_1084:
	s_or_saveexec_b32 s13, s33
	s_mov_b32 s4, 0
                                        ; implicit-def: $vgpr0_vgpr1
                                        ; implicit-def: $sgpr2
                                        ; implicit-def: $vgpr2
	s_xor_b32 exec_lo, exec_lo, s13
	s_cbranch_execz .LBB24_2067
; %bb.1085:
	v_cndmask_b32_e64 v0, 0, 1, s31
	s_and_not1_b32 vcc_lo, exec_lo, s31
	s_cbranch_vccnz .LBB24_1091
; %bb.1086:
	v_mov_b32_e32 v3, 0
	v_mov_b32_e32 v7, 0
	s_cmp_lg_u32 s28, 0
	s_mov_b32 s6, 0
	s_cbranch_scc0 .LBB24_1095
; %bb.1087:
	s_min_u32 s7, s29, 15
	v_mov_b32_e32 v3, 0
	s_add_i32 s7, s7, 1
	s_cmp_eq_u32 s29, 2
	s_mov_b32 s8, 0
	s_cbranch_scc1 .LBB24_1092
; %bb.1088:
	v_mov_b32_e32 v7, 0
	v_mov_b32_e32 v3, 0
	;; [unrolled: 1-line block ×3, first 2 shown]
	s_add_u32 s2, s20, 0xc4
	s_addc_u32 s3, s21, 0
	s_and_b32 s8, s7, 28
	s_mov_b32 s9, 0
	s_mov_b64 s[4:5], s[20:21]
.LBB24_1089:                            ; =>This Inner Loop Header: Depth=1
	s_clause 0x1
	s_load_b256 s[36:43], s[4:5], 0x4
	s_load_b128 s[16:19], s[4:5], 0x24
	s_load_b256 s[44:51], s[2:3], 0x0
	s_add_u32 s4, s4, 48
	s_addc_u32 s5, s5, 0
	s_add_i32 s9, s9, 4
	s_add_u32 s2, s2, 32
	s_addc_u32 s3, s3, 0
	s_cmp_lg_u32 s8, s9
	s_waitcnt lgkmcnt(0)
	v_mul_hi_u32 v2, s37, v1
	s_delay_alu instid0(VALU_DEP_1) | instskip(NEXT) | instid1(VALU_DEP_1)
	v_add_nc_u32_e32 v2, v1, v2
	v_lshrrev_b32_e32 v2, s38, v2
	s_waitcnt vmcnt(0)
	s_delay_alu instid0(VALU_DEP_1) | instskip(SKIP_1) | instid1(VALU_DEP_2)
	v_mul_hi_u32 v5, s40, v2
	v_mul_lo_u32 v9, v2, s36
	v_add_nc_u32_e32 v5, v2, v5
	s_delay_alu instid0(VALU_DEP_2) | instskip(NEXT) | instid1(VALU_DEP_2)
	v_sub_nc_u32_e32 v1, v1, v9
	v_lshrrev_b32_e32 v5, s41, v5
	s_delay_alu instid0(VALU_DEP_2) | instskip(SKIP_1) | instid1(VALU_DEP_3)
	v_mul_lo_u32 v9, v1, s44
	v_mul_lo_u32 v11, v1, s45
	v_mul_hi_u32 v6, s43, v5
	s_delay_alu instid0(VALU_DEP_1) | instskip(NEXT) | instid1(VALU_DEP_1)
	v_add_nc_u32_e32 v6, v5, v6
	v_lshrrev_b32_e32 v6, s16, v6
	s_delay_alu instid0(VALU_DEP_1) | instskip(SKIP_1) | instid1(VALU_DEP_2)
	v_mul_hi_u32 v10, s18, v6
	v_mul_lo_u32 v12, v6, s42
	v_add_nc_u32_e32 v1, v6, v10
	v_mul_lo_u32 v10, v5, s39
	s_delay_alu instid0(VALU_DEP_3) | instskip(NEXT) | instid1(VALU_DEP_3)
	v_sub_nc_u32_e32 v5, v5, v12
	v_lshrrev_b32_e32 v1, s19, v1
	s_delay_alu instid0(VALU_DEP_2) | instskip(SKIP_2) | instid1(VALU_DEP_4)
	v_mul_lo_u32 v12, v5, s48
	v_mul_lo_u32 v5, v5, s49
	v_sub_nc_u32_e32 v2, v2, v10
	v_mul_lo_u32 v13, v1, s17
	s_delay_alu instid0(VALU_DEP_2) | instskip(SKIP_1) | instid1(VALU_DEP_3)
	v_mul_lo_u32 v10, v2, s46
	v_mul_lo_u32 v2, v2, s47
	v_sub_nc_u32_e32 v6, v6, v13
	s_delay_alu instid0(VALU_DEP_3) | instskip(NEXT) | instid1(VALU_DEP_2)
	v_add3_u32 v3, v9, v3, v10
	v_mul_lo_u32 v13, v6, s50
	v_mul_lo_u32 v6, v6, s51
	v_add3_u32 v2, v11, v7, v2
	s_delay_alu instid0(VALU_DEP_3) | instskip(NEXT) | instid1(VALU_DEP_2)
	v_add3_u32 v3, v12, v3, v13
	v_add3_u32 v7, v5, v2, v6
	s_cbranch_scc1 .LBB24_1089
; %bb.1090:
	s_and_b32 s7, s7, 3
	s_delay_alu instid0(SALU_CYCLE_1)
	s_cmp_eq_u32 s7, 0
	s_cbranch_scc0 .LBB24_1093
	s_branch .LBB24_1095
.LBB24_1091:
	s_mov_b32 s6, -1
                                        ; implicit-def: $vgpr3
                                        ; implicit-def: $vgpr7
	s_branch .LBB24_1095
.LBB24_1092:
	v_mov_b32_e32 v1, v4
	v_mov_b32_e32 v7, 0
	s_and_b32 s7, s7, 3
	s_delay_alu instid0(SALU_CYCLE_1)
	s_cmp_eq_u32 s7, 0
	s_cbranch_scc1 .LBB24_1095
.LBB24_1093:
	s_lshl_b32 s2, s8, 3
	s_mul_i32 s4, s8, 12
	s_add_u32 s2, s2, s20
	s_addc_u32 s3, 0, s21
	s_add_u32 s2, s2, 0xc4
	s_addc_u32 s3, s3, 0
	;; [unrolled: 2-line block ×3, first 2 shown]
	.p2align	6
.LBB24_1094:                            ; =>This Inner Loop Header: Depth=1
	s_clause 0x1
	s_load_b64 s[8:9], s[4:5], 0x4
	s_load_b32 s14, s[4:5], 0xc
	s_load_b64 s[10:11], s[2:3], 0x0
	s_add_u32 s4, s4, 12
	s_addc_u32 s5, s5, 0
	s_add_u32 s2, s2, 8
	s_addc_u32 s3, s3, 0
	s_add_i32 s7, s7, -1
	s_delay_alu instid0(SALU_CYCLE_1) | instskip(SKIP_2) | instid1(VALU_DEP_1)
	s_cmp_lg_u32 s7, 0
	s_waitcnt lgkmcnt(0)
	v_mul_hi_u32 v2, s9, v1
	v_add_nc_u32_e32 v2, v1, v2
	s_delay_alu instid0(VALU_DEP_1) | instskip(NEXT) | instid1(VALU_DEP_1)
	v_lshrrev_b32_e32 v9, s14, v2
	v_mul_lo_u32 v2, v9, s8
	s_delay_alu instid0(VALU_DEP_1) | instskip(SKIP_1) | instid1(VALU_DEP_1)
	v_sub_nc_u32_e32 v1, v1, v2
	s_waitcnt vmcnt(0)
	v_mad_u64_u32 v[5:6], null, v1, s10, v[3:4]
	v_mad_u64_u32 v[2:3], null, v1, s11, v[7:8]
	v_mov_b32_e32 v1, v9
	s_delay_alu instid0(VALU_DEP_3) | instskip(NEXT) | instid1(VALU_DEP_3)
	v_mov_b32_e32 v3, v5
	v_mov_b32_e32 v7, v2
	s_cbranch_scc1 .LBB24_1094
.LBB24_1095:
	s_and_not1_b32 vcc_lo, exec_lo, s6
	s_cbranch_vccnz .LBB24_1098
; %bb.1096:
	s_clause 0x1
	s_load_b128 s[4:7], s[20:21], 0x4
	s_load_b64 s[2:3], s[20:21], 0xc4
	s_cmp_lt_u32 s28, 2
	s_waitcnt lgkmcnt(0)
	v_mul_hi_u32 v1, s5, v4
	s_delay_alu instid0(VALU_DEP_1) | instskip(NEXT) | instid1(VALU_DEP_1)
	v_add_nc_u32_e32 v1, v4, v1
	v_lshrrev_b32_e32 v1, s6, v1
	s_delay_alu instid0(VALU_DEP_1) | instskip(NEXT) | instid1(VALU_DEP_1)
	v_mul_lo_u32 v2, v1, s4
	v_sub_nc_u32_e32 v2, v4, v2
	s_delay_alu instid0(VALU_DEP_1)
	v_mul_lo_u32 v3, v2, s2
	v_mul_lo_u32 v7, v2, s3
	s_cbranch_scc1 .LBB24_1098
; %bb.1097:
	s_clause 0x1
	s_load_b128 s[4:7], s[20:21], 0x10
	s_load_b64 s[2:3], s[20:21], 0xcc
	s_waitcnt lgkmcnt(0)
	v_mul_hi_u32 v2, s5, v1
	s_delay_alu instid0(VALU_DEP_1) | instskip(NEXT) | instid1(VALU_DEP_1)
	v_add_nc_u32_e32 v2, v1, v2
	v_lshrrev_b32_e32 v2, s6, v2
	s_delay_alu instid0(VALU_DEP_1) | instskip(SKIP_1) | instid1(VALU_DEP_1)
	v_mul_lo_u32 v2, v2, s4
	s_waitcnt vmcnt(0)
	v_sub_nc_u32_e32 v5, v1, v2
	s_delay_alu instid0(VALU_DEP_1) | instskip(SKIP_1) | instid1(VALU_DEP_2)
	v_mad_u64_u32 v[1:2], null, v5, s2, v[3:4]
	v_mad_u64_u32 v[2:3], null, v5, s3, v[7:8]
	v_mov_b32_e32 v3, v1
	s_delay_alu instid0(VALU_DEP_2)
	v_mov_b32_e32 v7, v2
.LBB24_1098:
	v_cmp_ne_u32_e32 vcc_lo, 1, v0
	v_add_nc_u32_e32 v1, 0x80, v4
	s_cbranch_vccnz .LBB24_1104
; %bb.1099:
	v_mov_b32_e32 v2, 0
	s_waitcnt vmcnt(0)
	v_mov_b32_e32 v6, 0
	s_cmp_lg_u32 s28, 0
	s_mov_b32 s6, 0
	s_cbranch_scc0 .LBB24_1108
; %bb.1100:
	s_min_u32 s7, s29, 15
	v_mov_b32_e32 v2, 0
	s_add_i32 s7, s7, 1
	s_cmp_eq_u32 s29, 2
	s_mov_b32 s8, 0
	s_cbranch_scc1 .LBB24_1105
; %bb.1101:
	v_dual_mov_b32 v6, 0 :: v_dual_mov_b32 v5, v1
	v_mov_b32_e32 v2, 0
	s_add_u32 s2, s20, 0xc4
	s_addc_u32 s3, s21, 0
	s_and_b32 s8, s7, 28
	s_mov_b32 s9, 0
	s_mov_b64 s[4:5], s[20:21]
.LBB24_1102:                            ; =>This Inner Loop Header: Depth=1
	s_clause 0x1
	s_load_b256 s[36:43], s[4:5], 0x4
	s_load_b128 s[16:19], s[4:5], 0x24
	s_load_b256 s[44:51], s[2:3], 0x0
	s_add_u32 s4, s4, 48
	s_addc_u32 s5, s5, 0
	s_add_i32 s9, s9, 4
	s_add_u32 s2, s2, 32
	s_addc_u32 s3, s3, 0
	s_cmp_lg_u32 s8, s9
	s_waitcnt lgkmcnt(0)
	v_mul_hi_u32 v9, s37, v5
	s_delay_alu instid0(VALU_DEP_1) | instskip(NEXT) | instid1(VALU_DEP_1)
	v_add_nc_u32_e32 v9, v5, v9
	v_lshrrev_b32_e32 v9, s38, v9
	s_delay_alu instid0(VALU_DEP_1) | instskip(SKIP_1) | instid1(VALU_DEP_2)
	v_mul_hi_u32 v10, s40, v9
	v_mul_lo_u32 v12, v9, s36
	v_add_nc_u32_e32 v10, v9, v10
	s_delay_alu instid0(VALU_DEP_2) | instskip(NEXT) | instid1(VALU_DEP_2)
	v_sub_nc_u32_e32 v5, v5, v12
	v_lshrrev_b32_e32 v10, s41, v10
	s_delay_alu instid0(VALU_DEP_2) | instskip(SKIP_1) | instid1(VALU_DEP_3)
	v_mul_lo_u32 v12, v5, s44
	v_mul_lo_u32 v14, v5, s45
	v_mul_hi_u32 v11, s43, v10
	s_delay_alu instid0(VALU_DEP_1) | instskip(NEXT) | instid1(VALU_DEP_1)
	v_add_nc_u32_e32 v11, v10, v11
	v_lshrrev_b32_e32 v11, s16, v11
	s_delay_alu instid0(VALU_DEP_1) | instskip(SKIP_1) | instid1(VALU_DEP_2)
	v_mul_hi_u32 v13, s18, v11
	v_mul_lo_u32 v15, v11, s42
	v_add_nc_u32_e32 v5, v11, v13
	v_mul_lo_u32 v13, v10, s39
	s_delay_alu instid0(VALU_DEP_3) | instskip(NEXT) | instid1(VALU_DEP_3)
	v_sub_nc_u32_e32 v10, v10, v15
	v_lshrrev_b32_e32 v5, s19, v5
	s_delay_alu instid0(VALU_DEP_2) | instskip(SKIP_2) | instid1(VALU_DEP_4)
	v_mul_lo_u32 v15, v10, s48
	v_mul_lo_u32 v10, v10, s49
	v_sub_nc_u32_e32 v9, v9, v13
	v_mul_lo_u32 v16, v5, s17
	s_delay_alu instid0(VALU_DEP_2) | instskip(SKIP_1) | instid1(VALU_DEP_3)
	v_mul_lo_u32 v13, v9, s46
	v_mul_lo_u32 v9, v9, s47
	v_sub_nc_u32_e32 v11, v11, v16
	s_delay_alu instid0(VALU_DEP_3) | instskip(NEXT) | instid1(VALU_DEP_2)
	v_add3_u32 v2, v12, v2, v13
	v_mul_lo_u32 v16, v11, s50
	v_mul_lo_u32 v11, v11, s51
	v_add3_u32 v6, v14, v6, v9
	s_delay_alu instid0(VALU_DEP_3) | instskip(NEXT) | instid1(VALU_DEP_2)
	v_add3_u32 v2, v15, v2, v16
	v_add3_u32 v6, v10, v6, v11
	s_cbranch_scc1 .LBB24_1102
; %bb.1103:
	s_and_b32 s7, s7, 3
	s_delay_alu instid0(SALU_CYCLE_1)
	s_cmp_eq_u32 s7, 0
	s_cbranch_scc0 .LBB24_1106
	s_branch .LBB24_1108
.LBB24_1104:
	s_mov_b32 s6, -1
                                        ; implicit-def: $vgpr2
                                        ; implicit-def: $vgpr6
	s_branch .LBB24_1108
.LBB24_1105:
	v_dual_mov_b32 v5, v1 :: v_dual_mov_b32 v6, 0
	s_and_b32 s7, s7, 3
	s_delay_alu instid0(SALU_CYCLE_1)
	s_cmp_eq_u32 s7, 0
	s_cbranch_scc1 .LBB24_1108
.LBB24_1106:
	s_lshl_b32 s2, s8, 3
	s_mul_i32 s4, s8, 12
	s_add_u32 s2, s2, s20
	s_addc_u32 s3, 0, s21
	s_add_u32 s2, s2, 0xc4
	s_addc_u32 s3, s3, 0
	;; [unrolled: 2-line block ×3, first 2 shown]
	.p2align	6
.LBB24_1107:                            ; =>This Inner Loop Header: Depth=1
	s_clause 0x1
	s_load_b64 s[8:9], s[4:5], 0x4
	s_load_b32 s14, s[4:5], 0xc
	s_load_b64 s[10:11], s[2:3], 0x0
	s_add_u32 s4, s4, 12
	s_addc_u32 s5, s5, 0
	s_add_u32 s2, s2, 8
	s_addc_u32 s3, s3, 0
	s_add_i32 s7, s7, -1
	s_delay_alu instid0(SALU_CYCLE_1) | instskip(SKIP_2) | instid1(VALU_DEP_1)
	s_cmp_lg_u32 s7, 0
	s_waitcnt lgkmcnt(0)
	v_mul_hi_u32 v9, s9, v5
	v_add_nc_u32_e32 v9, v5, v9
	s_delay_alu instid0(VALU_DEP_1) | instskip(NEXT) | instid1(VALU_DEP_1)
	v_lshrrev_b32_e32 v12, s14, v9
	v_mul_lo_u32 v9, v12, s8
	s_delay_alu instid0(VALU_DEP_1) | instskip(NEXT) | instid1(VALU_DEP_1)
	v_sub_nc_u32_e32 v5, v5, v9
	v_mad_u64_u32 v[9:10], null, v5, s10, v[2:3]
	v_mad_u64_u32 v[10:11], null, v5, s11, v[6:7]
	s_delay_alu instid0(VALU_DEP_2) | instskip(NEXT) | instid1(VALU_DEP_2)
	v_dual_mov_b32 v5, v12 :: v_dual_mov_b32 v2, v9
	v_mov_b32_e32 v6, v10
	s_cbranch_scc1 .LBB24_1107
.LBB24_1108:
	s_and_not1_b32 vcc_lo, exec_lo, s6
	s_cbranch_vccnz .LBB24_1111
; %bb.1109:
	s_clause 0x1
	s_load_b128 s[4:7], s[20:21], 0x4
	s_load_b64 s[2:3], s[20:21], 0xc4
	s_cmp_lt_u32 s28, 2
	s_waitcnt lgkmcnt(0)
	v_mul_hi_u32 v2, s5, v1
	s_delay_alu instid0(VALU_DEP_1) | instskip(SKIP_1) | instid1(VALU_DEP_1)
	v_add_nc_u32_e32 v2, v1, v2
	s_waitcnt vmcnt(0)
	v_lshrrev_b32_e32 v5, s6, v2
	s_delay_alu instid0(VALU_DEP_1) | instskip(NEXT) | instid1(VALU_DEP_1)
	v_mul_lo_u32 v2, v5, s4
	v_sub_nc_u32_e32 v1, v1, v2
	s_delay_alu instid0(VALU_DEP_1)
	v_mul_lo_u32 v2, v1, s2
	v_mul_lo_u32 v6, v1, s3
	s_cbranch_scc1 .LBB24_1111
; %bb.1110:
	s_clause 0x1
	s_load_b128 s[4:7], s[20:21], 0x10
	s_load_b64 s[2:3], s[20:21], 0xcc
	s_waitcnt lgkmcnt(0)
	v_mul_hi_u32 v1, s5, v5
	s_delay_alu instid0(VALU_DEP_1) | instskip(NEXT) | instid1(VALU_DEP_1)
	v_add_nc_u32_e32 v1, v5, v1
	v_lshrrev_b32_e32 v1, s6, v1
	s_delay_alu instid0(VALU_DEP_1) | instskip(NEXT) | instid1(VALU_DEP_1)
	v_mul_lo_u32 v1, v1, s4
	v_sub_nc_u32_e32 v5, v5, v1
	s_delay_alu instid0(VALU_DEP_1) | instskip(SKIP_1) | instid1(VALU_DEP_2)
	v_mad_u64_u32 v[9:10], null, v5, s2, v[2:3]
	v_mad_u64_u32 v[1:2], null, v5, s3, v[6:7]
	v_mov_b32_e32 v2, v9
	s_delay_alu instid0(VALU_DEP_2)
	v_mov_b32_e32 v6, v1
.LBB24_1111:
	v_cmp_ne_u32_e32 vcc_lo, 1, v0
	v_add_nc_u32_e32 v4, 0x100, v4
	s_cbranch_vccnz .LBB24_1117
; %bb.1112:
	v_mov_b32_e32 v1, 0
	s_waitcnt vmcnt(0)
	v_mov_b32_e32 v5, 0
	s_cmp_lg_u32 s28, 0
	s_mov_b32 s6, 0
	s_cbranch_scc0 .LBB24_1121
; %bb.1113:
	s_min_u32 s7, s29, 15
	v_mov_b32_e32 v1, 0
	s_add_i32 s7, s7, 1
	s_cmp_eq_u32 s29, 2
	s_mov_b32 s8, 0
	s_cbranch_scc1 .LBB24_1118
; %bb.1114:
	v_mov_b32_e32 v5, 0
	v_mov_b32_e32 v1, 0
	;; [unrolled: 1-line block ×3, first 2 shown]
	s_add_u32 s2, s20, 0xc4
	s_addc_u32 s3, s21, 0
	s_and_b32 s8, s7, 28
	s_mov_b32 s9, 0
	s_mov_b64 s[4:5], s[20:21]
.LBB24_1115:                            ; =>This Inner Loop Header: Depth=1
	s_clause 0x1
	s_load_b256 s[36:43], s[4:5], 0x4
	s_load_b128 s[16:19], s[4:5], 0x24
	s_load_b256 s[44:51], s[2:3], 0x0
	s_add_u32 s4, s4, 48
	s_addc_u32 s5, s5, 0
	s_add_i32 s9, s9, 4
	s_add_u32 s2, s2, 32
	s_addc_u32 s3, s3, 0
	s_cmp_lg_u32 s8, s9
	s_waitcnt lgkmcnt(0)
	v_mul_hi_u32 v10, s37, v9
	s_delay_alu instid0(VALU_DEP_1) | instskip(NEXT) | instid1(VALU_DEP_1)
	v_add_nc_u32_e32 v10, v9, v10
	v_lshrrev_b32_e32 v10, s38, v10
	s_delay_alu instid0(VALU_DEP_1) | instskip(SKIP_1) | instid1(VALU_DEP_2)
	v_mul_hi_u32 v11, s40, v10
	v_mul_lo_u32 v13, v10, s36
	v_add_nc_u32_e32 v11, v10, v11
	s_delay_alu instid0(VALU_DEP_2) | instskip(NEXT) | instid1(VALU_DEP_2)
	v_sub_nc_u32_e32 v9, v9, v13
	v_lshrrev_b32_e32 v11, s41, v11
	s_delay_alu instid0(VALU_DEP_2) | instskip(SKIP_1) | instid1(VALU_DEP_3)
	v_mul_lo_u32 v13, v9, s44
	v_mul_lo_u32 v15, v9, s45
	v_mul_hi_u32 v12, s43, v11
	s_delay_alu instid0(VALU_DEP_1) | instskip(NEXT) | instid1(VALU_DEP_1)
	v_add_nc_u32_e32 v12, v11, v12
	v_lshrrev_b32_e32 v12, s16, v12
	s_delay_alu instid0(VALU_DEP_1) | instskip(SKIP_1) | instid1(VALU_DEP_2)
	v_mul_hi_u32 v14, s18, v12
	v_mul_lo_u32 v16, v12, s42
	v_add_nc_u32_e32 v9, v12, v14
	v_mul_lo_u32 v14, v11, s39
	s_delay_alu instid0(VALU_DEP_3) | instskip(NEXT) | instid1(VALU_DEP_3)
	v_sub_nc_u32_e32 v11, v11, v16
	v_lshrrev_b32_e32 v9, s19, v9
	s_delay_alu instid0(VALU_DEP_2) | instskip(SKIP_2) | instid1(VALU_DEP_4)
	v_mul_lo_u32 v16, v11, s48
	v_mul_lo_u32 v11, v11, s49
	v_sub_nc_u32_e32 v10, v10, v14
	v_mul_lo_u32 v17, v9, s17
	s_delay_alu instid0(VALU_DEP_2) | instskip(SKIP_1) | instid1(VALU_DEP_3)
	v_mul_lo_u32 v14, v10, s46
	v_mul_lo_u32 v10, v10, s47
	v_sub_nc_u32_e32 v12, v12, v17
	s_delay_alu instid0(VALU_DEP_3) | instskip(NEXT) | instid1(VALU_DEP_2)
	v_add3_u32 v1, v13, v1, v14
	v_mul_lo_u32 v17, v12, s50
	v_mul_lo_u32 v12, v12, s51
	v_add3_u32 v5, v15, v5, v10
	s_delay_alu instid0(VALU_DEP_3) | instskip(NEXT) | instid1(VALU_DEP_2)
	v_add3_u32 v1, v16, v1, v17
	v_add3_u32 v5, v11, v5, v12
	s_cbranch_scc1 .LBB24_1115
; %bb.1116:
	s_and_b32 s7, s7, 3
	s_delay_alu instid0(SALU_CYCLE_1)
	s_cmp_eq_u32 s7, 0
	s_cbranch_scc0 .LBB24_1119
	s_branch .LBB24_1121
.LBB24_1117:
	s_mov_b32 s6, -1
                                        ; implicit-def: $vgpr1
                                        ; implicit-def: $vgpr5
	s_branch .LBB24_1121
.LBB24_1118:
	v_mov_b32_e32 v9, v4
	v_mov_b32_e32 v5, 0
	s_and_b32 s7, s7, 3
	s_delay_alu instid0(SALU_CYCLE_1)
	s_cmp_eq_u32 s7, 0
	s_cbranch_scc1 .LBB24_1121
.LBB24_1119:
	s_lshl_b32 s2, s8, 3
	s_mul_i32 s4, s8, 12
	s_add_u32 s2, s2, s20
	s_addc_u32 s3, 0, s21
	s_add_u32 s2, s2, 0xc4
	s_addc_u32 s3, s3, 0
	;; [unrolled: 2-line block ×3, first 2 shown]
	.p2align	6
.LBB24_1120:                            ; =>This Inner Loop Header: Depth=1
	s_clause 0x1
	s_load_b64 s[8:9], s[4:5], 0x4
	s_load_b32 s14, s[4:5], 0xc
	s_load_b64 s[10:11], s[2:3], 0x0
	s_add_u32 s4, s4, 12
	s_addc_u32 s5, s5, 0
	s_add_u32 s2, s2, 8
	s_addc_u32 s3, s3, 0
	s_add_i32 s7, s7, -1
	s_delay_alu instid0(SALU_CYCLE_1) | instskip(SKIP_2) | instid1(VALU_DEP_1)
	s_cmp_lg_u32 s7, 0
	s_waitcnt lgkmcnt(0)
	v_mul_hi_u32 v10, s9, v9
	v_add_nc_u32_e32 v10, v9, v10
	s_delay_alu instid0(VALU_DEP_1) | instskip(NEXT) | instid1(VALU_DEP_1)
	v_lshrrev_b32_e32 v13, s14, v10
	v_mul_lo_u32 v10, v13, s8
	s_delay_alu instid0(VALU_DEP_1) | instskip(NEXT) | instid1(VALU_DEP_1)
	v_sub_nc_u32_e32 v9, v9, v10
	v_mad_u64_u32 v[10:11], null, v9, s10, v[1:2]
	v_mad_u64_u32 v[11:12], null, v9, s11, v[5:6]
	v_mov_b32_e32 v9, v13
	s_delay_alu instid0(VALU_DEP_3) | instskip(NEXT) | instid1(VALU_DEP_3)
	v_mov_b32_e32 v1, v10
	v_mov_b32_e32 v5, v11
	s_cbranch_scc1 .LBB24_1120
.LBB24_1121:
	s_and_not1_b32 vcc_lo, exec_lo, s6
	s_cbranch_vccnz .LBB24_1124
; %bb.1122:
	s_clause 0x1
	s_load_b128 s[4:7], s[20:21], 0x4
	s_load_b64 s[2:3], s[20:21], 0xc4
	s_cmp_lt_u32 s28, 2
	s_waitcnt lgkmcnt(0)
	v_mul_hi_u32 v1, s5, v4
	s_delay_alu instid0(VALU_DEP_1) | instskip(NEXT) | instid1(VALU_DEP_1)
	v_add_nc_u32_e32 v1, v4, v1
	v_lshrrev_b32_e32 v9, s6, v1
	s_delay_alu instid0(VALU_DEP_1) | instskip(NEXT) | instid1(VALU_DEP_1)
	v_mul_lo_u32 v1, v9, s4
	v_sub_nc_u32_e32 v4, v4, v1
	s_delay_alu instid0(VALU_DEP_1)
	v_mul_lo_u32 v1, v4, s2
	s_waitcnt vmcnt(0)
	v_mul_lo_u32 v5, v4, s3
	s_cbranch_scc1 .LBB24_1124
; %bb.1123:
	s_clause 0x1
	s_load_b128 s[4:7], s[20:21], 0x10
	s_load_b64 s[2:3], s[20:21], 0xcc
	s_waitcnt lgkmcnt(0)
	v_mul_hi_u32 v4, s5, v9
	s_delay_alu instid0(VALU_DEP_1) | instskip(NEXT) | instid1(VALU_DEP_1)
	v_add_nc_u32_e32 v4, v9, v4
	v_lshrrev_b32_e32 v4, s6, v4
	s_delay_alu instid0(VALU_DEP_1) | instskip(NEXT) | instid1(VALU_DEP_1)
	v_mul_lo_u32 v4, v4, s4
	v_sub_nc_u32_e32 v4, v9, v4
	s_delay_alu instid0(VALU_DEP_1) | instskip(SKIP_1) | instid1(VALU_DEP_2)
	v_mad_u64_u32 v[9:10], null, v4, s2, v[1:2]
	v_mad_u64_u32 v[10:11], null, v4, s3, v[5:6]
	v_mov_b32_e32 v1, v9
	s_delay_alu instid0(VALU_DEP_2)
	v_mov_b32_e32 v5, v10
.LBB24_1124:
	v_cmp_ne_u32_e32 vcc_lo, 1, v0
	s_cbranch_vccnz .LBB24_1130
; %bb.1125:
	v_mov_b32_e32 v0, 0
	v_mov_b32_e32 v4, 0
	s_cmp_lg_u32 s28, 0
	s_mov_b32 s6, 0
	s_cbranch_scc0 .LBB24_1134
; %bb.1126:
	s_min_u32 s7, s29, 15
	v_mov_b32_e32 v0, 0
	s_add_i32 s7, s7, 1
	s_cmp_eq_u32 s29, 2
	s_mov_b32 s8, 0
	s_cbranch_scc1 .LBB24_1131
; %bb.1127:
	v_dual_mov_b32 v4, 0 :: v_dual_mov_b32 v9, v8
	v_mov_b32_e32 v0, 0
	s_add_u32 s2, s20, 0xc4
	s_addc_u32 s3, s21, 0
	s_and_b32 s8, s7, 28
	s_mov_b32 s9, 0
	s_mov_b64 s[4:5], s[20:21]
.LBB24_1128:                            ; =>This Inner Loop Header: Depth=1
	s_clause 0x1
	s_load_b256 s[36:43], s[4:5], 0x4
	s_load_b128 s[16:19], s[4:5], 0x24
	s_load_b256 s[44:51], s[2:3], 0x0
	s_add_u32 s4, s4, 48
	s_addc_u32 s5, s5, 0
	s_add_i32 s9, s9, 4
	s_add_u32 s2, s2, 32
	s_addc_u32 s3, s3, 0
	s_cmp_lg_u32 s8, s9
	s_waitcnt lgkmcnt(0)
	v_mul_hi_u32 v10, s37, v9
	s_delay_alu instid0(VALU_DEP_1) | instskip(NEXT) | instid1(VALU_DEP_1)
	v_add_nc_u32_e32 v10, v9, v10
	v_lshrrev_b32_e32 v10, s38, v10
	s_delay_alu instid0(VALU_DEP_1) | instskip(SKIP_1) | instid1(VALU_DEP_2)
	v_mul_hi_u32 v11, s40, v10
	v_mul_lo_u32 v13, v10, s36
	v_add_nc_u32_e32 v11, v10, v11
	s_delay_alu instid0(VALU_DEP_2) | instskip(NEXT) | instid1(VALU_DEP_2)
	v_sub_nc_u32_e32 v9, v9, v13
	v_lshrrev_b32_e32 v11, s41, v11
	s_delay_alu instid0(VALU_DEP_2) | instskip(SKIP_1) | instid1(VALU_DEP_3)
	v_mul_lo_u32 v13, v9, s44
	v_mul_lo_u32 v15, v9, s45
	v_mul_hi_u32 v12, s43, v11
	s_delay_alu instid0(VALU_DEP_1) | instskip(NEXT) | instid1(VALU_DEP_1)
	v_add_nc_u32_e32 v12, v11, v12
	v_lshrrev_b32_e32 v12, s16, v12
	s_delay_alu instid0(VALU_DEP_1) | instskip(SKIP_1) | instid1(VALU_DEP_2)
	v_mul_hi_u32 v14, s18, v12
	v_mul_lo_u32 v16, v12, s42
	v_add_nc_u32_e32 v9, v12, v14
	v_mul_lo_u32 v14, v11, s39
	s_delay_alu instid0(VALU_DEP_3) | instskip(NEXT) | instid1(VALU_DEP_3)
	v_sub_nc_u32_e32 v11, v11, v16
	v_lshrrev_b32_e32 v9, s19, v9
	s_delay_alu instid0(VALU_DEP_2) | instskip(SKIP_2) | instid1(VALU_DEP_4)
	v_mul_lo_u32 v16, v11, s48
	v_mul_lo_u32 v11, v11, s49
	v_sub_nc_u32_e32 v10, v10, v14
	v_mul_lo_u32 v17, v9, s17
	s_delay_alu instid0(VALU_DEP_2) | instskip(SKIP_1) | instid1(VALU_DEP_3)
	v_mul_lo_u32 v14, v10, s46
	v_mul_lo_u32 v10, v10, s47
	v_sub_nc_u32_e32 v12, v12, v17
	s_delay_alu instid0(VALU_DEP_3) | instskip(NEXT) | instid1(VALU_DEP_2)
	v_add3_u32 v0, v13, v0, v14
	v_mul_lo_u32 v17, v12, s50
	v_mul_lo_u32 v12, v12, s51
	v_add3_u32 v4, v15, v4, v10
	s_delay_alu instid0(VALU_DEP_3) | instskip(NEXT) | instid1(VALU_DEP_2)
	v_add3_u32 v0, v16, v0, v17
	v_add3_u32 v4, v11, v4, v12
	s_cbranch_scc1 .LBB24_1128
; %bb.1129:
	s_and_b32 s7, s7, 3
	s_delay_alu instid0(SALU_CYCLE_1)
	s_cmp_eq_u32 s7, 0
	s_cbranch_scc0 .LBB24_1132
	s_branch .LBB24_1134
.LBB24_1130:
	s_mov_b32 s6, -1
                                        ; implicit-def: $vgpr0
                                        ; implicit-def: $vgpr4
	s_branch .LBB24_1134
.LBB24_1131:
	v_dual_mov_b32 v9, v8 :: v_dual_mov_b32 v4, 0
	s_and_b32 s7, s7, 3
	s_delay_alu instid0(SALU_CYCLE_1)
	s_cmp_eq_u32 s7, 0
	s_cbranch_scc1 .LBB24_1134
.LBB24_1132:
	s_lshl_b32 s2, s8, 3
	s_mul_i32 s4, s8, 12
	s_add_u32 s2, s2, s20
	s_addc_u32 s3, 0, s21
	s_add_u32 s2, s2, 0xc4
	s_addc_u32 s3, s3, 0
	;; [unrolled: 2-line block ×3, first 2 shown]
	.p2align	6
.LBB24_1133:                            ; =>This Inner Loop Header: Depth=1
	s_clause 0x1
	s_load_b64 s[8:9], s[4:5], 0x4
	s_load_b32 s14, s[4:5], 0xc
	s_load_b64 s[10:11], s[2:3], 0x0
	s_add_u32 s4, s4, 12
	s_addc_u32 s5, s5, 0
	s_add_u32 s2, s2, 8
	s_addc_u32 s3, s3, 0
	s_add_i32 s7, s7, -1
	s_delay_alu instid0(SALU_CYCLE_1) | instskip(SKIP_2) | instid1(VALU_DEP_1)
	s_cmp_lg_u32 s7, 0
	s_waitcnt lgkmcnt(0)
	v_mul_hi_u32 v10, s9, v9
	v_add_nc_u32_e32 v10, v9, v10
	s_delay_alu instid0(VALU_DEP_1) | instskip(NEXT) | instid1(VALU_DEP_1)
	v_lshrrev_b32_e32 v13, s14, v10
	v_mul_lo_u32 v10, v13, s8
	s_delay_alu instid0(VALU_DEP_1) | instskip(NEXT) | instid1(VALU_DEP_1)
	v_sub_nc_u32_e32 v9, v9, v10
	v_mad_u64_u32 v[10:11], null, v9, s10, v[0:1]
	s_waitcnt vmcnt(0)
	v_mad_u64_u32 v[11:12], null, v9, s11, v[4:5]
	s_delay_alu instid0(VALU_DEP_2) | instskip(NEXT) | instid1(VALU_DEP_2)
	v_dual_mov_b32 v9, v13 :: v_dual_mov_b32 v0, v10
	v_mov_b32_e32 v4, v11
	s_cbranch_scc1 .LBB24_1133
.LBB24_1134:
	s_and_not1_b32 vcc_lo, exec_lo, s6
	s_cbranch_vccnz .LBB24_1137
; %bb.1135:
	s_clause 0x1
	s_load_b128 s[4:7], s[20:21], 0x4
	s_load_b64 s[2:3], s[20:21], 0xc4
	s_cmp_lt_u32 s28, 2
	s_waitcnt lgkmcnt(0)
	v_mul_hi_u32 v0, s5, v8
	s_delay_alu instid0(VALU_DEP_1) | instskip(NEXT) | instid1(VALU_DEP_1)
	v_add_nc_u32_e32 v0, v8, v0
	v_lshrrev_b32_e32 v9, s6, v0
	s_delay_alu instid0(VALU_DEP_1) | instskip(NEXT) | instid1(VALU_DEP_1)
	v_mul_lo_u32 v0, v9, s4
	v_sub_nc_u32_e32 v4, v8, v0
	s_delay_alu instid0(VALU_DEP_1)
	v_mul_lo_u32 v0, v4, s2
	v_mul_lo_u32 v4, v4, s3
	s_cbranch_scc1 .LBB24_1137
; %bb.1136:
	s_clause 0x1
	s_load_b128 s[4:7], s[20:21], 0x10
	s_load_b64 s[2:3], s[20:21], 0xcc
	s_waitcnt lgkmcnt(0)
	v_mul_hi_u32 v8, s5, v9
	s_delay_alu instid0(VALU_DEP_1) | instskip(NEXT) | instid1(VALU_DEP_1)
	v_add_nc_u32_e32 v8, v9, v8
	v_lshrrev_b32_e32 v8, s6, v8
	s_delay_alu instid0(VALU_DEP_1) | instskip(NEXT) | instid1(VALU_DEP_1)
	v_mul_lo_u32 v8, v8, s4
	v_sub_nc_u32_e32 v11, v9, v8
	s_delay_alu instid0(VALU_DEP_1) | instskip(SKIP_2) | instid1(VALU_DEP_2)
	v_mad_u64_u32 v[8:9], null, v11, s2, v[0:1]
	s_waitcnt vmcnt(0)
	v_mad_u64_u32 v[9:10], null, v11, s3, v[4:5]
	v_mov_b32_e32 v0, v8
	s_delay_alu instid0(VALU_DEP_2)
	v_mov_b32_e32 v4, v9
.LBB24_1137:
	s_clause 0x1
	s_load_b32 s0, s[0:1], 0x170
	s_load_b256 s[4:11], s[20:21], 0x148
	s_mov_b32 s3, 0
	s_waitcnt lgkmcnt(0)
	s_lshr_b32 s0, s0, 8
	s_delay_alu instid0(SALU_CYCLE_1) | instskip(SKIP_1) | instid1(VALU_DEP_1)
	v_and_b32_e64 v9, 0xff, s0
	v_add_co_u32 v7, s0, s6, v7
	v_add_co_ci_u32_e64 v8, null, s7, 0, s0
	s_delay_alu instid0(VALU_DEP_3)
	v_cmp_gt_i16_e32 vcc_lo, 11, v9
	s_cbranch_vccnz .LBB24_1144
; %bb.1138:
	v_cmp_lt_i16_e32 vcc_lo, 25, v9
	s_mov_b32 s2, 0
	s_cbranch_vccz .LBB24_1150
; %bb.1139:
	v_cmp_lt_i16_e32 vcc_lo, 28, v9
	s_cbranch_vccz .LBB24_1152
; %bb.1140:
	v_cmp_lt_i16_e32 vcc_lo, 43, v9
	;; [unrolled: 3-line block ×3, first 2 shown]
	s_cbranch_vccz .LBB24_1158
; %bb.1142:
	v_cmp_eq_u16_e32 vcc_lo, 46, v9
	s_mov_b32 s1, 0
	s_cbranch_vccz .LBB24_1200
; %bb.1143:
	global_load_b32 v10, v[7:8], off
	s_mov_b32 s0, 0
	s_mov_b32 s3, -1
	s_waitcnt vmcnt(0)
	v_lshlrev_b32_e32 v10, 16, v10
	s_delay_alu instid0(VALU_DEP_1)
	v_cvt_f16_f32_e32 v10, v10
	s_branch .LBB24_1202
.LBB24_1144:
	s_mov_b32 s1, s12
                                        ; implicit-def: $vgpr10
	s_cbranch_execz .LBB24_1265
; %bb.1145:
	v_cmp_gt_i16_e32 vcc_lo, 5, v9
	s_cbranch_vccnz .LBB24_1151
; %bb.1146:
	v_cmp_gt_i16_e32 vcc_lo, 8, v9
	s_cbranch_vccnz .LBB24_1153
	;; [unrolled: 3-line block ×3, first 2 shown]
; %bb.1148:
	v_cmp_lt_i16_e32 vcc_lo, 9, v9
	s_cbranch_vccz .LBB24_1159
; %bb.1149:
	global_load_b64 v[10:11], v[7:8], off
	s_mov_b32 s0, 0
	s_waitcnt vmcnt(0)
	v_cvt_f32_f64_e32 v10, v[10:11]
	s_delay_alu instid0(VALU_DEP_1)
	v_cvt_f16_f32_e32 v10, v10
	s_branch .LBB24_1160
.LBB24_1150:
	s_mov_b32 s0, 0
                                        ; implicit-def: $vgpr10
	s_cbranch_execnz .LBB24_1230
	s_branch .LBB24_1261
.LBB24_1151:
                                        ; implicit-def: $vgpr10
	s_branch .LBB24_1177
.LBB24_1152:
	s_mov_b32 s1, -1
	s_mov_b32 s0, 0
                                        ; implicit-def: $vgpr10
	s_branch .LBB24_1211
.LBB24_1153:
                                        ; implicit-def: $vgpr10
	s_branch .LBB24_1166
.LBB24_1154:
	s_mov_b32 s0, 0
                                        ; implicit-def: $vgpr10
	s_cbranch_execnz .LBB24_1207
	s_branch .LBB24_1210
.LBB24_1155:
	s_mov_b32 s0, -1
                                        ; implicit-def: $vgpr10
	s_branch .LBB24_1163
.LBB24_1156:
	s_cbranch_execnz .LBB24_1198
; %bb.1157:
	s_or_b32 s3, s3, exec_lo
	s_and_not1_b32 s12, s12, exec_lo
	s_or_b32 exec_lo, exec_lo, s2
	s_and_saveexec_b32 s2, s12
	s_delay_alu instid0(SALU_CYCLE_1)
	s_xor_b32 s2, exec_lo, s2
	s_cbranch_execnz .LBB24_1044
	s_branch .LBB24_1045
.LBB24_1158:
	s_mov_b32 s1, -1
	s_mov_b32 s0, 0
	s_branch .LBB24_1201
.LBB24_1159:
	s_mov_b32 s0, -1
                                        ; implicit-def: $vgpr10
.LBB24_1160:
	s_delay_alu instid0(SALU_CYCLE_1)
	s_and_not1_b32 vcc_lo, exec_lo, s0
	s_cbranch_vccnz .LBB24_1162
; %bb.1161:
	global_load_b32 v10, v[7:8], off
	s_waitcnt vmcnt(0)
	v_cvt_f16_f32_e32 v10, v10
.LBB24_1162:
	s_mov_b32 s0, 0
.LBB24_1163:
	s_delay_alu instid0(SALU_CYCLE_1)
	s_and_not1_b32 vcc_lo, exec_lo, s0
	s_cbranch_vccnz .LBB24_1165
; %bb.1164:
	global_load_b32 v10, v[7:8], off
.LBB24_1165:
	s_cbranch_execnz .LBB24_1176
.LBB24_1166:
	v_cmp_gt_i16_e32 vcc_lo, 6, v9
	s_cbranch_vccnz .LBB24_1169
; %bb.1167:
	v_cmp_lt_i16_e32 vcc_lo, 6, v9
	s_cbranch_vccz .LBB24_1170
; %bb.1168:
	global_load_b64 v[10:11], v[7:8], off
	s_mov_b32 s0, 0
	s_waitcnt vmcnt(0)
	v_cvt_f32_f64_e32 v10, v[10:11]
	s_delay_alu instid0(VALU_DEP_1)
	v_cvt_f16_f32_e32 v10, v10
	s_branch .LBB24_1171
.LBB24_1169:
	s_mov_b32 s0, -1
                                        ; implicit-def: $vgpr10
	s_branch .LBB24_1174
.LBB24_1170:
	s_mov_b32 s0, -1
                                        ; implicit-def: $vgpr10
.LBB24_1171:
	s_delay_alu instid0(SALU_CYCLE_1)
	s_and_not1_b32 vcc_lo, exec_lo, s0
	s_cbranch_vccnz .LBB24_1173
; %bb.1172:
	global_load_b32 v10, v[7:8], off
	s_waitcnt vmcnt(0)
	v_cvt_f16_f32_e32 v10, v10
.LBB24_1173:
	s_mov_b32 s0, 0
.LBB24_1174:
	s_delay_alu instid0(SALU_CYCLE_1)
	s_and_not1_b32 vcc_lo, exec_lo, s0
	s_cbranch_vccnz .LBB24_1176
; %bb.1175:
	global_load_u16 v10, v[7:8], off
.LBB24_1176:
	s_cbranch_execnz .LBB24_1195
.LBB24_1177:
	v_cmp_gt_i16_e32 vcc_lo, 2, v9
	s_cbranch_vccnz .LBB24_1181
; %bb.1178:
	v_cmp_gt_i16_e32 vcc_lo, 3, v9
	s_cbranch_vccnz .LBB24_1182
; %bb.1179:
	v_cmp_lt_i16_e32 vcc_lo, 3, v9
	s_cbranch_vccz .LBB24_1183
; %bb.1180:
	global_load_b64 v[10:11], v[7:8], off
	s_mov_b32 s0, 0
	s_waitcnt vmcnt(0)
	v_xor_b32_e32 v12, v10, v11
	v_cls_i32_e32 v13, v11
	s_delay_alu instid0(VALU_DEP_2) | instskip(NEXT) | instid1(VALU_DEP_2)
	v_ashrrev_i32_e32 v12, 31, v12
	v_add_nc_u32_e32 v13, -1, v13
	s_delay_alu instid0(VALU_DEP_2) | instskip(NEXT) | instid1(VALU_DEP_1)
	v_add_nc_u32_e32 v12, 32, v12
	v_min_u32_e32 v12, v13, v12
	s_delay_alu instid0(VALU_DEP_1) | instskip(NEXT) | instid1(VALU_DEP_1)
	v_lshlrev_b64 v[10:11], v12, v[10:11]
	v_min_u32_e32 v10, 1, v10
	s_delay_alu instid0(VALU_DEP_1) | instskip(SKIP_1) | instid1(VALU_DEP_2)
	v_or_b32_e32 v10, v11, v10
	v_sub_nc_u32_e32 v11, 32, v12
	v_cvt_f32_i32_e32 v10, v10
	s_delay_alu instid0(VALU_DEP_1) | instskip(NEXT) | instid1(VALU_DEP_1)
	v_ldexp_f32 v10, v10, v11
	v_cvt_f16_f32_e32 v10, v10
	s_branch .LBB24_1184
.LBB24_1181:
                                        ; implicit-def: $vgpr10
	s_branch .LBB24_1190
.LBB24_1182:
	s_mov_b32 s0, -1
                                        ; implicit-def: $vgpr10
	s_branch .LBB24_1187
.LBB24_1183:
	s_mov_b32 s0, -1
                                        ; implicit-def: $vgpr10
.LBB24_1184:
	s_delay_alu instid0(SALU_CYCLE_1)
	s_and_not1_b32 vcc_lo, exec_lo, s0
	s_cbranch_vccnz .LBB24_1186
; %bb.1185:
	global_load_b32 v10, v[7:8], off
	s_waitcnt vmcnt(0)
	v_cvt_f32_i32_e32 v10, v10
	s_delay_alu instid0(VALU_DEP_1)
	v_cvt_f16_f32_e32 v10, v10
.LBB24_1186:
	s_mov_b32 s0, 0
.LBB24_1187:
	s_delay_alu instid0(SALU_CYCLE_1)
	s_and_not1_b32 vcc_lo, exec_lo, s0
	s_cbranch_vccnz .LBB24_1189
; %bb.1188:
	global_load_u16 v10, v[7:8], off
	s_waitcnt vmcnt(0)
	v_cvt_f16_i16_e32 v10, v10
.LBB24_1189:
	s_cbranch_execnz .LBB24_1195
.LBB24_1190:
	v_cmp_lt_i16_e32 vcc_lo, 0, v9
	s_mov_b32 s0, 0
	s_cbranch_vccz .LBB24_1192
; %bb.1191:
	global_load_i8 v10, v[7:8], off
	s_waitcnt vmcnt(0)
	v_cvt_f16_i16_e32 v10, v10
	s_branch .LBB24_1193
.LBB24_1192:
	s_mov_b32 s0, -1
                                        ; implicit-def: $vgpr10
.LBB24_1193:
	s_delay_alu instid0(SALU_CYCLE_1)
	s_and_not1_b32 vcc_lo, exec_lo, s0
	s_cbranch_vccnz .LBB24_1195
; %bb.1194:
	global_load_u8 v7, v[7:8], off
	s_waitcnt vmcnt(0)
	v_cvt_f16_u16_e32 v10, v7
.LBB24_1195:
	s_branch .LBB24_1266
.LBB24_1196:
	s_trap 2
	s_sendmsg_rtn_b32 s0, sendmsg(MSG_RTN_GET_DOORBELL)
	s_mov_b32 ttmp2, m0
	s_waitcnt lgkmcnt(0)
	s_and_b32 s0, s0, 0x3ff
	s_delay_alu instid0(SALU_CYCLE_1) | instskip(NEXT) | instid1(SALU_CYCLE_1)
	s_bitset1_b32 s0, 10
	s_mov_b32 m0, s0
	s_sendmsg sendmsg(MSG_INTERRUPT)
	s_mov_b32 m0, ttmp2
.LBB24_1197:                            ; =>This Inner Loop Header: Depth=1
	s_sethalt 5
	s_branch .LBB24_1197
.LBB24_1198:
	s_trap 2
	s_sendmsg_rtn_b32 s0, sendmsg(MSG_RTN_GET_DOORBELL)
	s_mov_b32 ttmp2, m0
	s_waitcnt lgkmcnt(0)
	s_and_b32 s0, s0, 0x3ff
	s_delay_alu instid0(SALU_CYCLE_1) | instskip(NEXT) | instid1(SALU_CYCLE_1)
	s_bitset1_b32 s0, 10
	s_mov_b32 m0, s0
	s_sendmsg sendmsg(MSG_INTERRUPT)
	s_mov_b32 m0, ttmp2
.LBB24_1199:                            ; =>This Inner Loop Header: Depth=1
	s_sethalt 5
	s_branch .LBB24_1199
.LBB24_1200:
	s_mov_b32 s0, -1
.LBB24_1201:
                                        ; implicit-def: $vgpr10
.LBB24_1202:
	s_and_b32 vcc_lo, exec_lo, s1
	s_cbranch_vccz .LBB24_1205
; %bb.1203:
	v_cmp_eq_u16_e32 vcc_lo, 44, v9
	s_cbranch_vccz .LBB24_1206
; %bb.1204:
	global_load_u8 v10, v[7:8], off
	s_mov_b32 s0, 0
	s_mov_b32 s3, -1
	s_waitcnt vmcnt(0)
	v_lshlrev_b32_e32 v11, 23, v10
	v_cmp_ne_u32_e32 vcc_lo, 0xff, v10
	s_delay_alu instid0(VALU_DEP_2) | instskip(NEXT) | instid1(VALU_DEP_1)
	v_cvt_f16_f32_e32 v11, v11
	v_cndmask_b32_e32 v11, 0x7e00, v11, vcc_lo
	v_cmp_ne_u32_e32 vcc_lo, 0, v10
	s_delay_alu instid0(VALU_DEP_2)
	v_cndmask_b32_e32 v10, 0, v11, vcc_lo
.LBB24_1205:
	s_branch .LBB24_1210
.LBB24_1206:
	s_mov_b32 s0, -1
                                        ; implicit-def: $vgpr10
	s_branch .LBB24_1210
.LBB24_1207:
	v_cmp_eq_u16_e32 vcc_lo, 29, v9
	s_cbranch_vccz .LBB24_1209
; %bb.1208:
	global_load_b64 v[10:11], v[7:8], off
	s_mov_b32 s0, 0
	s_mov_b32 s3, -1
	s_mov_b32 s1, 0
	s_waitcnt vmcnt(0)
	v_clz_i32_u32_e32 v12, v11
	s_delay_alu instid0(VALU_DEP_1) | instskip(NEXT) | instid1(VALU_DEP_1)
	v_min_u32_e32 v12, 32, v12
	v_lshlrev_b64 v[10:11], v12, v[10:11]
	s_delay_alu instid0(VALU_DEP_1) | instskip(NEXT) | instid1(VALU_DEP_1)
	v_min_u32_e32 v10, 1, v10
	v_or_b32_e32 v10, v11, v10
	v_sub_nc_u32_e32 v11, 32, v12
	s_delay_alu instid0(VALU_DEP_2) | instskip(NEXT) | instid1(VALU_DEP_1)
	v_cvt_f32_u32_e32 v10, v10
	v_ldexp_f32 v10, v10, v11
	s_delay_alu instid0(VALU_DEP_1)
	v_cvt_f16_f32_e32 v10, v10
	s_branch .LBB24_1211
.LBB24_1209:
	s_mov_b32 s0, -1
                                        ; implicit-def: $vgpr10
.LBB24_1210:
	s_mov_b32 s1, 0
.LBB24_1211:
	s_delay_alu instid0(SALU_CYCLE_1)
	s_and_b32 vcc_lo, exec_lo, s1
	s_cbranch_vccz .LBB24_1229
; %bb.1212:
	v_cmp_gt_i16_e32 vcc_lo, 27, v9
	s_cbranch_vccnz .LBB24_1215
; %bb.1213:
	v_cmp_lt_i16_e32 vcc_lo, 27, v9
	s_cbranch_vccz .LBB24_1216
; %bb.1214:
	global_load_b32 v10, v[7:8], off
	s_mov_b32 s1, 0
	s_waitcnt vmcnt(0)
	v_cvt_f32_u32_e32 v10, v10
	s_delay_alu instid0(VALU_DEP_1)
	v_cvt_f16_f32_e32 v10, v10
	s_branch .LBB24_1217
.LBB24_1215:
	s_mov_b32 s1, -1
                                        ; implicit-def: $vgpr10
	s_branch .LBB24_1220
.LBB24_1216:
	s_mov_b32 s1, -1
                                        ; implicit-def: $vgpr10
.LBB24_1217:
	s_delay_alu instid0(SALU_CYCLE_1)
	s_and_not1_b32 vcc_lo, exec_lo, s1
	s_cbranch_vccnz .LBB24_1219
; %bb.1218:
	global_load_u16 v10, v[7:8], off
	s_waitcnt vmcnt(0)
	v_cvt_f16_u16_e32 v10, v10
.LBB24_1219:
	s_mov_b32 s1, 0
.LBB24_1220:
	s_delay_alu instid0(SALU_CYCLE_1)
	s_and_not1_b32 vcc_lo, exec_lo, s1
	s_cbranch_vccnz .LBB24_1228
; %bb.1221:
	global_load_u8 v11, v[7:8], off
	s_mov_b32 s1, 0
	s_mov_b32 s14, exec_lo
                                        ; implicit-def: $sgpr3
	s_waitcnt vmcnt(0)
	v_cmpx_lt_i16_e32 0x7f, v11
	s_xor_b32 s14, exec_lo, s14
	s_cbranch_execz .LBB24_1241
; %bb.1222:
	s_mov_b32 s1, -1
	s_mov_b32 s15, exec_lo
                                        ; implicit-def: $sgpr3
	v_cmpx_eq_u16_e32 0x80, v11
; %bb.1223:
	s_movk_i32 s3, 0x7e00
	s_xor_b32 s1, exec_lo, -1
; %bb.1224:
	s_or_b32 exec_lo, exec_lo, s15
	s_delay_alu instid0(SALU_CYCLE_1)
	s_and_b32 s1, s1, exec_lo
	s_or_saveexec_b32 s14, s14
	v_mov_b32_e32 v10, s3
	s_xor_b32 exec_lo, exec_lo, s14
	s_cbranch_execnz .LBB24_1242
.LBB24_1225:
	s_or_b32 exec_lo, exec_lo, s14
	s_and_saveexec_b32 s3, s1
	s_cbranch_execz .LBB24_1227
.LBB24_1226:
	v_and_b32_e32 v10, 0xffff, v11
	s_delay_alu instid0(VALU_DEP_1) | instskip(NEXT) | instid1(VALU_DEP_1)
	v_and_b32_e32 v12, 7, v10
	v_clz_i32_u32_e32 v13, v12
	s_delay_alu instid0(VALU_DEP_1) | instskip(NEXT) | instid1(VALU_DEP_1)
	v_min_u32_e32 v13, 32, v13
	v_subrev_nc_u32_e32 v14, 28, v13
	v_sub_nc_u32_e32 v13, 29, v13
	s_delay_alu instid0(VALU_DEP_2) | instskip(SKIP_1) | instid1(VALU_DEP_2)
	v_lshlrev_b32_e32 v14, v14, v10
	v_bfe_u32 v10, v10, 3, 4
	v_and_b32_e32 v14, 7, v14
	s_delay_alu instid0(VALU_DEP_2) | instskip(SKIP_1) | instid1(VALU_DEP_1)
	v_cmp_eq_u32_e32 vcc_lo, 0, v10
	v_dual_cndmask_b32 v10, v10, v13 :: v_dual_lshlrev_b32 v11, 24, v11
	v_dual_cndmask_b32 v12, v12, v14 :: v_dual_and_b32 v11, 0x80000000, v11
	s_delay_alu instid0(VALU_DEP_2) | instskip(NEXT) | instid1(VALU_DEP_2)
	v_lshl_add_u32 v10, v10, 23, 0x3b800000
	v_lshlrev_b32_e32 v12, 20, v12
	s_delay_alu instid0(VALU_DEP_1) | instskip(NEXT) | instid1(VALU_DEP_1)
	v_or3_b32 v10, v11, v10, v12
	v_cvt_f16_f32_e32 v10, v10
.LBB24_1227:
	s_or_b32 exec_lo, exec_lo, s3
.LBB24_1228:
	s_mov_b32 s3, -1
.LBB24_1229:
	s_branch .LBB24_1261
.LBB24_1230:
	v_cmp_lt_i16_e32 vcc_lo, 22, v9
	s_cbranch_vccz .LBB24_1240
; %bb.1231:
	v_cmp_gt_i16_e32 vcc_lo, 24, v9
	s_cbranch_vccnz .LBB24_1243
; %bb.1232:
	v_cmp_lt_i16_e32 vcc_lo, 24, v9
	s_cbranch_vccz .LBB24_1244
; %bb.1233:
	global_load_u8 v11, v[7:8], off
	s_mov_b32 s1, 0
	s_mov_b32 s3, exec_lo
                                        ; implicit-def: $sgpr2
	s_waitcnt vmcnt(0)
	v_cmpx_lt_i16_e32 0x7f, v11
	s_xor_b32 s3, exec_lo, s3
	s_cbranch_execz .LBB24_1255
; %bb.1234:
	s_mov_b32 s1, -1
	s_mov_b32 s14, exec_lo
                                        ; implicit-def: $sgpr2
	v_cmpx_eq_u16_e32 0x80, v11
; %bb.1235:
	s_movk_i32 s2, 0x7e00
	s_xor_b32 s1, exec_lo, -1
; %bb.1236:
	s_or_b32 exec_lo, exec_lo, s14
	s_delay_alu instid0(SALU_CYCLE_1)
	s_and_b32 s1, s1, exec_lo
	s_or_saveexec_b32 s3, s3
	v_mov_b32_e32 v10, s2
	s_xor_b32 exec_lo, exec_lo, s3
	s_cbranch_execnz .LBB24_1256
.LBB24_1237:
	s_or_b32 exec_lo, exec_lo, s3
	s_and_saveexec_b32 s2, s1
	s_cbranch_execz .LBB24_1239
.LBB24_1238:
	v_and_b32_e32 v10, 0xffff, v11
	s_delay_alu instid0(VALU_DEP_1) | instskip(NEXT) | instid1(VALU_DEP_1)
	v_and_b32_e32 v12, 3, v10
	v_clz_i32_u32_e32 v13, v12
	s_delay_alu instid0(VALU_DEP_1) | instskip(NEXT) | instid1(VALU_DEP_1)
	v_min_u32_e32 v13, 32, v13
	v_subrev_nc_u32_e32 v14, 29, v13
	v_sub_nc_u32_e32 v13, 30, v13
	s_delay_alu instid0(VALU_DEP_2) | instskip(SKIP_1) | instid1(VALU_DEP_2)
	v_lshlrev_b32_e32 v14, v14, v10
	v_bfe_u32 v10, v10, 2, 5
	v_and_b32_e32 v14, 3, v14
	s_delay_alu instid0(VALU_DEP_2) | instskip(SKIP_1) | instid1(VALU_DEP_1)
	v_cmp_eq_u32_e32 vcc_lo, 0, v10
	v_dual_cndmask_b32 v10, v10, v13 :: v_dual_lshlrev_b32 v11, 24, v11
	v_dual_cndmask_b32 v12, v12, v14 :: v_dual_and_b32 v11, 0x80000000, v11
	s_delay_alu instid0(VALU_DEP_2) | instskip(NEXT) | instid1(VALU_DEP_2)
	v_lshl_add_u32 v10, v10, 23, 0x37800000
	v_lshlrev_b32_e32 v12, 21, v12
	s_delay_alu instid0(VALU_DEP_1) | instskip(NEXT) | instid1(VALU_DEP_1)
	v_or3_b32 v10, v11, v10, v12
	v_cvt_f16_f32_e32 v10, v10
.LBB24_1239:
	s_or_b32 exec_lo, exec_lo, s2
	s_mov_b32 s1, 0
	s_branch .LBB24_1245
.LBB24_1240:
                                        ; implicit-def: $vgpr10
	s_mov_b32 s2, 0
	s_branch .LBB24_1251
.LBB24_1241:
	s_or_saveexec_b32 s14, s14
	v_mov_b32_e32 v10, s3
	s_xor_b32 exec_lo, exec_lo, s14
	s_cbranch_execz .LBB24_1225
.LBB24_1242:
	v_cmp_ne_u16_e32 vcc_lo, 0, v11
	v_mov_b32_e32 v10, v11
	s_and_not1_b32 s1, s1, exec_lo
	s_and_b32 s3, vcc_lo, exec_lo
	s_delay_alu instid0(SALU_CYCLE_1)
	s_or_b32 s1, s1, s3
	s_or_b32 exec_lo, exec_lo, s14
	s_and_saveexec_b32 s3, s1
	s_cbranch_execnz .LBB24_1226
	s_branch .LBB24_1227
.LBB24_1243:
	s_mov_b32 s1, -1
                                        ; implicit-def: $vgpr10
	s_branch .LBB24_1248
.LBB24_1244:
	s_mov_b32 s1, -1
                                        ; implicit-def: $vgpr10
.LBB24_1245:
	s_delay_alu instid0(SALU_CYCLE_1)
	s_and_b32 vcc_lo, exec_lo, s1
	s_cbranch_vccz .LBB24_1247
; %bb.1246:
	global_load_u8 v10, v[7:8], off
	s_waitcnt vmcnt(0)
	v_lshlrev_b32_e32 v10, 24, v10
	s_delay_alu instid0(VALU_DEP_1) | instskip(NEXT) | instid1(VALU_DEP_1)
	v_and_b32_e32 v11, 0x7f000000, v10
	v_clz_i32_u32_e32 v12, v11
	v_add_nc_u32_e32 v14, 0x1000000, v11
	v_cmp_ne_u32_e32 vcc_lo, 0, v11
	s_delay_alu instid0(VALU_DEP_3) | instskip(NEXT) | instid1(VALU_DEP_1)
	v_min_u32_e32 v12, 32, v12
	v_sub_nc_u32_e64 v12, v12, 4 clamp
	s_delay_alu instid0(VALU_DEP_1) | instskip(SKIP_1) | instid1(VALU_DEP_2)
	v_lshlrev_b32_e32 v13, v12, v11
	v_lshlrev_b32_e32 v12, 23, v12
	v_lshrrev_b32_e32 v13, 4, v13
	s_delay_alu instid0(VALU_DEP_1) | instskip(SKIP_1) | instid1(VALU_DEP_2)
	v_sub_nc_u32_e32 v12, v13, v12
	v_ashrrev_i32_e32 v13, 8, v14
	v_add_nc_u32_e32 v12, 0x3c000000, v12
	s_delay_alu instid0(VALU_DEP_1) | instskip(NEXT) | instid1(VALU_DEP_1)
	v_and_or_b32 v12, 0x7f800000, v13, v12
	v_cndmask_b32_e32 v11, 0, v12, vcc_lo
	s_delay_alu instid0(VALU_DEP_1) | instskip(NEXT) | instid1(VALU_DEP_1)
	v_and_or_b32 v10, 0x80000000, v10, v11
	v_cvt_f16_f32_e32 v10, v10
.LBB24_1247:
	s_mov_b32 s1, 0
.LBB24_1248:
	s_delay_alu instid0(SALU_CYCLE_1)
	s_and_not1_b32 vcc_lo, exec_lo, s1
	s_cbranch_vccnz .LBB24_1250
; %bb.1249:
	global_load_u8 v10, v[7:8], off
	s_waitcnt vmcnt(0)
	v_lshlrev_b32_e32 v11, 25, v10
	v_lshlrev_b16 v10, 8, v10
	s_delay_alu instid0(VALU_DEP_2) | instskip(NEXT) | instid1(VALU_DEP_2)
	v_lshrrev_b32_e32 v12, 4, v11
	v_and_or_b32 v13, 0x7f00, v10, 0.5
	v_bfe_i32 v10, v10, 0, 16
	s_delay_alu instid0(VALU_DEP_3) | instskip(NEXT) | instid1(VALU_DEP_1)
	v_or_b32_e32 v12, 0x70000000, v12
	v_dual_add_f32 v13, -0.5, v13 :: v_dual_mul_f32 v12, 0x7800000, v12
	v_cmp_gt_u32_e32 vcc_lo, 0x8000000, v11
	s_delay_alu instid0(VALU_DEP_2) | instskip(NEXT) | instid1(VALU_DEP_1)
	v_cndmask_b32_e32 v11, v12, v13, vcc_lo
	v_and_or_b32 v10, 0x80000000, v10, v11
	s_delay_alu instid0(VALU_DEP_1)
	v_cvt_f16_f32_e32 v10, v10
.LBB24_1250:
	s_mov_b32 s3, -1
	s_mov_b32 s2, 0
	s_cbranch_execnz .LBB24_1261
.LBB24_1251:
	v_cmp_lt_i16_e32 vcc_lo, 14, v9
	s_cbranch_vccz .LBB24_1254
; %bb.1252:
	v_cmp_eq_u16_e32 vcc_lo, 15, v9
	s_cbranch_vccz .LBB24_1257
; %bb.1253:
	global_load_u16 v10, v[7:8], off
	s_mov_b32 s0, 0
	s_mov_b32 s3, -1
	s_waitcnt vmcnt(0)
	v_lshlrev_b32_e32 v10, 16, v10
	s_delay_alu instid0(VALU_DEP_1)
	v_cvt_f16_f32_e32 v10, v10
	s_branch .LBB24_1258
.LBB24_1254:
	s_mov_b32 s1, -1
                                        ; implicit-def: $vgpr10
	s_branch .LBB24_1259
.LBB24_1255:
	s_or_saveexec_b32 s3, s3
	v_mov_b32_e32 v10, s2
	s_xor_b32 exec_lo, exec_lo, s3
	s_cbranch_execz .LBB24_1237
.LBB24_1256:
	v_cmp_ne_u16_e32 vcc_lo, 0, v11
	v_mov_b32_e32 v10, v11
	s_and_not1_b32 s1, s1, exec_lo
	s_and_b32 s2, vcc_lo, exec_lo
	s_delay_alu instid0(SALU_CYCLE_1)
	s_or_b32 s1, s1, s2
	s_or_b32 exec_lo, exec_lo, s3
	s_and_saveexec_b32 s2, s1
	s_cbranch_execnz .LBB24_1238
	s_branch .LBB24_1239
.LBB24_1257:
	s_mov_b32 s0, -1
                                        ; implicit-def: $vgpr10
.LBB24_1258:
	s_mov_b32 s1, 0
.LBB24_1259:
	s_delay_alu instid0(SALU_CYCLE_1)
	s_and_b32 vcc_lo, exec_lo, s1
	s_cbranch_vccz .LBB24_1261
; %bb.1260:
	v_cmp_ne_u16_e64 s0, 11, v9
	s_mov_b32 s2, -1
                                        ; implicit-def: $vgpr10
.LBB24_1261:
	s_delay_alu instid0(VALU_DEP_1)
	s_and_b32 vcc_lo, exec_lo, s0
	s_mov_b32 s1, s12
	s_cbranch_vccnz .LBB24_1287
; %bb.1262:
	s_and_not1_b32 vcc_lo, exec_lo, s2
	s_cbranch_vccnz .LBB24_1264
.LBB24_1263:
	global_load_u8 v10, v[7:8], off
	s_mov_b32 s3, -1
	s_waitcnt vmcnt(0)
	v_cmp_ne_u16_e32 vcc_lo, 0, v10
	v_cndmask_b32_e64 v10, 0, 0x3c00, vcc_lo
.LBB24_1264:
.LBB24_1265:
	s_and_not1_b32 vcc_lo, exec_lo, s3
	s_cbranch_vccnz .LBB24_2065
.LBB24_1266:
	s_waitcnt vmcnt(0)
	s_delay_alu instid0(VALU_DEP_1) | instskip(SKIP_1) | instid1(VALU_DEP_1)
	v_cvt_f32_f16_e32 v11, v10
	s_mov_b32 s0, exec_lo
	v_cmpx_nlg_f32_e64 0x7f800000, |v11|
	s_cbranch_execz .LBB24_1268
; %bb.1267:
	v_dual_mov_b32 v7, 0 :: v_dual_mov_b32 v8, 1.0
	global_store_b32 v7, v8, s[8:9]
.LBB24_1268:
	s_or_b32 exec_lo, exec_lo, s0
	v_mov_b32_e32 v7, 0
	v_cmp_gt_i16_e32 vcc_lo, 11, v9
	v_add_co_u32 v6, s0, s6, v6
	s_mov_b32 s3, 0
	global_load_b32 v12, v7, s[10:11]
	v_add_co_ci_u32_e64 v7, null, s7, 0, s0
	s_cbranch_vccnz .LBB24_1275
; %bb.1269:
	v_cmp_lt_i16_e32 vcc_lo, 25, v9
	s_mov_b32 s2, 0
	s_cbranch_vccz .LBB24_1281
; %bb.1270:
	v_cmp_lt_i16_e32 vcc_lo, 28, v9
	s_cbranch_vccz .LBB24_1283
; %bb.1271:
	v_cmp_lt_i16_e32 vcc_lo, 43, v9
	;; [unrolled: 3-line block ×3, first 2 shown]
	s_cbranch_vccz .LBB24_1291
; %bb.1273:
	v_cmp_eq_u16_e32 vcc_lo, 46, v9
	s_mov_b32 s14, 0
	s_cbranch_vccz .LBB24_1335
; %bb.1274:
	global_load_b32 v8, v[6:7], off
	s_mov_b32 s0, 0
	s_mov_b32 s3, -1
	s_waitcnt vmcnt(0)
	v_lshlrev_b32_e32 v8, 16, v8
	s_delay_alu instid0(VALU_DEP_1)
	v_cvt_f16_f32_e32 v8, v8
	s_branch .LBB24_1337
.LBB24_1275:
                                        ; implicit-def: $vgpr8
	s_cbranch_execz .LBB24_1402
; %bb.1276:
	v_cmp_gt_i16_e32 vcc_lo, 5, v9
	s_cbranch_vccnz .LBB24_1282
; %bb.1277:
	v_cmp_gt_i16_e32 vcc_lo, 8, v9
	s_cbranch_vccnz .LBB24_1284
	;; [unrolled: 3-line block ×3, first 2 shown]
; %bb.1279:
	v_cmp_lt_i16_e32 vcc_lo, 9, v9
	s_cbranch_vccz .LBB24_1292
; %bb.1280:
	global_load_b64 v[13:14], v[6:7], off
	s_mov_b32 s0, 0
	s_waitcnt vmcnt(0)
	v_cvt_f32_f64_e32 v8, v[13:14]
	s_delay_alu instid0(VALU_DEP_1)
	v_cvt_f16_f32_e32 v8, v8
	s_branch .LBB24_1293
.LBB24_1281:
	s_mov_b32 s0, 0
                                        ; implicit-def: $vgpr8
	s_cbranch_execnz .LBB24_1366
	s_branch .LBB24_1398
.LBB24_1282:
                                        ; implicit-def: $vgpr8
	s_branch .LBB24_1311
.LBB24_1283:
	s_mov_b32 s14, -1
	s_mov_b32 s0, 0
                                        ; implicit-def: $vgpr8
	s_branch .LBB24_1347
.LBB24_1284:
	s_mov_b32 s0, -1
                                        ; implicit-def: $vgpr8
	s_branch .LBB24_1299
.LBB24_1285:
	s_mov_b32 s14, -1
	s_mov_b32 s0, 0
                                        ; implicit-def: $vgpr8
	s_branch .LBB24_1342
.LBB24_1286:
	s_mov_b32 s0, -1
                                        ; implicit-def: $vgpr8
	s_branch .LBB24_1296
.LBB24_1287:
	s_cbranch_execnz .LBB24_1331
; %bb.1288:
	s_or_b32 s1, s12, exec_lo
                                        ; implicit-def: $vgpr10
	s_cbranch_execz .LBB24_1263
	s_branch .LBB24_1264
.LBB24_1289:
	s_or_saveexec_b32 s7, s7
                                        ; implicit-def: $sgpr8
	s_delay_alu instid0(SALU_CYCLE_1)
	s_xor_b32 exec_lo, exec_lo, s7
	s_cbranch_execz .LBB24_995
.LBB24_1290:
	v_add_f32_e64 v5, 0x46000000, |v0|
	s_and_not1_b32 s5, s5, exec_lo
	s_mov_b32 s8, 0
	s_delay_alu instid0(VALU_DEP_1) | instskip(NEXT) | instid1(VALU_DEP_1)
	v_and_b32_e32 v5, 0xff, v5
	v_cmp_ne_u32_e32 vcc_lo, 0, v5
	s_and_b32 s9, vcc_lo, exec_lo
	s_delay_alu instid0(SALU_CYCLE_1)
	s_or_b32 s5, s5, s9
	s_or_b32 exec_lo, exec_lo, s7
	v_mov_b32_e32 v6, s8
	s_and_saveexec_b32 s7, s5
	s_cbranch_execnz .LBB24_996
	s_branch .LBB24_997
.LBB24_1291:
	s_mov_b32 s14, -1
	s_mov_b32 s0, 0
	s_branch .LBB24_1336
.LBB24_1292:
	s_mov_b32 s0, -1
                                        ; implicit-def: $vgpr8
.LBB24_1293:
	s_delay_alu instid0(SALU_CYCLE_1)
	s_and_not1_b32 vcc_lo, exec_lo, s0
	s_cbranch_vccnz .LBB24_1295
; %bb.1294:
	global_load_b32 v8, v[6:7], off
	s_waitcnt vmcnt(0)
	v_cvt_f16_f32_e32 v8, v8
.LBB24_1295:
	s_mov_b32 s0, 0
.LBB24_1296:
	s_delay_alu instid0(SALU_CYCLE_1)
	s_and_not1_b32 vcc_lo, exec_lo, s0
	s_cbranch_vccnz .LBB24_1298
; %bb.1297:
	global_load_b32 v8, v[6:7], off
.LBB24_1298:
	s_mov_b32 s0, 0
.LBB24_1299:
	s_delay_alu instid0(SALU_CYCLE_1)
	s_and_not1_b32 vcc_lo, exec_lo, s0
	s_cbranch_vccnz .LBB24_1310
; %bb.1300:
	v_cmp_gt_i16_e32 vcc_lo, 6, v9
	s_cbranch_vccnz .LBB24_1303
; %bb.1301:
	v_cmp_lt_i16_e32 vcc_lo, 6, v9
	s_cbranch_vccz .LBB24_1304
; %bb.1302:
	global_load_b64 v[13:14], v[6:7], off
	s_mov_b32 s0, 0
	s_waitcnt vmcnt(0)
	v_cvt_f32_f64_e32 v8, v[13:14]
	s_delay_alu instid0(VALU_DEP_1)
	v_cvt_f16_f32_e32 v8, v8
	s_branch .LBB24_1305
.LBB24_1303:
	s_mov_b32 s0, -1
                                        ; implicit-def: $vgpr8
	s_branch .LBB24_1308
.LBB24_1304:
	s_mov_b32 s0, -1
                                        ; implicit-def: $vgpr8
.LBB24_1305:
	s_delay_alu instid0(SALU_CYCLE_1)
	s_and_not1_b32 vcc_lo, exec_lo, s0
	s_cbranch_vccnz .LBB24_1307
; %bb.1306:
	global_load_b32 v8, v[6:7], off
	s_waitcnt vmcnt(0)
	v_cvt_f16_f32_e32 v8, v8
.LBB24_1307:
	s_mov_b32 s0, 0
.LBB24_1308:
	s_delay_alu instid0(SALU_CYCLE_1)
	s_and_not1_b32 vcc_lo, exec_lo, s0
	s_cbranch_vccnz .LBB24_1310
; %bb.1309:
	global_load_u16 v8, v[6:7], off
.LBB24_1310:
	s_cbranch_execnz .LBB24_1330
.LBB24_1311:
	v_cmp_gt_i16_e32 vcc_lo, 2, v9
	s_cbranch_vccnz .LBB24_1315
; %bb.1312:
	v_cmp_gt_i16_e32 vcc_lo, 3, v9
	s_cbranch_vccnz .LBB24_1316
; %bb.1313:
	v_cmp_lt_i16_e32 vcc_lo, 3, v9
	s_cbranch_vccz .LBB24_1317
; %bb.1314:
	global_load_b64 v[13:14], v[6:7], off
	s_mov_b32 s0, 0
	s_waitcnt vmcnt(0)
	v_xor_b32_e32 v8, v13, v14
	v_cls_i32_e32 v15, v14
	s_delay_alu instid0(VALU_DEP_2) | instskip(NEXT) | instid1(VALU_DEP_2)
	v_ashrrev_i32_e32 v8, 31, v8
	v_add_nc_u32_e32 v15, -1, v15
	s_delay_alu instid0(VALU_DEP_2) | instskip(NEXT) | instid1(VALU_DEP_1)
	v_add_nc_u32_e32 v8, 32, v8
	v_min_u32_e32 v8, v15, v8
	s_delay_alu instid0(VALU_DEP_1) | instskip(SKIP_1) | instid1(VALU_DEP_2)
	v_lshlrev_b64 v[13:14], v8, v[13:14]
	v_sub_nc_u32_e32 v8, 32, v8
	v_min_u32_e32 v13, 1, v13
	s_delay_alu instid0(VALU_DEP_1) | instskip(NEXT) | instid1(VALU_DEP_1)
	v_or_b32_e32 v13, v14, v13
	v_cvt_f32_i32_e32 v13, v13
	s_delay_alu instid0(VALU_DEP_1) | instskip(NEXT) | instid1(VALU_DEP_1)
	v_ldexp_f32 v8, v13, v8
	v_cvt_f16_f32_e32 v8, v8
	s_branch .LBB24_1318
.LBB24_1315:
	s_mov_b32 s0, -1
                                        ; implicit-def: $vgpr8
	s_branch .LBB24_1324
.LBB24_1316:
	s_mov_b32 s0, -1
                                        ; implicit-def: $vgpr8
	s_branch .LBB24_1321
.LBB24_1317:
	s_mov_b32 s0, -1
                                        ; implicit-def: $vgpr8
.LBB24_1318:
	s_delay_alu instid0(SALU_CYCLE_1)
	s_and_not1_b32 vcc_lo, exec_lo, s0
	s_cbranch_vccnz .LBB24_1320
; %bb.1319:
	global_load_b32 v8, v[6:7], off
	s_waitcnt vmcnt(0)
	v_cvt_f32_i32_e32 v8, v8
	s_delay_alu instid0(VALU_DEP_1)
	v_cvt_f16_f32_e32 v8, v8
.LBB24_1320:
	s_mov_b32 s0, 0
.LBB24_1321:
	s_delay_alu instid0(SALU_CYCLE_1)
	s_and_not1_b32 vcc_lo, exec_lo, s0
	s_cbranch_vccnz .LBB24_1323
; %bb.1322:
	global_load_u16 v8, v[6:7], off
	s_waitcnt vmcnt(0)
	v_cvt_f16_i16_e32 v8, v8
.LBB24_1323:
	s_mov_b32 s0, 0
.LBB24_1324:
	s_delay_alu instid0(SALU_CYCLE_1)
	s_and_not1_b32 vcc_lo, exec_lo, s0
	s_cbranch_vccnz .LBB24_1330
; %bb.1325:
	v_cmp_lt_i16_e32 vcc_lo, 0, v9
	s_mov_b32 s0, 0
	s_cbranch_vccz .LBB24_1327
; %bb.1326:
	global_load_i8 v8, v[6:7], off
	s_waitcnt vmcnt(0)
	v_cvt_f16_i16_e32 v8, v8
	s_branch .LBB24_1328
.LBB24_1327:
	s_mov_b32 s0, -1
                                        ; implicit-def: $vgpr8
.LBB24_1328:
	s_delay_alu instid0(SALU_CYCLE_1)
	s_and_not1_b32 vcc_lo, exec_lo, s0
	s_cbranch_vccnz .LBB24_1330
; %bb.1329:
	global_load_u8 v6, v[6:7], off
	s_waitcnt vmcnt(0)
	v_cvt_f16_u16_e32 v8, v6
.LBB24_1330:
	s_branch .LBB24_1403
.LBB24_1331:
	s_trap 2
	s_sendmsg_rtn_b32 s0, sendmsg(MSG_RTN_GET_DOORBELL)
	s_mov_b32 ttmp2, m0
	s_waitcnt lgkmcnt(0)
	s_and_b32 s0, s0, 0x3ff
	s_delay_alu instid0(SALU_CYCLE_1) | instskip(NEXT) | instid1(SALU_CYCLE_1)
	s_bitset1_b32 s0, 10
	s_mov_b32 m0, s0
	s_sendmsg sendmsg(MSG_INTERRUPT)
	s_mov_b32 m0, ttmp2
.LBB24_1332:                            ; =>This Inner Loop Header: Depth=1
	s_sethalt 5
	s_branch .LBB24_1332
.LBB24_1333:
	s_or_saveexec_b32 s8, s8
                                        ; implicit-def: $sgpr9
	s_delay_alu instid0(SALU_CYCLE_1)
	s_xor_b32 exec_lo, exec_lo, s8
	s_cbranch_execz .LBB24_1007
.LBB24_1334:
	v_add_f32_e64 v5, 0x42800000, |v0|
	s_and_not1_b32 s7, s7, exec_lo
	s_mov_b32 s9, 0
	s_delay_alu instid0(VALU_DEP_1) | instskip(NEXT) | instid1(VALU_DEP_1)
	v_and_b32_e32 v5, 0xff, v5
	v_cmp_ne_u32_e32 vcc_lo, 0, v5
	s_and_b32 s10, vcc_lo, exec_lo
	s_delay_alu instid0(SALU_CYCLE_1)
	s_or_b32 s7, s7, s10
	s_or_b32 exec_lo, exec_lo, s8
	v_mov_b32_e32 v6, s9
	s_and_saveexec_b32 s8, s7
	s_cbranch_execnz .LBB24_1008
	s_branch .LBB24_1009
.LBB24_1335:
	s_mov_b32 s0, -1
.LBB24_1336:
                                        ; implicit-def: $vgpr8
.LBB24_1337:
	s_and_b32 vcc_lo, exec_lo, s14
	s_cbranch_vccz .LBB24_1341
; %bb.1338:
	v_cmp_eq_u16_e32 vcc_lo, 44, v9
	s_cbranch_vccz .LBB24_1340
; %bb.1339:
	global_load_u8 v8, v[6:7], off
	s_mov_b32 s0, 0
	s_mov_b32 s3, -1
	s_waitcnt vmcnt(0)
	v_lshlrev_b32_e32 v13, 23, v8
	v_cmp_ne_u32_e32 vcc_lo, 0xff, v8
	s_delay_alu instid0(VALU_DEP_2) | instskip(NEXT) | instid1(VALU_DEP_1)
	v_cvt_f16_f32_e32 v13, v13
	v_cndmask_b32_e32 v13, 0x7e00, v13, vcc_lo
	v_cmp_ne_u32_e32 vcc_lo, 0, v8
	s_delay_alu instid0(VALU_DEP_2)
	v_cndmask_b32_e32 v8, 0, v13, vcc_lo
	s_branch .LBB24_1341
.LBB24_1340:
	s_mov_b32 s0, -1
                                        ; implicit-def: $vgpr8
.LBB24_1341:
	s_mov_b32 s14, 0
.LBB24_1342:
	s_delay_alu instid0(SALU_CYCLE_1)
	s_and_b32 vcc_lo, exec_lo, s14
	s_cbranch_vccz .LBB24_1346
; %bb.1343:
	v_cmp_eq_u16_e32 vcc_lo, 29, v9
	s_cbranch_vccz .LBB24_1345
; %bb.1344:
	global_load_b64 v[13:14], v[6:7], off
	s_mov_b32 s0, 0
	s_mov_b32 s3, -1
	s_mov_b32 s14, 0
	s_waitcnt vmcnt(0)
	v_clz_i32_u32_e32 v8, v14
	s_delay_alu instid0(VALU_DEP_1) | instskip(NEXT) | instid1(VALU_DEP_1)
	v_min_u32_e32 v8, 32, v8
	v_lshlrev_b64 v[13:14], v8, v[13:14]
	v_sub_nc_u32_e32 v8, 32, v8
	s_delay_alu instid0(VALU_DEP_2) | instskip(NEXT) | instid1(VALU_DEP_1)
	v_min_u32_e32 v13, 1, v13
	v_or_b32_e32 v13, v14, v13
	s_delay_alu instid0(VALU_DEP_1) | instskip(NEXT) | instid1(VALU_DEP_1)
	v_cvt_f32_u32_e32 v13, v13
	v_ldexp_f32 v8, v13, v8
	s_delay_alu instid0(VALU_DEP_1)
	v_cvt_f16_f32_e32 v8, v8
	s_branch .LBB24_1347
.LBB24_1345:
	s_mov_b32 s0, -1
                                        ; implicit-def: $vgpr8
.LBB24_1346:
	s_mov_b32 s14, 0
.LBB24_1347:
	s_delay_alu instid0(SALU_CYCLE_1)
	s_and_b32 vcc_lo, exec_lo, s14
	s_cbranch_vccz .LBB24_1365
; %bb.1348:
	v_cmp_gt_i16_e32 vcc_lo, 27, v9
	s_cbranch_vccnz .LBB24_1351
; %bb.1349:
	v_cmp_lt_i16_e32 vcc_lo, 27, v9
	s_cbranch_vccz .LBB24_1352
; %bb.1350:
	global_load_b32 v8, v[6:7], off
	s_mov_b32 s3, 0
	s_waitcnt vmcnt(0)
	v_cvt_f32_u32_e32 v8, v8
	s_delay_alu instid0(VALU_DEP_1)
	v_cvt_f16_f32_e32 v8, v8
	s_branch .LBB24_1353
.LBB24_1351:
	s_mov_b32 s3, -1
                                        ; implicit-def: $vgpr8
	s_branch .LBB24_1356
.LBB24_1352:
	s_mov_b32 s3, -1
                                        ; implicit-def: $vgpr8
.LBB24_1353:
	s_delay_alu instid0(SALU_CYCLE_1)
	s_and_not1_b32 vcc_lo, exec_lo, s3
	s_cbranch_vccnz .LBB24_1355
; %bb.1354:
	global_load_u16 v8, v[6:7], off
	s_waitcnt vmcnt(0)
	v_cvt_f16_u16_e32 v8, v8
.LBB24_1355:
	s_mov_b32 s3, 0
.LBB24_1356:
	s_delay_alu instid0(SALU_CYCLE_1)
	s_and_not1_b32 vcc_lo, exec_lo, s3
	s_cbranch_vccnz .LBB24_1364
; %bb.1357:
	global_load_u8 v13, v[6:7], off
	s_mov_b32 s3, 0
	s_mov_b32 s15, exec_lo
                                        ; implicit-def: $sgpr14
	s_waitcnt vmcnt(0)
	v_cmpx_lt_i16_e32 0x7f, v13
	s_xor_b32 s15, exec_lo, s15
	s_cbranch_execz .LBB24_1377
; %bb.1358:
	s_mov_b32 s3, -1
	s_mov_b32 s16, exec_lo
                                        ; implicit-def: $sgpr14
	v_cmpx_eq_u16_e32 0x80, v13
; %bb.1359:
	s_movk_i32 s14, 0x7e00
	s_xor_b32 s3, exec_lo, -1
; %bb.1360:
	s_or_b32 exec_lo, exec_lo, s16
	s_delay_alu instid0(SALU_CYCLE_1)
	s_and_b32 s3, s3, exec_lo
	s_or_saveexec_b32 s15, s15
	v_mov_b32_e32 v8, s14
	s_xor_b32 exec_lo, exec_lo, s15
	s_cbranch_execnz .LBB24_1378
.LBB24_1361:
	s_or_b32 exec_lo, exec_lo, s15
	s_and_saveexec_b32 s14, s3
	s_cbranch_execz .LBB24_1363
.LBB24_1362:
	v_and_b32_e32 v8, 0xffff, v13
	s_delay_alu instid0(VALU_DEP_1) | instskip(NEXT) | instid1(VALU_DEP_1)
	v_and_b32_e32 v14, 7, v8
	v_clz_i32_u32_e32 v15, v14
	s_delay_alu instid0(VALU_DEP_1) | instskip(NEXT) | instid1(VALU_DEP_1)
	v_min_u32_e32 v15, 32, v15
	v_subrev_nc_u32_e32 v16, 28, v15
	v_sub_nc_u32_e32 v15, 29, v15
	s_delay_alu instid0(VALU_DEP_2) | instskip(SKIP_1) | instid1(VALU_DEP_2)
	v_lshlrev_b32_e32 v16, v16, v8
	v_bfe_u32 v8, v8, 3, 4
	v_and_b32_e32 v16, 7, v16
	s_delay_alu instid0(VALU_DEP_2) | instskip(SKIP_1) | instid1(VALU_DEP_1)
	v_cmp_eq_u32_e32 vcc_lo, 0, v8
	v_dual_cndmask_b32 v8, v8, v15 :: v_dual_lshlrev_b32 v13, 24, v13
	v_dual_cndmask_b32 v14, v14, v16 :: v_dual_and_b32 v13, 0x80000000, v13
	s_delay_alu instid0(VALU_DEP_2) | instskip(NEXT) | instid1(VALU_DEP_2)
	v_lshl_add_u32 v8, v8, 23, 0x3b800000
	v_lshlrev_b32_e32 v14, 20, v14
	s_delay_alu instid0(VALU_DEP_1) | instskip(NEXT) | instid1(VALU_DEP_1)
	v_or3_b32 v8, v13, v8, v14
	v_cvt_f16_f32_e32 v8, v8
.LBB24_1363:
	s_or_b32 exec_lo, exec_lo, s14
.LBB24_1364:
	s_mov_b32 s3, -1
.LBB24_1365:
	s_branch .LBB24_1398
.LBB24_1366:
	v_cmp_lt_i16_e32 vcc_lo, 22, v9
	s_cbranch_vccz .LBB24_1376
; %bb.1367:
	v_cmp_gt_i16_e32 vcc_lo, 24, v9
	s_cbranch_vccnz .LBB24_1379
; %bb.1368:
	v_cmp_lt_i16_e32 vcc_lo, 24, v9
	s_cbranch_vccz .LBB24_1380
; %bb.1369:
	global_load_u8 v13, v[6:7], off
	s_mov_b32 s14, exec_lo
                                        ; implicit-def: $sgpr3
	s_waitcnt vmcnt(0)
	v_cmpx_lt_i16_e32 0x7f, v13
	s_xor_b32 s14, exec_lo, s14
	s_cbranch_execz .LBB24_1392
; %bb.1370:
	s_mov_b32 s2, -1
	s_mov_b32 s15, exec_lo
                                        ; implicit-def: $sgpr3
	v_cmpx_eq_u16_e32 0x80, v13
; %bb.1371:
	s_movk_i32 s3, 0x7e00
	s_xor_b32 s2, exec_lo, -1
; %bb.1372:
	s_or_b32 exec_lo, exec_lo, s15
	s_delay_alu instid0(SALU_CYCLE_1)
	s_and_b32 s2, s2, exec_lo
	s_or_saveexec_b32 s14, s14
	v_mov_b32_e32 v8, s3
	s_xor_b32 exec_lo, exec_lo, s14
	s_cbranch_execnz .LBB24_1393
.LBB24_1373:
	s_or_b32 exec_lo, exec_lo, s14
	s_and_saveexec_b32 s3, s2
	s_cbranch_execz .LBB24_1375
.LBB24_1374:
	v_and_b32_e32 v8, 0xffff, v13
	s_delay_alu instid0(VALU_DEP_1) | instskip(NEXT) | instid1(VALU_DEP_1)
	v_and_b32_e32 v14, 3, v8
	v_clz_i32_u32_e32 v15, v14
	s_delay_alu instid0(VALU_DEP_1) | instskip(NEXT) | instid1(VALU_DEP_1)
	v_min_u32_e32 v15, 32, v15
	v_subrev_nc_u32_e32 v16, 29, v15
	v_sub_nc_u32_e32 v15, 30, v15
	s_delay_alu instid0(VALU_DEP_2) | instskip(SKIP_1) | instid1(VALU_DEP_2)
	v_lshlrev_b32_e32 v16, v16, v8
	v_bfe_u32 v8, v8, 2, 5
	v_and_b32_e32 v16, 3, v16
	s_delay_alu instid0(VALU_DEP_2) | instskip(SKIP_1) | instid1(VALU_DEP_1)
	v_cmp_eq_u32_e32 vcc_lo, 0, v8
	v_dual_cndmask_b32 v8, v8, v15 :: v_dual_lshlrev_b32 v13, 24, v13
	v_dual_cndmask_b32 v14, v14, v16 :: v_dual_and_b32 v13, 0x80000000, v13
	s_delay_alu instid0(VALU_DEP_2) | instskip(NEXT) | instid1(VALU_DEP_2)
	v_lshl_add_u32 v8, v8, 23, 0x37800000
	v_lshlrev_b32_e32 v14, 21, v14
	s_delay_alu instid0(VALU_DEP_1) | instskip(NEXT) | instid1(VALU_DEP_1)
	v_or3_b32 v8, v13, v8, v14
	v_cvt_f16_f32_e32 v8, v8
.LBB24_1375:
	s_or_b32 exec_lo, exec_lo, s3
	s_mov_b32 s2, 0
	s_branch .LBB24_1381
.LBB24_1376:
	s_mov_b32 s2, -1
                                        ; implicit-def: $vgpr8
	s_branch .LBB24_1387
.LBB24_1377:
	s_or_saveexec_b32 s15, s15
	v_mov_b32_e32 v8, s14
	s_xor_b32 exec_lo, exec_lo, s15
	s_cbranch_execz .LBB24_1361
.LBB24_1378:
	v_cmp_ne_u16_e32 vcc_lo, 0, v13
	v_mov_b32_e32 v8, v13
	s_and_not1_b32 s3, s3, exec_lo
	s_and_b32 s14, vcc_lo, exec_lo
	s_delay_alu instid0(SALU_CYCLE_1)
	s_or_b32 s3, s3, s14
	s_or_b32 exec_lo, exec_lo, s15
	s_and_saveexec_b32 s14, s3
	s_cbranch_execnz .LBB24_1362
	s_branch .LBB24_1363
.LBB24_1379:
	s_mov_b32 s2, -1
                                        ; implicit-def: $vgpr8
	s_branch .LBB24_1384
.LBB24_1380:
	s_mov_b32 s2, -1
                                        ; implicit-def: $vgpr8
.LBB24_1381:
	s_delay_alu instid0(SALU_CYCLE_1)
	s_and_b32 vcc_lo, exec_lo, s2
	s_cbranch_vccz .LBB24_1383
; %bb.1382:
	global_load_u8 v8, v[6:7], off
	s_waitcnt vmcnt(0)
	v_lshlrev_b32_e32 v8, 24, v8
	s_delay_alu instid0(VALU_DEP_1) | instskip(NEXT) | instid1(VALU_DEP_1)
	v_and_b32_e32 v13, 0x7f000000, v8
	v_clz_i32_u32_e32 v14, v13
	v_add_nc_u32_e32 v16, 0x1000000, v13
	v_cmp_ne_u32_e32 vcc_lo, 0, v13
	s_delay_alu instid0(VALU_DEP_3) | instskip(NEXT) | instid1(VALU_DEP_1)
	v_min_u32_e32 v14, 32, v14
	v_sub_nc_u32_e64 v14, v14, 4 clamp
	s_delay_alu instid0(VALU_DEP_1) | instskip(SKIP_1) | instid1(VALU_DEP_2)
	v_lshlrev_b32_e32 v15, v14, v13
	v_lshlrev_b32_e32 v14, 23, v14
	v_lshrrev_b32_e32 v15, 4, v15
	s_delay_alu instid0(VALU_DEP_1) | instskip(SKIP_1) | instid1(VALU_DEP_2)
	v_sub_nc_u32_e32 v14, v15, v14
	v_ashrrev_i32_e32 v15, 8, v16
	v_add_nc_u32_e32 v14, 0x3c000000, v14
	s_delay_alu instid0(VALU_DEP_1) | instskip(NEXT) | instid1(VALU_DEP_1)
	v_and_or_b32 v14, 0x7f800000, v15, v14
	v_cndmask_b32_e32 v13, 0, v14, vcc_lo
	s_delay_alu instid0(VALU_DEP_1) | instskip(NEXT) | instid1(VALU_DEP_1)
	v_and_or_b32 v8, 0x80000000, v8, v13
	v_cvt_f16_f32_e32 v8, v8
.LBB24_1383:
	s_mov_b32 s2, 0
.LBB24_1384:
	s_delay_alu instid0(SALU_CYCLE_1)
	s_and_not1_b32 vcc_lo, exec_lo, s2
	s_cbranch_vccnz .LBB24_1386
; %bb.1385:
	global_load_u8 v8, v[6:7], off
	s_waitcnt vmcnt(0)
	v_lshlrev_b32_e32 v13, 25, v8
	v_lshlrev_b16 v8, 8, v8
	s_delay_alu instid0(VALU_DEP_2) | instskip(NEXT) | instid1(VALU_DEP_2)
	v_lshrrev_b32_e32 v14, 4, v13
	v_and_or_b32 v15, 0x7f00, v8, 0.5
	v_bfe_i32 v8, v8, 0, 16
	s_delay_alu instid0(VALU_DEP_3) | instskip(NEXT) | instid1(VALU_DEP_1)
	v_or_b32_e32 v14, 0x70000000, v14
	v_dual_add_f32 v15, -0.5, v15 :: v_dual_mul_f32 v14, 0x7800000, v14
	v_cmp_gt_u32_e32 vcc_lo, 0x8000000, v13
	s_delay_alu instid0(VALU_DEP_2) | instskip(NEXT) | instid1(VALU_DEP_1)
	v_cndmask_b32_e32 v13, v14, v15, vcc_lo
	v_and_or_b32 v8, 0x80000000, v8, v13
	s_delay_alu instid0(VALU_DEP_1)
	v_cvt_f16_f32_e32 v8, v8
.LBB24_1386:
	s_mov_b32 s2, 0
	s_mov_b32 s3, -1
.LBB24_1387:
	s_and_not1_b32 vcc_lo, exec_lo, s2
	s_mov_b32 s2, 0
	s_cbranch_vccnz .LBB24_1398
; %bb.1388:
	v_cmp_lt_i16_e32 vcc_lo, 14, v9
	s_cbranch_vccz .LBB24_1391
; %bb.1389:
	v_cmp_eq_u16_e32 vcc_lo, 15, v9
	s_cbranch_vccz .LBB24_1394
; %bb.1390:
	global_load_u16 v8, v[6:7], off
	s_mov_b32 s0, 0
	s_mov_b32 s3, -1
	s_waitcnt vmcnt(0)
	v_lshlrev_b32_e32 v8, 16, v8
	s_delay_alu instid0(VALU_DEP_1)
	v_cvt_f16_f32_e32 v8, v8
	s_branch .LBB24_1396
.LBB24_1391:
	s_mov_b32 s2, -1
	s_branch .LBB24_1395
.LBB24_1392:
	s_or_saveexec_b32 s14, s14
	v_mov_b32_e32 v8, s3
	s_xor_b32 exec_lo, exec_lo, s14
	s_cbranch_execz .LBB24_1373
.LBB24_1393:
	v_cmp_ne_u16_e32 vcc_lo, 0, v13
	v_mov_b32_e32 v8, v13
	s_and_not1_b32 s2, s2, exec_lo
	s_and_b32 s3, vcc_lo, exec_lo
	s_delay_alu instid0(SALU_CYCLE_1)
	s_or_b32 s2, s2, s3
	s_or_b32 exec_lo, exec_lo, s14
	s_and_saveexec_b32 s3, s2
	s_cbranch_execnz .LBB24_1374
	s_branch .LBB24_1375
.LBB24_1394:
	s_mov_b32 s0, -1
.LBB24_1395:
                                        ; implicit-def: $vgpr8
.LBB24_1396:
	s_and_b32 vcc_lo, exec_lo, s2
	s_mov_b32 s2, 0
	s_cbranch_vccz .LBB24_1398
; %bb.1397:
	v_cmp_ne_u16_e64 s0, 11, v9
	s_mov_b32 s2, -1
                                        ; implicit-def: $vgpr8
.LBB24_1398:
	s_delay_alu instid0(VALU_DEP_1)
	s_and_b32 vcc_lo, exec_lo, s0
	s_cbranch_vccnz .LBB24_1424
; %bb.1399:
	s_and_not1_b32 vcc_lo, exec_lo, s2
	s_cbranch_vccnz .LBB24_1401
.LBB24_1400:
	global_load_u8 v8, v[6:7], off
	s_mov_b32 s3, -1
	s_waitcnt vmcnt(0)
	v_cmp_ne_u16_e32 vcc_lo, 0, v8
	v_cndmask_b32_e64 v8, 0, 0x3c00, vcc_lo
.LBB24_1401:
.LBB24_1402:
	s_and_not1_b32 vcc_lo, exec_lo, s3
	s_cbranch_vccnz .LBB24_2065
.LBB24_1403:
	s_waitcnt vmcnt(0)
	s_delay_alu instid0(VALU_DEP_1) | instskip(SKIP_2) | instid1(VALU_DEP_2)
	v_cvt_f32_f16_e32 v14, v8
	v_mov_b32_e32 v13, v12
	s_mov_b32 s0, exec_lo
	v_cmpx_nlg_f32_e64 0x7f800000, |v14|
	s_cbranch_execz .LBB24_1405
; %bb.1404:
	v_dual_mov_b32 v6, 0 :: v_dual_mov_b32 v7, 1.0
	global_store_b32 v6, v7, s[8:9]
	global_load_b32 v13, v6, s[10:11]
.LBB24_1405:
	s_or_b32 exec_lo, exec_lo, s0
	v_cmp_gt_i16_e32 vcc_lo, 11, v9
	v_add_co_u32 v5, s0, s6, v5
	s_delay_alu instid0(VALU_DEP_1)
	v_add_co_ci_u32_e64 v6, null, s7, 0, s0
	s_mov_b32 s3, 0
	s_cbranch_vccnz .LBB24_1412
; %bb.1406:
	v_cmp_lt_i16_e32 vcc_lo, 25, v9
	s_mov_b32 s2, 0
	s_cbranch_vccz .LBB24_1418
; %bb.1407:
	v_cmp_lt_i16_e32 vcc_lo, 28, v9
	s_cbranch_vccz .LBB24_1420
; %bb.1408:
	v_cmp_lt_i16_e32 vcc_lo, 43, v9
	;; [unrolled: 3-line block ×3, first 2 shown]
	s_cbranch_vccz .LBB24_1426
; %bb.1410:
	v_cmp_eq_u16_e32 vcc_lo, 46, v9
	s_mov_b32 s14, 0
	s_cbranch_vccz .LBB24_1469
; %bb.1411:
	global_load_b32 v7, v[5:6], off
	s_mov_b32 s0, 0
	s_mov_b32 s3, -1
	s_waitcnt vmcnt(0)
	v_lshlrev_b32_e32 v7, 16, v7
	s_delay_alu instid0(VALU_DEP_1)
	v_cvt_f16_f32_e32 v7, v7
	s_branch .LBB24_1471
.LBB24_1412:
                                        ; implicit-def: $vgpr7
	s_cbranch_execz .LBB24_1537
; %bb.1413:
	v_cmp_gt_i16_e32 vcc_lo, 5, v9
	s_cbranch_vccnz .LBB24_1419
; %bb.1414:
	v_cmp_gt_i16_e32 vcc_lo, 8, v9
	s_cbranch_vccnz .LBB24_1421
	;; [unrolled: 3-line block ×3, first 2 shown]
; %bb.1416:
	v_cmp_lt_i16_e32 vcc_lo, 9, v9
	s_cbranch_vccz .LBB24_1427
; %bb.1417:
	global_load_b64 v[15:16], v[5:6], off
	s_mov_b32 s0, 0
	s_waitcnt vmcnt(0)
	v_cvt_f32_f64_e32 v7, v[15:16]
	s_delay_alu instid0(VALU_DEP_1)
	v_cvt_f16_f32_e32 v7, v7
	s_branch .LBB24_1428
.LBB24_1418:
	s_mov_b32 s14, -1
	s_mov_b32 s0, 0
                                        ; implicit-def: $vgpr7
	s_branch .LBB24_1500
.LBB24_1419:
	s_mov_b32 s0, -1
                                        ; implicit-def: $vgpr7
	s_branch .LBB24_1446
.LBB24_1420:
	s_mov_b32 s14, -1
	s_mov_b32 s0, 0
                                        ; implicit-def: $vgpr7
	s_branch .LBB24_1481
.LBB24_1421:
	s_mov_b32 s0, -1
                                        ; implicit-def: $vgpr7
	s_branch .LBB24_1434
.LBB24_1422:
	s_mov_b32 s14, -1
	s_mov_b32 s0, 0
                                        ; implicit-def: $vgpr7
	s_branch .LBB24_1476
.LBB24_1423:
	s_mov_b32 s0, -1
                                        ; implicit-def: $vgpr7
	s_branch .LBB24_1431
.LBB24_1424:
	s_cbranch_execnz .LBB24_1467
; %bb.1425:
	s_or_b32 s1, s1, exec_lo
                                        ; implicit-def: $vgpr8
	s_cbranch_execz .LBB24_1400
	s_branch .LBB24_1401
.LBB24_1426:
	s_mov_b32 s14, -1
	s_mov_b32 s0, 0
	s_branch .LBB24_1470
.LBB24_1427:
	s_mov_b32 s0, -1
                                        ; implicit-def: $vgpr7
.LBB24_1428:
	s_delay_alu instid0(SALU_CYCLE_1)
	s_and_not1_b32 vcc_lo, exec_lo, s0
	s_cbranch_vccnz .LBB24_1430
; %bb.1429:
	global_load_b32 v7, v[5:6], off
	s_waitcnt vmcnt(0)
	v_cvt_f16_f32_e32 v7, v7
.LBB24_1430:
	s_mov_b32 s0, 0
.LBB24_1431:
	s_delay_alu instid0(SALU_CYCLE_1)
	s_and_not1_b32 vcc_lo, exec_lo, s0
	s_cbranch_vccnz .LBB24_1433
; %bb.1432:
	global_load_b32 v7, v[5:6], off
.LBB24_1433:
	s_mov_b32 s0, 0
.LBB24_1434:
	s_delay_alu instid0(SALU_CYCLE_1)
	s_and_not1_b32 vcc_lo, exec_lo, s0
	s_cbranch_vccnz .LBB24_1445
; %bb.1435:
	v_cmp_gt_i16_e32 vcc_lo, 6, v9
	s_cbranch_vccnz .LBB24_1438
; %bb.1436:
	v_cmp_lt_i16_e32 vcc_lo, 6, v9
	s_cbranch_vccz .LBB24_1439
; %bb.1437:
	global_load_b64 v[15:16], v[5:6], off
	s_mov_b32 s0, 0
	s_waitcnt vmcnt(0)
	v_cvt_f32_f64_e32 v7, v[15:16]
	s_delay_alu instid0(VALU_DEP_1)
	v_cvt_f16_f32_e32 v7, v7
	s_branch .LBB24_1440
.LBB24_1438:
	s_mov_b32 s0, -1
                                        ; implicit-def: $vgpr7
	s_branch .LBB24_1443
.LBB24_1439:
	s_mov_b32 s0, -1
                                        ; implicit-def: $vgpr7
.LBB24_1440:
	s_delay_alu instid0(SALU_CYCLE_1)
	s_and_not1_b32 vcc_lo, exec_lo, s0
	s_cbranch_vccnz .LBB24_1442
; %bb.1441:
	global_load_b32 v7, v[5:6], off
	s_waitcnt vmcnt(0)
	v_cvt_f16_f32_e32 v7, v7
.LBB24_1442:
	s_mov_b32 s0, 0
.LBB24_1443:
	s_delay_alu instid0(SALU_CYCLE_1)
	s_and_not1_b32 vcc_lo, exec_lo, s0
	s_cbranch_vccnz .LBB24_1445
; %bb.1444:
	global_load_u16 v7, v[5:6], off
.LBB24_1445:
	s_mov_b32 s0, 0
.LBB24_1446:
	s_delay_alu instid0(SALU_CYCLE_1)
	s_and_not1_b32 vcc_lo, exec_lo, s0
	s_cbranch_vccnz .LBB24_1466
; %bb.1447:
	v_cmp_gt_i16_e32 vcc_lo, 2, v9
	s_cbranch_vccnz .LBB24_1451
; %bb.1448:
	v_cmp_gt_i16_e32 vcc_lo, 3, v9
	s_cbranch_vccnz .LBB24_1452
; %bb.1449:
	v_cmp_lt_i16_e32 vcc_lo, 3, v9
	s_cbranch_vccz .LBB24_1453
; %bb.1450:
	global_load_b64 v[15:16], v[5:6], off
	s_mov_b32 s0, 0
	s_waitcnt vmcnt(0)
	v_xor_b32_e32 v7, v15, v16
	v_cls_i32_e32 v17, v16
	s_delay_alu instid0(VALU_DEP_2) | instskip(NEXT) | instid1(VALU_DEP_2)
	v_ashrrev_i32_e32 v7, 31, v7
	v_add_nc_u32_e32 v17, -1, v17
	s_delay_alu instid0(VALU_DEP_2) | instskip(NEXT) | instid1(VALU_DEP_1)
	v_add_nc_u32_e32 v7, 32, v7
	v_min_u32_e32 v7, v17, v7
	s_delay_alu instid0(VALU_DEP_1) | instskip(SKIP_1) | instid1(VALU_DEP_2)
	v_lshlrev_b64 v[15:16], v7, v[15:16]
	v_sub_nc_u32_e32 v7, 32, v7
	v_min_u32_e32 v15, 1, v15
	s_delay_alu instid0(VALU_DEP_1) | instskip(NEXT) | instid1(VALU_DEP_1)
	v_or_b32_e32 v15, v16, v15
	v_cvt_f32_i32_e32 v15, v15
	s_delay_alu instid0(VALU_DEP_1) | instskip(NEXT) | instid1(VALU_DEP_1)
	v_ldexp_f32 v7, v15, v7
	v_cvt_f16_f32_e32 v7, v7
	s_branch .LBB24_1454
.LBB24_1451:
	s_mov_b32 s0, -1
                                        ; implicit-def: $vgpr7
	s_branch .LBB24_1460
.LBB24_1452:
	s_mov_b32 s0, -1
                                        ; implicit-def: $vgpr7
	s_branch .LBB24_1457
.LBB24_1453:
	s_mov_b32 s0, -1
                                        ; implicit-def: $vgpr7
.LBB24_1454:
	s_delay_alu instid0(SALU_CYCLE_1)
	s_and_not1_b32 vcc_lo, exec_lo, s0
	s_cbranch_vccnz .LBB24_1456
; %bb.1455:
	global_load_b32 v7, v[5:6], off
	s_waitcnt vmcnt(0)
	v_cvt_f32_i32_e32 v7, v7
	s_delay_alu instid0(VALU_DEP_1)
	v_cvt_f16_f32_e32 v7, v7
.LBB24_1456:
	s_mov_b32 s0, 0
.LBB24_1457:
	s_delay_alu instid0(SALU_CYCLE_1)
	s_and_not1_b32 vcc_lo, exec_lo, s0
	s_cbranch_vccnz .LBB24_1459
; %bb.1458:
	global_load_u16 v7, v[5:6], off
	s_waitcnt vmcnt(0)
	v_cvt_f16_i16_e32 v7, v7
.LBB24_1459:
	s_mov_b32 s0, 0
.LBB24_1460:
	s_delay_alu instid0(SALU_CYCLE_1)
	s_and_not1_b32 vcc_lo, exec_lo, s0
	s_cbranch_vccnz .LBB24_1466
; %bb.1461:
	v_cmp_lt_i16_e32 vcc_lo, 0, v9
	s_mov_b32 s0, 0
	s_cbranch_vccz .LBB24_1463
; %bb.1462:
	global_load_i8 v7, v[5:6], off
	s_waitcnt vmcnt(0)
	v_cvt_f16_i16_e32 v7, v7
	s_branch .LBB24_1464
.LBB24_1463:
	s_mov_b32 s0, -1
                                        ; implicit-def: $vgpr7
.LBB24_1464:
	s_delay_alu instid0(SALU_CYCLE_1)
	s_and_not1_b32 vcc_lo, exec_lo, s0
	s_cbranch_vccnz .LBB24_1466
; %bb.1465:
	global_load_u8 v5, v[5:6], off
	s_waitcnt vmcnt(0)
	v_cvt_f16_u16_e32 v7, v5
.LBB24_1466:
	s_branch .LBB24_1538
.LBB24_1467:
	s_trap 2
	s_sendmsg_rtn_b32 s0, sendmsg(MSG_RTN_GET_DOORBELL)
	s_mov_b32 ttmp2, m0
	s_waitcnt lgkmcnt(0)
	s_and_b32 s0, s0, 0x3ff
	s_delay_alu instid0(SALU_CYCLE_1) | instskip(NEXT) | instid1(SALU_CYCLE_1)
	s_bitset1_b32 s0, 10
	s_mov_b32 m0, s0
	s_sendmsg sendmsg(MSG_INTERRUPT)
	s_mov_b32 m0, ttmp2
.LBB24_1468:                            ; =>This Inner Loop Header: Depth=1
	s_sethalt 5
	s_branch .LBB24_1468
.LBB24_1469:
	s_mov_b32 s0, -1
.LBB24_1470:
                                        ; implicit-def: $vgpr7
.LBB24_1471:
	s_and_b32 vcc_lo, exec_lo, s14
	s_cbranch_vccz .LBB24_1475
; %bb.1472:
	v_cmp_eq_u16_e32 vcc_lo, 44, v9
	s_cbranch_vccz .LBB24_1474
; %bb.1473:
	global_load_u8 v7, v[5:6], off
	s_mov_b32 s0, 0
	s_mov_b32 s3, -1
	s_waitcnt vmcnt(0)
	v_lshlrev_b32_e32 v15, 23, v7
	v_cmp_ne_u32_e32 vcc_lo, 0xff, v7
	s_delay_alu instid0(VALU_DEP_2) | instskip(NEXT) | instid1(VALU_DEP_1)
	v_cvt_f16_f32_e32 v15, v15
	v_cndmask_b32_e32 v15, 0x7e00, v15, vcc_lo
	v_cmp_ne_u32_e32 vcc_lo, 0, v7
	s_delay_alu instid0(VALU_DEP_2)
	v_cndmask_b32_e32 v7, 0, v15, vcc_lo
	s_branch .LBB24_1475
.LBB24_1474:
	s_mov_b32 s0, -1
                                        ; implicit-def: $vgpr7
.LBB24_1475:
	s_mov_b32 s14, 0
.LBB24_1476:
	s_delay_alu instid0(SALU_CYCLE_1)
	s_and_b32 vcc_lo, exec_lo, s14
	s_cbranch_vccz .LBB24_1480
; %bb.1477:
	v_cmp_eq_u16_e32 vcc_lo, 29, v9
	s_cbranch_vccz .LBB24_1479
; %bb.1478:
	global_load_b64 v[15:16], v[5:6], off
	s_mov_b32 s0, 0
	s_mov_b32 s3, -1
	s_mov_b32 s14, 0
	s_waitcnt vmcnt(0)
	v_clz_i32_u32_e32 v7, v16
	s_delay_alu instid0(VALU_DEP_1) | instskip(NEXT) | instid1(VALU_DEP_1)
	v_min_u32_e32 v7, 32, v7
	v_lshlrev_b64 v[15:16], v7, v[15:16]
	v_sub_nc_u32_e32 v7, 32, v7
	s_delay_alu instid0(VALU_DEP_2) | instskip(NEXT) | instid1(VALU_DEP_1)
	v_min_u32_e32 v15, 1, v15
	v_or_b32_e32 v15, v16, v15
	s_delay_alu instid0(VALU_DEP_1) | instskip(NEXT) | instid1(VALU_DEP_1)
	v_cvt_f32_u32_e32 v15, v15
	v_ldexp_f32 v7, v15, v7
	s_delay_alu instid0(VALU_DEP_1)
	v_cvt_f16_f32_e32 v7, v7
	s_branch .LBB24_1481
.LBB24_1479:
	s_mov_b32 s0, -1
                                        ; implicit-def: $vgpr7
.LBB24_1480:
	s_mov_b32 s14, 0
.LBB24_1481:
	s_delay_alu instid0(SALU_CYCLE_1)
	s_and_b32 vcc_lo, exec_lo, s14
	s_cbranch_vccz .LBB24_1499
; %bb.1482:
	v_cmp_gt_i16_e32 vcc_lo, 27, v9
	s_cbranch_vccnz .LBB24_1485
; %bb.1483:
	v_cmp_lt_i16_e32 vcc_lo, 27, v9
	s_cbranch_vccz .LBB24_1486
; %bb.1484:
	global_load_b32 v7, v[5:6], off
	s_mov_b32 s3, 0
	s_waitcnt vmcnt(0)
	v_cvt_f32_u32_e32 v7, v7
	s_delay_alu instid0(VALU_DEP_1)
	v_cvt_f16_f32_e32 v7, v7
	s_branch .LBB24_1487
.LBB24_1485:
	s_mov_b32 s3, -1
                                        ; implicit-def: $vgpr7
	s_branch .LBB24_1490
.LBB24_1486:
	s_mov_b32 s3, -1
                                        ; implicit-def: $vgpr7
.LBB24_1487:
	s_delay_alu instid0(SALU_CYCLE_1)
	s_and_not1_b32 vcc_lo, exec_lo, s3
	s_cbranch_vccnz .LBB24_1489
; %bb.1488:
	global_load_u16 v7, v[5:6], off
	s_waitcnt vmcnt(0)
	v_cvt_f16_u16_e32 v7, v7
.LBB24_1489:
	s_mov_b32 s3, 0
.LBB24_1490:
	s_delay_alu instid0(SALU_CYCLE_1)
	s_and_not1_b32 vcc_lo, exec_lo, s3
	s_cbranch_vccnz .LBB24_1498
; %bb.1491:
	global_load_u8 v15, v[5:6], off
	s_mov_b32 s3, 0
	s_mov_b32 s15, exec_lo
                                        ; implicit-def: $sgpr14
	s_waitcnt vmcnt(0)
	v_cmpx_lt_i16_e32 0x7f, v15
	s_xor_b32 s15, exec_lo, s15
	s_cbranch_execz .LBB24_1512
; %bb.1492:
	s_mov_b32 s3, -1
	s_mov_b32 s16, exec_lo
                                        ; implicit-def: $sgpr14
	v_cmpx_eq_u16_e32 0x80, v15
; %bb.1493:
	s_movk_i32 s14, 0x7e00
	s_xor_b32 s3, exec_lo, -1
; %bb.1494:
	s_or_b32 exec_lo, exec_lo, s16
	s_delay_alu instid0(SALU_CYCLE_1)
	s_and_b32 s3, s3, exec_lo
	s_or_saveexec_b32 s15, s15
	v_mov_b32_e32 v7, s14
	s_xor_b32 exec_lo, exec_lo, s15
	s_cbranch_execnz .LBB24_1513
.LBB24_1495:
	s_or_b32 exec_lo, exec_lo, s15
	s_and_saveexec_b32 s14, s3
	s_cbranch_execz .LBB24_1497
.LBB24_1496:
	v_and_b32_e32 v7, 0xffff, v15
	v_lshlrev_b32_e32 v15, 24, v15
	s_delay_alu instid0(VALU_DEP_2) | instskip(NEXT) | instid1(VALU_DEP_2)
	v_and_b32_e32 v16, 7, v7
	v_and_b32_e32 v15, 0x80000000, v15
	s_delay_alu instid0(VALU_DEP_2) | instskip(NEXT) | instid1(VALU_DEP_1)
	v_clz_i32_u32_e32 v17, v16
	v_min_u32_e32 v17, 32, v17
	s_delay_alu instid0(VALU_DEP_1) | instskip(SKIP_1) | instid1(VALU_DEP_2)
	v_subrev_nc_u32_e32 v18, 28, v17
	v_sub_nc_u32_e32 v17, 29, v17
	v_lshlrev_b32_e32 v18, v18, v7
	v_bfe_u32 v7, v7, 3, 4
	s_delay_alu instid0(VALU_DEP_2) | instskip(NEXT) | instid1(VALU_DEP_2)
	v_and_b32_e32 v18, 7, v18
	v_cmp_eq_u32_e32 vcc_lo, 0, v7
	s_delay_alu instid0(VALU_DEP_2) | instskip(NEXT) | instid1(VALU_DEP_1)
	v_dual_cndmask_b32 v7, v7, v17 :: v_dual_cndmask_b32 v16, v16, v18
	v_lshl_add_u32 v7, v7, 23, 0x3b800000
	s_delay_alu instid0(VALU_DEP_2) | instskip(NEXT) | instid1(VALU_DEP_1)
	v_lshlrev_b32_e32 v16, 20, v16
	v_or3_b32 v7, v15, v7, v16
	s_delay_alu instid0(VALU_DEP_1)
	v_cvt_f16_f32_e32 v7, v7
.LBB24_1497:
	s_or_b32 exec_lo, exec_lo, s14
.LBB24_1498:
	s_mov_b32 s3, -1
.LBB24_1499:
	s_mov_b32 s14, 0
.LBB24_1500:
	s_delay_alu instid0(SALU_CYCLE_1)
	s_and_b32 vcc_lo, exec_lo, s14
	s_cbranch_vccz .LBB24_1533
; %bb.1501:
	v_cmp_lt_i16_e32 vcc_lo, 22, v9
	s_cbranch_vccz .LBB24_1511
; %bb.1502:
	v_cmp_gt_i16_e32 vcc_lo, 24, v9
	s_cbranch_vccnz .LBB24_1514
; %bb.1503:
	v_cmp_lt_i16_e32 vcc_lo, 24, v9
	s_cbranch_vccz .LBB24_1515
; %bb.1504:
	global_load_u8 v15, v[5:6], off
	s_mov_b32 s14, exec_lo
                                        ; implicit-def: $sgpr3
	s_waitcnt vmcnt(0)
	v_cmpx_lt_i16_e32 0x7f, v15
	s_xor_b32 s14, exec_lo, s14
	s_cbranch_execz .LBB24_1527
; %bb.1505:
	s_mov_b32 s2, -1
	s_mov_b32 s15, exec_lo
                                        ; implicit-def: $sgpr3
	v_cmpx_eq_u16_e32 0x80, v15
; %bb.1506:
	s_movk_i32 s3, 0x7e00
	s_xor_b32 s2, exec_lo, -1
; %bb.1507:
	s_or_b32 exec_lo, exec_lo, s15
	s_delay_alu instid0(SALU_CYCLE_1)
	s_and_b32 s2, s2, exec_lo
	s_or_saveexec_b32 s14, s14
	v_mov_b32_e32 v7, s3
	s_xor_b32 exec_lo, exec_lo, s14
	s_cbranch_execnz .LBB24_1528
.LBB24_1508:
	s_or_b32 exec_lo, exec_lo, s14
	s_and_saveexec_b32 s3, s2
	s_cbranch_execz .LBB24_1510
.LBB24_1509:
	v_and_b32_e32 v7, 0xffff, v15
	v_lshlrev_b32_e32 v15, 24, v15
	s_delay_alu instid0(VALU_DEP_2) | instskip(NEXT) | instid1(VALU_DEP_2)
	v_and_b32_e32 v16, 3, v7
	v_and_b32_e32 v15, 0x80000000, v15
	s_delay_alu instid0(VALU_DEP_2) | instskip(NEXT) | instid1(VALU_DEP_1)
	v_clz_i32_u32_e32 v17, v16
	v_min_u32_e32 v17, 32, v17
	s_delay_alu instid0(VALU_DEP_1) | instskip(SKIP_1) | instid1(VALU_DEP_2)
	v_subrev_nc_u32_e32 v18, 29, v17
	v_sub_nc_u32_e32 v17, 30, v17
	v_lshlrev_b32_e32 v18, v18, v7
	v_bfe_u32 v7, v7, 2, 5
	s_delay_alu instid0(VALU_DEP_2) | instskip(NEXT) | instid1(VALU_DEP_2)
	v_and_b32_e32 v18, 3, v18
	v_cmp_eq_u32_e32 vcc_lo, 0, v7
	s_delay_alu instid0(VALU_DEP_2) | instskip(NEXT) | instid1(VALU_DEP_1)
	v_dual_cndmask_b32 v7, v7, v17 :: v_dual_cndmask_b32 v16, v16, v18
	v_lshl_add_u32 v7, v7, 23, 0x37800000
	s_delay_alu instid0(VALU_DEP_2) | instskip(NEXT) | instid1(VALU_DEP_1)
	v_lshlrev_b32_e32 v16, 21, v16
	v_or3_b32 v7, v15, v7, v16
	s_delay_alu instid0(VALU_DEP_1)
	v_cvt_f16_f32_e32 v7, v7
.LBB24_1510:
	s_or_b32 exec_lo, exec_lo, s3
	s_mov_b32 s2, 0
	s_branch .LBB24_1516
.LBB24_1511:
	s_mov_b32 s2, -1
                                        ; implicit-def: $vgpr7
	s_branch .LBB24_1522
.LBB24_1512:
	s_or_saveexec_b32 s15, s15
	v_mov_b32_e32 v7, s14
	s_xor_b32 exec_lo, exec_lo, s15
	s_cbranch_execz .LBB24_1495
.LBB24_1513:
	v_cmp_ne_u16_e32 vcc_lo, 0, v15
	v_mov_b32_e32 v7, v15
	s_and_not1_b32 s3, s3, exec_lo
	s_and_b32 s14, vcc_lo, exec_lo
	s_delay_alu instid0(SALU_CYCLE_1)
	s_or_b32 s3, s3, s14
	s_or_b32 exec_lo, exec_lo, s15
	s_and_saveexec_b32 s14, s3
	s_cbranch_execnz .LBB24_1496
	s_branch .LBB24_1497
.LBB24_1514:
	s_mov_b32 s2, -1
                                        ; implicit-def: $vgpr7
	s_branch .LBB24_1519
.LBB24_1515:
	s_mov_b32 s2, -1
                                        ; implicit-def: $vgpr7
.LBB24_1516:
	s_delay_alu instid0(SALU_CYCLE_1)
	s_and_b32 vcc_lo, exec_lo, s2
	s_cbranch_vccz .LBB24_1518
; %bb.1517:
	global_load_u8 v7, v[5:6], off
	s_waitcnt vmcnt(0)
	v_lshlrev_b32_e32 v7, 24, v7
	s_delay_alu instid0(VALU_DEP_1) | instskip(NEXT) | instid1(VALU_DEP_1)
	v_and_b32_e32 v15, 0x7f000000, v7
	v_clz_i32_u32_e32 v16, v15
	v_cmp_ne_u32_e32 vcc_lo, 0, v15
	v_add_nc_u32_e32 v18, 0x1000000, v15
	s_delay_alu instid0(VALU_DEP_3) | instskip(NEXT) | instid1(VALU_DEP_1)
	v_min_u32_e32 v16, 32, v16
	v_sub_nc_u32_e64 v16, v16, 4 clamp
	s_delay_alu instid0(VALU_DEP_1) | instskip(SKIP_1) | instid1(VALU_DEP_2)
	v_lshlrev_b32_e32 v17, v16, v15
	v_lshlrev_b32_e32 v16, 23, v16
	v_lshrrev_b32_e32 v17, 4, v17
	s_delay_alu instid0(VALU_DEP_1) | instskip(SKIP_1) | instid1(VALU_DEP_2)
	v_sub_nc_u32_e32 v16, v17, v16
	v_ashrrev_i32_e32 v17, 8, v18
	v_add_nc_u32_e32 v16, 0x3c000000, v16
	s_delay_alu instid0(VALU_DEP_1) | instskip(NEXT) | instid1(VALU_DEP_1)
	v_and_or_b32 v16, 0x7f800000, v17, v16
	v_cndmask_b32_e32 v15, 0, v16, vcc_lo
	s_delay_alu instid0(VALU_DEP_1) | instskip(NEXT) | instid1(VALU_DEP_1)
	v_and_or_b32 v7, 0x80000000, v7, v15
	v_cvt_f16_f32_e32 v7, v7
.LBB24_1518:
	s_mov_b32 s2, 0
.LBB24_1519:
	s_delay_alu instid0(SALU_CYCLE_1)
	s_and_not1_b32 vcc_lo, exec_lo, s2
	s_cbranch_vccnz .LBB24_1521
; %bb.1520:
	global_load_u8 v7, v[5:6], off
	s_waitcnt vmcnt(0)
	v_lshlrev_b32_e32 v15, 25, v7
	v_lshlrev_b16 v7, 8, v7
	s_delay_alu instid0(VALU_DEP_2) | instskip(NEXT) | instid1(VALU_DEP_2)
	v_lshrrev_b32_e32 v16, 4, v15
	v_and_or_b32 v17, 0x7f00, v7, 0.5
	v_bfe_i32 v7, v7, 0, 16
	s_delay_alu instid0(VALU_DEP_3) | instskip(NEXT) | instid1(VALU_DEP_1)
	v_or_b32_e32 v16, 0x70000000, v16
	v_dual_add_f32 v17, -0.5, v17 :: v_dual_mul_f32 v16, 0x7800000, v16
	v_cmp_gt_u32_e32 vcc_lo, 0x8000000, v15
	s_delay_alu instid0(VALU_DEP_2) | instskip(NEXT) | instid1(VALU_DEP_1)
	v_cndmask_b32_e32 v15, v16, v17, vcc_lo
	v_and_or_b32 v7, 0x80000000, v7, v15
	s_delay_alu instid0(VALU_DEP_1)
	v_cvt_f16_f32_e32 v7, v7
.LBB24_1521:
	s_mov_b32 s2, 0
	s_mov_b32 s3, -1
.LBB24_1522:
	s_and_not1_b32 vcc_lo, exec_lo, s2
	s_mov_b32 s2, 0
	s_cbranch_vccnz .LBB24_1533
; %bb.1523:
	v_cmp_lt_i16_e32 vcc_lo, 14, v9
	s_cbranch_vccz .LBB24_1526
; %bb.1524:
	v_cmp_eq_u16_e32 vcc_lo, 15, v9
	s_cbranch_vccz .LBB24_1529
; %bb.1525:
	global_load_u16 v7, v[5:6], off
	s_mov_b32 s0, 0
	s_mov_b32 s3, -1
	s_waitcnt vmcnt(0)
	v_lshlrev_b32_e32 v7, 16, v7
	s_delay_alu instid0(VALU_DEP_1)
	v_cvt_f16_f32_e32 v7, v7
	s_branch .LBB24_1531
.LBB24_1526:
	s_mov_b32 s2, -1
	s_branch .LBB24_1530
.LBB24_1527:
	s_or_saveexec_b32 s14, s14
	v_mov_b32_e32 v7, s3
	s_xor_b32 exec_lo, exec_lo, s14
	s_cbranch_execz .LBB24_1508
.LBB24_1528:
	v_cmp_ne_u16_e32 vcc_lo, 0, v15
	v_mov_b32_e32 v7, v15
	s_and_not1_b32 s2, s2, exec_lo
	s_and_b32 s3, vcc_lo, exec_lo
	s_delay_alu instid0(SALU_CYCLE_1)
	s_or_b32 s2, s2, s3
	s_or_b32 exec_lo, exec_lo, s14
	s_and_saveexec_b32 s3, s2
	s_cbranch_execnz .LBB24_1509
	s_branch .LBB24_1510
.LBB24_1529:
	s_mov_b32 s0, -1
.LBB24_1530:
                                        ; implicit-def: $vgpr7
.LBB24_1531:
	s_and_b32 vcc_lo, exec_lo, s2
	s_mov_b32 s2, 0
	s_cbranch_vccz .LBB24_1533
; %bb.1532:
	v_cmp_ne_u16_e64 s0, 11, v9
	s_mov_b32 s2, -1
                                        ; implicit-def: $vgpr7
.LBB24_1533:
	s_delay_alu instid0(VALU_DEP_1)
	s_and_b32 vcc_lo, exec_lo, s0
	s_cbranch_vccnz .LBB24_1551
; %bb.1534:
	s_and_not1_b32 vcc_lo, exec_lo, s2
	s_cbranch_vccnz .LBB24_1536
.LBB24_1535:
	global_load_u8 v7, v[5:6], off
	s_mov_b32 s3, -1
	s_waitcnt vmcnt(0)
	v_cmp_ne_u16_e32 vcc_lo, 0, v7
	v_cndmask_b32_e64 v7, 0, 0x3c00, vcc_lo
.LBB24_1536:
.LBB24_1537:
	s_and_not1_b32 vcc_lo, exec_lo, s3
	s_cbranch_vccnz .LBB24_2065
.LBB24_1538:
	s_waitcnt vmcnt(0)
	s_delay_alu instid0(VALU_DEP_1) | instskip(SKIP_2) | instid1(VALU_DEP_2)
	v_cvt_f32_f16_e32 v16, v7
	v_mov_b32_e32 v15, v13
	s_mov_b32 s0, exec_lo
	v_cmpx_nlg_f32_e64 0x7f800000, |v16|
	s_cbranch_execz .LBB24_1540
; %bb.1539:
	v_dual_mov_b32 v5, 0 :: v_dual_mov_b32 v6, 1.0
	global_store_b32 v5, v6, s[8:9]
	global_load_b32 v15, v5, s[10:11]
.LBB24_1540:
	s_or_b32 exec_lo, exec_lo, s0
	v_cmp_gt_i16_e32 vcc_lo, 11, v9
	v_add_co_u32 v4, s0, s6, v4
	s_delay_alu instid0(VALU_DEP_1)
	v_add_co_ci_u32_e64 v5, null, s7, 0, s0
	s_mov_b32 s3, 0
	s_cbranch_vccnz .LBB24_1547
; %bb.1541:
	v_cmp_lt_i16_e32 vcc_lo, 25, v9
	s_mov_b32 s2, 0
	s_cbranch_vccz .LBB24_1548
; %bb.1542:
	v_cmp_lt_i16_e32 vcc_lo, 28, v9
	s_cbranch_vccz .LBB24_1549
; %bb.1543:
	v_cmp_lt_i16_e32 vcc_lo, 43, v9
	;; [unrolled: 3-line block ×3, first 2 shown]
	s_cbranch_vccz .LBB24_1553
; %bb.1545:
	v_cmp_eq_u16_e32 vcc_lo, 46, v9
	s_mov_b32 s6, 0
	s_cbranch_vccz .LBB24_1556
; %bb.1546:
	global_load_b32 v6, v[4:5], off
	s_mov_b32 s0, 0
	s_mov_b32 s3, -1
	s_waitcnt vmcnt(0)
	v_lshlrev_b32_e32 v6, 16, v6
	s_delay_alu instid0(VALU_DEP_1)
	v_cvt_f16_f32_e32 v6, v6
	s_branch .LBB24_1558
.LBB24_1547:
	s_mov_b32 s0, -1
                                        ; implicit-def: $vgpr6
	s_branch .LBB24_1624
.LBB24_1548:
	s_mov_b32 s6, -1
	s_mov_b32 s0, 0
                                        ; implicit-def: $vgpr6
	s_branch .LBB24_1587
.LBB24_1549:
	s_mov_b32 s6, -1
	s_mov_b32 s0, 0
                                        ; implicit-def: $vgpr6
	s_branch .LBB24_1568
.LBB24_1550:
	s_mov_b32 s6, -1
	s_mov_b32 s0, 0
                                        ; implicit-def: $vgpr6
	s_branch .LBB24_1563
.LBB24_1551:
	s_cbranch_execnz .LBB24_1554
; %bb.1552:
	s_or_b32 s1, s1, exec_lo
                                        ; implicit-def: $vgpr7
	s_cbranch_execz .LBB24_1535
	s_branch .LBB24_1536
.LBB24_1553:
	s_mov_b32 s6, -1
	s_mov_b32 s0, 0
	s_branch .LBB24_1557
.LBB24_1554:
	s_trap 2
	s_sendmsg_rtn_b32 s0, sendmsg(MSG_RTN_GET_DOORBELL)
	s_mov_b32 ttmp2, m0
	s_waitcnt lgkmcnt(0)
	s_and_b32 s0, s0, 0x3ff
	s_delay_alu instid0(SALU_CYCLE_1) | instskip(NEXT) | instid1(SALU_CYCLE_1)
	s_bitset1_b32 s0, 10
	s_mov_b32 m0, s0
	s_sendmsg sendmsg(MSG_INTERRUPT)
	s_mov_b32 m0, ttmp2
.LBB24_1555:                            ; =>This Inner Loop Header: Depth=1
	s_sethalt 5
	s_branch .LBB24_1555
.LBB24_1556:
	s_mov_b32 s0, -1
.LBB24_1557:
                                        ; implicit-def: $vgpr6
.LBB24_1558:
	s_and_b32 vcc_lo, exec_lo, s6
	s_cbranch_vccz .LBB24_1562
; %bb.1559:
	v_cmp_eq_u16_e32 vcc_lo, 44, v9
	s_cbranch_vccz .LBB24_1561
; %bb.1560:
	global_load_u8 v6, v[4:5], off
	s_mov_b32 s0, 0
	s_mov_b32 s3, -1
	s_waitcnt vmcnt(0)
	v_lshlrev_b32_e32 v17, 23, v6
	v_cmp_ne_u32_e32 vcc_lo, 0xff, v6
	s_delay_alu instid0(VALU_DEP_2) | instskip(NEXT) | instid1(VALU_DEP_1)
	v_cvt_f16_f32_e32 v17, v17
	v_cndmask_b32_e32 v17, 0x7e00, v17, vcc_lo
	v_cmp_ne_u32_e32 vcc_lo, 0, v6
	s_delay_alu instid0(VALU_DEP_2)
	v_cndmask_b32_e32 v6, 0, v17, vcc_lo
	s_branch .LBB24_1562
.LBB24_1561:
	s_mov_b32 s0, -1
                                        ; implicit-def: $vgpr6
.LBB24_1562:
	s_mov_b32 s6, 0
.LBB24_1563:
	s_delay_alu instid0(SALU_CYCLE_1)
	s_and_b32 vcc_lo, exec_lo, s6
	s_cbranch_vccz .LBB24_1567
; %bb.1564:
	v_cmp_eq_u16_e32 vcc_lo, 29, v9
	s_cbranch_vccz .LBB24_1566
; %bb.1565:
	global_load_b64 v[17:18], v[4:5], off
	s_mov_b32 s0, 0
	s_mov_b32 s3, -1
	s_mov_b32 s6, 0
	s_waitcnt vmcnt(0)
	v_clz_i32_u32_e32 v6, v18
	s_delay_alu instid0(VALU_DEP_1) | instskip(NEXT) | instid1(VALU_DEP_1)
	v_min_u32_e32 v6, 32, v6
	v_lshlrev_b64 v[17:18], v6, v[17:18]
	v_sub_nc_u32_e32 v6, 32, v6
	s_delay_alu instid0(VALU_DEP_2) | instskip(NEXT) | instid1(VALU_DEP_1)
	v_min_u32_e32 v17, 1, v17
	v_or_b32_e32 v17, v18, v17
	s_delay_alu instid0(VALU_DEP_1) | instskip(NEXT) | instid1(VALU_DEP_1)
	v_cvt_f32_u32_e32 v17, v17
	v_ldexp_f32 v6, v17, v6
	s_delay_alu instid0(VALU_DEP_1)
	v_cvt_f16_f32_e32 v6, v6
	s_branch .LBB24_1568
.LBB24_1566:
	s_mov_b32 s0, -1
                                        ; implicit-def: $vgpr6
.LBB24_1567:
	s_mov_b32 s6, 0
.LBB24_1568:
	s_delay_alu instid0(SALU_CYCLE_1)
	s_and_b32 vcc_lo, exec_lo, s6
	s_cbranch_vccz .LBB24_1586
; %bb.1569:
	v_cmp_gt_i16_e32 vcc_lo, 27, v9
	s_cbranch_vccnz .LBB24_1572
; %bb.1570:
	v_cmp_lt_i16_e32 vcc_lo, 27, v9
	s_cbranch_vccz .LBB24_1573
; %bb.1571:
	global_load_b32 v6, v[4:5], off
	s_mov_b32 s3, 0
	s_waitcnt vmcnt(0)
	v_cvt_f32_u32_e32 v6, v6
	s_delay_alu instid0(VALU_DEP_1)
	v_cvt_f16_f32_e32 v6, v6
	s_branch .LBB24_1574
.LBB24_1572:
	s_mov_b32 s3, -1
                                        ; implicit-def: $vgpr6
	s_branch .LBB24_1577
.LBB24_1573:
	s_mov_b32 s3, -1
                                        ; implicit-def: $vgpr6
.LBB24_1574:
	s_delay_alu instid0(SALU_CYCLE_1)
	s_and_not1_b32 vcc_lo, exec_lo, s3
	s_cbranch_vccnz .LBB24_1576
; %bb.1575:
	global_load_u16 v6, v[4:5], off
	s_waitcnt vmcnt(0)
	v_cvt_f16_u16_e32 v6, v6
.LBB24_1576:
	s_mov_b32 s3, 0
.LBB24_1577:
	s_delay_alu instid0(SALU_CYCLE_1)
	s_and_not1_b32 vcc_lo, exec_lo, s3
	s_cbranch_vccnz .LBB24_1585
; %bb.1578:
	global_load_u8 v17, v[4:5], off
	s_mov_b32 s3, 0
	s_mov_b32 s7, exec_lo
                                        ; implicit-def: $sgpr6
	s_waitcnt vmcnt(0)
	v_cmpx_lt_i16_e32 0x7f, v17
	s_xor_b32 s7, exec_lo, s7
	s_cbranch_execz .LBB24_1599
; %bb.1579:
	s_mov_b32 s3, -1
	s_mov_b32 s14, exec_lo
                                        ; implicit-def: $sgpr6
	v_cmpx_eq_u16_e32 0x80, v17
; %bb.1580:
	s_movk_i32 s6, 0x7e00
	s_xor_b32 s3, exec_lo, -1
; %bb.1581:
	s_or_b32 exec_lo, exec_lo, s14
	s_delay_alu instid0(SALU_CYCLE_1)
	s_and_b32 s3, s3, exec_lo
	s_or_saveexec_b32 s7, s7
	v_mov_b32_e32 v6, s6
	s_xor_b32 exec_lo, exec_lo, s7
	s_cbranch_execnz .LBB24_1600
.LBB24_1582:
	s_or_b32 exec_lo, exec_lo, s7
	s_and_saveexec_b32 s6, s3
	s_cbranch_execz .LBB24_1584
.LBB24_1583:
	v_and_b32_e32 v6, 0xffff, v17
	s_delay_alu instid0(VALU_DEP_1) | instskip(NEXT) | instid1(VALU_DEP_1)
	v_and_b32_e32 v18, 7, v6
	v_clz_i32_u32_e32 v19, v18
	s_delay_alu instid0(VALU_DEP_1) | instskip(NEXT) | instid1(VALU_DEP_1)
	v_min_u32_e32 v19, 32, v19
	v_subrev_nc_u32_e32 v20, 28, v19
	v_sub_nc_u32_e32 v19, 29, v19
	s_delay_alu instid0(VALU_DEP_2) | instskip(SKIP_1) | instid1(VALU_DEP_2)
	v_lshlrev_b32_e32 v20, v20, v6
	v_bfe_u32 v6, v6, 3, 4
	v_and_b32_e32 v20, 7, v20
	s_delay_alu instid0(VALU_DEP_2) | instskip(SKIP_1) | instid1(VALU_DEP_1)
	v_cmp_eq_u32_e32 vcc_lo, 0, v6
	v_dual_cndmask_b32 v6, v6, v19 :: v_dual_lshlrev_b32 v17, 24, v17
	v_dual_cndmask_b32 v18, v18, v20 :: v_dual_and_b32 v17, 0x80000000, v17
	s_delay_alu instid0(VALU_DEP_2) | instskip(NEXT) | instid1(VALU_DEP_2)
	v_lshl_add_u32 v6, v6, 23, 0x3b800000
	v_lshlrev_b32_e32 v18, 20, v18
	s_delay_alu instid0(VALU_DEP_1) | instskip(NEXT) | instid1(VALU_DEP_1)
	v_or3_b32 v6, v17, v6, v18
	v_cvt_f16_f32_e32 v6, v6
.LBB24_1584:
	s_or_b32 exec_lo, exec_lo, s6
.LBB24_1585:
	s_mov_b32 s3, -1
.LBB24_1586:
	s_mov_b32 s6, 0
.LBB24_1587:
	s_delay_alu instid0(SALU_CYCLE_1)
	s_and_b32 vcc_lo, exec_lo, s6
	s_cbranch_vccz .LBB24_1620
; %bb.1588:
	v_cmp_lt_i16_e32 vcc_lo, 22, v9
	s_cbranch_vccz .LBB24_1598
; %bb.1589:
	v_cmp_gt_i16_e32 vcc_lo, 24, v9
	s_cbranch_vccnz .LBB24_1601
; %bb.1590:
	v_cmp_lt_i16_e32 vcc_lo, 24, v9
	s_cbranch_vccz .LBB24_1602
; %bb.1591:
	global_load_u8 v17, v[4:5], off
	s_mov_b32 s6, exec_lo
                                        ; implicit-def: $sgpr3
	s_waitcnt vmcnt(0)
	v_cmpx_lt_i16_e32 0x7f, v17
	s_xor_b32 s6, exec_lo, s6
	s_cbranch_execz .LBB24_1614
; %bb.1592:
	s_mov_b32 s2, -1
	s_mov_b32 s7, exec_lo
                                        ; implicit-def: $sgpr3
	v_cmpx_eq_u16_e32 0x80, v17
; %bb.1593:
	s_movk_i32 s3, 0x7e00
	s_xor_b32 s2, exec_lo, -1
; %bb.1594:
	s_or_b32 exec_lo, exec_lo, s7
	s_delay_alu instid0(SALU_CYCLE_1)
	s_and_b32 s2, s2, exec_lo
	s_or_saveexec_b32 s6, s6
	v_mov_b32_e32 v6, s3
	s_xor_b32 exec_lo, exec_lo, s6
	s_cbranch_execnz .LBB24_1615
.LBB24_1595:
	s_or_b32 exec_lo, exec_lo, s6
	s_and_saveexec_b32 s3, s2
	s_cbranch_execz .LBB24_1597
.LBB24_1596:
	v_and_b32_e32 v6, 0xffff, v17
	s_delay_alu instid0(VALU_DEP_1) | instskip(NEXT) | instid1(VALU_DEP_1)
	v_and_b32_e32 v18, 3, v6
	v_clz_i32_u32_e32 v19, v18
	s_delay_alu instid0(VALU_DEP_1) | instskip(NEXT) | instid1(VALU_DEP_1)
	v_min_u32_e32 v19, 32, v19
	v_subrev_nc_u32_e32 v20, 29, v19
	v_sub_nc_u32_e32 v19, 30, v19
	s_delay_alu instid0(VALU_DEP_2) | instskip(SKIP_1) | instid1(VALU_DEP_2)
	v_lshlrev_b32_e32 v20, v20, v6
	v_bfe_u32 v6, v6, 2, 5
	v_and_b32_e32 v20, 3, v20
	s_delay_alu instid0(VALU_DEP_2) | instskip(SKIP_1) | instid1(VALU_DEP_1)
	v_cmp_eq_u32_e32 vcc_lo, 0, v6
	v_dual_cndmask_b32 v6, v6, v19 :: v_dual_lshlrev_b32 v17, 24, v17
	v_dual_cndmask_b32 v18, v18, v20 :: v_dual_and_b32 v17, 0x80000000, v17
	s_delay_alu instid0(VALU_DEP_2) | instskip(NEXT) | instid1(VALU_DEP_2)
	v_lshl_add_u32 v6, v6, 23, 0x37800000
	v_lshlrev_b32_e32 v18, 21, v18
	s_delay_alu instid0(VALU_DEP_1) | instskip(NEXT) | instid1(VALU_DEP_1)
	v_or3_b32 v6, v17, v6, v18
	v_cvt_f16_f32_e32 v6, v6
.LBB24_1597:
	s_or_b32 exec_lo, exec_lo, s3
	s_mov_b32 s2, 0
	s_branch .LBB24_1603
.LBB24_1598:
	s_mov_b32 s2, -1
                                        ; implicit-def: $vgpr6
	s_branch .LBB24_1609
.LBB24_1599:
	s_or_saveexec_b32 s7, s7
	v_mov_b32_e32 v6, s6
	s_xor_b32 exec_lo, exec_lo, s7
	s_cbranch_execz .LBB24_1582
.LBB24_1600:
	v_cmp_ne_u16_e32 vcc_lo, 0, v17
	v_mov_b32_e32 v6, v17
	s_and_not1_b32 s3, s3, exec_lo
	s_and_b32 s6, vcc_lo, exec_lo
	s_delay_alu instid0(SALU_CYCLE_1)
	s_or_b32 s3, s3, s6
	s_or_b32 exec_lo, exec_lo, s7
	s_and_saveexec_b32 s6, s3
	s_cbranch_execnz .LBB24_1583
	s_branch .LBB24_1584
.LBB24_1601:
	s_mov_b32 s2, -1
                                        ; implicit-def: $vgpr6
	s_branch .LBB24_1606
.LBB24_1602:
	s_mov_b32 s2, -1
                                        ; implicit-def: $vgpr6
.LBB24_1603:
	s_delay_alu instid0(SALU_CYCLE_1)
	s_and_b32 vcc_lo, exec_lo, s2
	s_cbranch_vccz .LBB24_1605
; %bb.1604:
	global_load_u8 v6, v[4:5], off
	s_waitcnt vmcnt(0)
	v_lshlrev_b32_e32 v6, 24, v6
	s_delay_alu instid0(VALU_DEP_1) | instskip(NEXT) | instid1(VALU_DEP_1)
	v_and_b32_e32 v17, 0x7f000000, v6
	v_clz_i32_u32_e32 v18, v17
	v_cmp_ne_u32_e32 vcc_lo, 0, v17
	v_add_nc_u32_e32 v20, 0x1000000, v17
	s_delay_alu instid0(VALU_DEP_3) | instskip(NEXT) | instid1(VALU_DEP_1)
	v_min_u32_e32 v18, 32, v18
	v_sub_nc_u32_e64 v18, v18, 4 clamp
	s_delay_alu instid0(VALU_DEP_1) | instskip(SKIP_1) | instid1(VALU_DEP_2)
	v_lshlrev_b32_e32 v19, v18, v17
	v_lshlrev_b32_e32 v18, 23, v18
	v_lshrrev_b32_e32 v19, 4, v19
	s_delay_alu instid0(VALU_DEP_1) | instskip(SKIP_1) | instid1(VALU_DEP_2)
	v_sub_nc_u32_e32 v18, v19, v18
	v_ashrrev_i32_e32 v19, 8, v20
	v_add_nc_u32_e32 v18, 0x3c000000, v18
	s_delay_alu instid0(VALU_DEP_1) | instskip(NEXT) | instid1(VALU_DEP_1)
	v_and_or_b32 v18, 0x7f800000, v19, v18
	v_cndmask_b32_e32 v17, 0, v18, vcc_lo
	s_delay_alu instid0(VALU_DEP_1) | instskip(NEXT) | instid1(VALU_DEP_1)
	v_and_or_b32 v6, 0x80000000, v6, v17
	v_cvt_f16_f32_e32 v6, v6
.LBB24_1605:
	s_mov_b32 s2, 0
.LBB24_1606:
	s_delay_alu instid0(SALU_CYCLE_1)
	s_and_not1_b32 vcc_lo, exec_lo, s2
	s_cbranch_vccnz .LBB24_1608
; %bb.1607:
	global_load_u8 v6, v[4:5], off
	s_waitcnt vmcnt(0)
	v_lshlrev_b32_e32 v17, 25, v6
	v_lshlrev_b16 v6, 8, v6
	s_delay_alu instid0(VALU_DEP_2) | instskip(NEXT) | instid1(VALU_DEP_2)
	v_lshrrev_b32_e32 v18, 4, v17
	v_and_or_b32 v19, 0x7f00, v6, 0.5
	v_cmp_gt_u32_e32 vcc_lo, 0x8000000, v17
	v_bfe_i32 v6, v6, 0, 16
	s_delay_alu instid0(VALU_DEP_4) | instskip(NEXT) | instid1(VALU_DEP_1)
	v_or_b32_e32 v18, 0x70000000, v18
	v_dual_add_f32 v19, -0.5, v19 :: v_dual_mul_f32 v18, 0x7800000, v18
	s_delay_alu instid0(VALU_DEP_1) | instskip(NEXT) | instid1(VALU_DEP_1)
	v_cndmask_b32_e32 v17, v18, v19, vcc_lo
	v_and_or_b32 v6, 0x80000000, v6, v17
	s_delay_alu instid0(VALU_DEP_1)
	v_cvt_f16_f32_e32 v6, v6
.LBB24_1608:
	s_mov_b32 s2, 0
	s_mov_b32 s3, -1
.LBB24_1609:
	s_and_not1_b32 vcc_lo, exec_lo, s2
	s_mov_b32 s2, 0
	s_cbranch_vccnz .LBB24_1620
; %bb.1610:
	v_cmp_lt_i16_e32 vcc_lo, 14, v9
	s_cbranch_vccz .LBB24_1613
; %bb.1611:
	v_cmp_eq_u16_e32 vcc_lo, 15, v9
	s_cbranch_vccz .LBB24_1616
; %bb.1612:
	global_load_u16 v6, v[4:5], off
	s_mov_b32 s0, 0
	s_mov_b32 s3, -1
	s_waitcnt vmcnt(0)
	v_lshlrev_b32_e32 v6, 16, v6
	s_delay_alu instid0(VALU_DEP_1)
	v_cvt_f16_f32_e32 v6, v6
	s_branch .LBB24_1618
.LBB24_1613:
	s_mov_b32 s2, -1
	s_branch .LBB24_1617
.LBB24_1614:
	s_or_saveexec_b32 s6, s6
	v_mov_b32_e32 v6, s3
	s_xor_b32 exec_lo, exec_lo, s6
	s_cbranch_execz .LBB24_1595
.LBB24_1615:
	v_cmp_ne_u16_e32 vcc_lo, 0, v17
	v_mov_b32_e32 v6, v17
	s_and_not1_b32 s2, s2, exec_lo
	s_and_b32 s3, vcc_lo, exec_lo
	s_delay_alu instid0(SALU_CYCLE_1)
	s_or_b32 s2, s2, s3
	s_or_b32 exec_lo, exec_lo, s6
	s_and_saveexec_b32 s3, s2
	s_cbranch_execnz .LBB24_1596
	s_branch .LBB24_1597
.LBB24_1616:
	s_mov_b32 s0, -1
.LBB24_1617:
                                        ; implicit-def: $vgpr6
.LBB24_1618:
	s_and_b32 vcc_lo, exec_lo, s2
	s_mov_b32 s2, 0
	s_cbranch_vccz .LBB24_1620
; %bb.1619:
	v_cmp_ne_u16_e64 s0, 11, v9
	s_mov_b32 s2, -1
                                        ; implicit-def: $vgpr6
.LBB24_1620:
	s_delay_alu instid0(VALU_DEP_1)
	s_and_b32 vcc_lo, exec_lo, s0
	s_cbranch_vccnz .LBB24_1685
; %bb.1621:
	s_and_not1_b32 vcc_lo, exec_lo, s2
	s_cbranch_vccnz .LBB24_1623
.LBB24_1622:
	global_load_u8 v6, v[4:5], off
	s_mov_b32 s3, -1
	s_waitcnt vmcnt(0)
	v_cmp_ne_u16_e32 vcc_lo, 0, v6
	v_cndmask_b32_e64 v6, 0, 0x3c00, vcc_lo
.LBB24_1623:
	s_mov_b32 s0, 0
.LBB24_1624:
	s_delay_alu instid0(SALU_CYCLE_1)
	s_and_b32 vcc_lo, exec_lo, s0
	s_cbranch_vccz .LBB24_1673
; %bb.1625:
	v_cmp_gt_i16_e32 vcc_lo, 5, v9
	s_cbranch_vccnz .LBB24_1630
; %bb.1626:
	v_cmp_gt_i16_e32 vcc_lo, 8, v9
	s_cbranch_vccnz .LBB24_1631
	;; [unrolled: 3-line block ×3, first 2 shown]
; %bb.1628:
	v_cmp_lt_i16_e32 vcc_lo, 9, v9
	s_cbranch_vccz .LBB24_1633
; %bb.1629:
	global_load_b64 v[17:18], v[4:5], off
	s_mov_b32 s0, 0
	s_waitcnt vmcnt(0)
	v_cvt_f32_f64_e32 v6, v[17:18]
	s_delay_alu instid0(VALU_DEP_1)
	v_cvt_f16_f32_e32 v6, v6
	s_branch .LBB24_1634
.LBB24_1630:
	s_mov_b32 s0, -1
                                        ; implicit-def: $vgpr6
	s_branch .LBB24_1652
.LBB24_1631:
	s_mov_b32 s0, -1
                                        ; implicit-def: $vgpr6
	s_branch .LBB24_1640
.LBB24_1632:
	s_mov_b32 s0, -1
                                        ; implicit-def: $vgpr6
	s_branch .LBB24_1637
.LBB24_1633:
	s_mov_b32 s0, -1
                                        ; implicit-def: $vgpr6
.LBB24_1634:
	s_delay_alu instid0(SALU_CYCLE_1)
	s_and_not1_b32 vcc_lo, exec_lo, s0
	s_cbranch_vccnz .LBB24_1636
; %bb.1635:
	global_load_b32 v6, v[4:5], off
	s_waitcnt vmcnt(0)
	v_cvt_f16_f32_e32 v6, v6
.LBB24_1636:
	s_mov_b32 s0, 0
.LBB24_1637:
	s_delay_alu instid0(SALU_CYCLE_1)
	s_and_not1_b32 vcc_lo, exec_lo, s0
	s_cbranch_vccnz .LBB24_1639
; %bb.1638:
	global_load_b32 v6, v[4:5], off
.LBB24_1639:
	s_mov_b32 s0, 0
.LBB24_1640:
	s_delay_alu instid0(SALU_CYCLE_1)
	s_and_not1_b32 vcc_lo, exec_lo, s0
	s_cbranch_vccnz .LBB24_1651
; %bb.1641:
	v_cmp_gt_i16_e32 vcc_lo, 6, v9
	s_cbranch_vccnz .LBB24_1644
; %bb.1642:
	v_cmp_lt_i16_e32 vcc_lo, 6, v9
	s_cbranch_vccz .LBB24_1645
; %bb.1643:
	global_load_b64 v[17:18], v[4:5], off
	s_mov_b32 s0, 0
	s_waitcnt vmcnt(0)
	v_cvt_f32_f64_e32 v6, v[17:18]
	s_delay_alu instid0(VALU_DEP_1)
	v_cvt_f16_f32_e32 v6, v6
	s_branch .LBB24_1646
.LBB24_1644:
	s_mov_b32 s0, -1
                                        ; implicit-def: $vgpr6
	s_branch .LBB24_1649
.LBB24_1645:
	s_mov_b32 s0, -1
                                        ; implicit-def: $vgpr6
.LBB24_1646:
	s_delay_alu instid0(SALU_CYCLE_1)
	s_and_not1_b32 vcc_lo, exec_lo, s0
	s_cbranch_vccnz .LBB24_1648
; %bb.1647:
	global_load_b32 v6, v[4:5], off
	s_waitcnt vmcnt(0)
	v_cvt_f16_f32_e32 v6, v6
.LBB24_1648:
	s_mov_b32 s0, 0
.LBB24_1649:
	s_delay_alu instid0(SALU_CYCLE_1)
	s_and_not1_b32 vcc_lo, exec_lo, s0
	s_cbranch_vccnz .LBB24_1651
; %bb.1650:
	global_load_u16 v6, v[4:5], off
.LBB24_1651:
	s_mov_b32 s0, 0
.LBB24_1652:
	s_delay_alu instid0(SALU_CYCLE_1)
	s_and_not1_b32 vcc_lo, exec_lo, s0
	s_cbranch_vccnz .LBB24_1672
; %bb.1653:
	v_cmp_gt_i16_e32 vcc_lo, 2, v9
	s_cbranch_vccnz .LBB24_1657
; %bb.1654:
	v_cmp_gt_i16_e32 vcc_lo, 3, v9
	s_cbranch_vccnz .LBB24_1658
; %bb.1655:
	v_cmp_lt_i16_e32 vcc_lo, 3, v9
	s_cbranch_vccz .LBB24_1659
; %bb.1656:
	global_load_b64 v[17:18], v[4:5], off
	s_mov_b32 s0, 0
	s_waitcnt vmcnt(0)
	v_xor_b32_e32 v6, v17, v18
	v_cls_i32_e32 v19, v18
	s_delay_alu instid0(VALU_DEP_2) | instskip(NEXT) | instid1(VALU_DEP_2)
	v_ashrrev_i32_e32 v6, 31, v6
	v_add_nc_u32_e32 v19, -1, v19
	s_delay_alu instid0(VALU_DEP_2) | instskip(NEXT) | instid1(VALU_DEP_1)
	v_add_nc_u32_e32 v6, 32, v6
	v_min_u32_e32 v6, v19, v6
	s_delay_alu instid0(VALU_DEP_1) | instskip(SKIP_1) | instid1(VALU_DEP_2)
	v_lshlrev_b64 v[17:18], v6, v[17:18]
	v_sub_nc_u32_e32 v6, 32, v6
	v_min_u32_e32 v17, 1, v17
	s_delay_alu instid0(VALU_DEP_1) | instskip(NEXT) | instid1(VALU_DEP_1)
	v_or_b32_e32 v17, v18, v17
	v_cvt_f32_i32_e32 v17, v17
	s_delay_alu instid0(VALU_DEP_1) | instskip(NEXT) | instid1(VALU_DEP_1)
	v_ldexp_f32 v6, v17, v6
	v_cvt_f16_f32_e32 v6, v6
	s_branch .LBB24_1660
.LBB24_1657:
	s_mov_b32 s0, -1
                                        ; implicit-def: $vgpr6
	s_branch .LBB24_1666
.LBB24_1658:
	s_mov_b32 s0, -1
                                        ; implicit-def: $vgpr6
	s_branch .LBB24_1663
.LBB24_1659:
	s_mov_b32 s0, -1
                                        ; implicit-def: $vgpr6
.LBB24_1660:
	s_delay_alu instid0(SALU_CYCLE_1)
	s_and_not1_b32 vcc_lo, exec_lo, s0
	s_cbranch_vccnz .LBB24_1662
; %bb.1661:
	global_load_b32 v6, v[4:5], off
	s_waitcnt vmcnt(0)
	v_cvt_f32_i32_e32 v6, v6
	s_delay_alu instid0(VALU_DEP_1)
	v_cvt_f16_f32_e32 v6, v6
.LBB24_1662:
	s_mov_b32 s0, 0
.LBB24_1663:
	s_delay_alu instid0(SALU_CYCLE_1)
	s_and_not1_b32 vcc_lo, exec_lo, s0
	s_cbranch_vccnz .LBB24_1665
; %bb.1664:
	global_load_u16 v6, v[4:5], off
	s_waitcnt vmcnt(0)
	v_cvt_f16_i16_e32 v6, v6
.LBB24_1665:
	s_mov_b32 s0, 0
.LBB24_1666:
	s_delay_alu instid0(SALU_CYCLE_1)
	s_and_not1_b32 vcc_lo, exec_lo, s0
	s_cbranch_vccnz .LBB24_1672
; %bb.1667:
	v_cmp_lt_i16_e32 vcc_lo, 0, v9
	s_mov_b32 s0, 0
	s_cbranch_vccz .LBB24_1669
; %bb.1668:
	global_load_i8 v6, v[4:5], off
	s_waitcnt vmcnt(0)
	v_cvt_f16_i16_e32 v6, v6
	s_branch .LBB24_1670
.LBB24_1669:
	s_mov_b32 s0, -1
                                        ; implicit-def: $vgpr6
.LBB24_1670:
	s_delay_alu instid0(SALU_CYCLE_1)
	s_and_not1_b32 vcc_lo, exec_lo, s0
	s_cbranch_vccnz .LBB24_1672
; %bb.1671:
	global_load_u8 v4, v[4:5], off
	s_waitcnt vmcnt(0)
	v_cvt_f16_u16_e32 v6, v4
.LBB24_1672:
	s_mov_b32 s3, -1
.LBB24_1673:
	s_delay_alu instid0(SALU_CYCLE_1)
	s_and_not1_b32 vcc_lo, exec_lo, s3
	s_cbranch_vccnz .LBB24_2065
; %bb.1674:
	s_waitcnt vmcnt(0)
	v_cvt_f32_f16_e32 v9, v6
	v_mov_b32_e32 v5, v15
	s_mov_b32 s0, exec_lo
	s_delay_alu instid0(VALU_DEP_2)
	v_cmpx_nlg_f32_e64 0x7f800000, |v9|
	s_cbranch_execz .LBB24_1676
; %bb.1675:
	v_dual_mov_b32 v4, 0 :: v_dual_mov_b32 v5, 1.0
	global_store_b32 v4, v5, s[8:9]
	global_load_b32 v5, v4, s[10:11]
.LBB24_1676:
	s_or_b32 exec_lo, exec_lo, s0
	s_load_b32 s0, s[20:21], 0x168
	v_fma_mixlo_f16 v4, v12, v11, 0
	v_cmp_eq_f32_e32 vcc_lo, 1.0, v12
	v_add_co_u32 v3, s3, s4, v3
	s_mov_b32 s6, 0
	s_delay_alu instid0(VALU_DEP_3) | instskip(SKIP_3) | instid1(SALU_CYCLE_1)
	v_cndmask_b32_e32 v10, v4, v10, vcc_lo
	v_add_co_ci_u32_e64 v4, null, s5, 0, s3
	s_waitcnt lgkmcnt(0)
	s_and_b32 s2, s0, 0xff
	v_cmp_lt_i16_e64 s0, s2, 11
	s_delay_alu instid0(VALU_DEP_1)
	s_and_b32 vcc_lo, exec_lo, s0
	s_mov_b32 s0, -1
	s_cbranch_vccnz .LBB24_1759
; %bb.1677:
	v_cmp_gt_i16_e64 s0, s2, 25
	s_mov_b32 s7, -1
	s_mov_b32 s3, 0
	s_delay_alu instid0(VALU_DEP_1)
	s_and_b32 vcc_lo, exec_lo, s0
	s_mov_b32 s0, 0
	s_cbranch_vccz .LBB24_1715
; %bb.1678:
	v_cmp_gt_i16_e64 s0, s2, 28
	s_delay_alu instid0(VALU_DEP_1)
	s_and_b32 vcc_lo, exec_lo, s0
	s_cbranch_vccz .LBB24_1683
; %bb.1679:
	v_cmp_gt_i16_e64 s0, s2, 43
	s_delay_alu instid0(VALU_DEP_1)
	s_and_b32 vcc_lo, exec_lo, s0
	;; [unrolled: 5-line block ×3, first 2 shown]
	s_cbranch_vccz .LBB24_1687
; %bb.1681:
	v_cmp_eq_u16_e64 s6, s2, 46
	s_mov_b32 s0, -1
	s_mov_b32 s7, 0
	s_delay_alu instid0(VALU_DEP_1)
	s_and_b32 vcc_lo, exec_lo, s6
	s_mov_b32 s6, 0
	s_cbranch_vccz .LBB24_1688
; %bb.1682:
	v_cvt_f32_f16_e32 v11, v10
	v_cmp_o_f16_e32 vcc_lo, v10, v10
	s_mov_b32 s0, 0
	s_mov_b32 s6, -1
	s_delay_alu instid0(VALU_DEP_2) | instskip(NEXT) | instid1(VALU_DEP_1)
	v_bfe_u32 v12, v11, 16, 1
	v_add3_u32 v11, v11, v12, 0x7fff
	s_delay_alu instid0(VALU_DEP_1) | instskip(NEXT) | instid1(VALU_DEP_1)
	v_lshrrev_b32_e32 v11, 16, v11
	v_cndmask_b32_e32 v11, 0x7fc0, v11, vcc_lo
	global_store_b32 v[3:4], v11, off
	s_branch .LBB24_1688
.LBB24_1683:
	s_mov_b32 s0, 0
	s_branch .LBB24_1698
.LBB24_1684:
	s_mov_b32 s0, 0
	s_branch .LBB24_1694
.LBB24_1685:
	s_cbranch_execnz .LBB24_1810
; %bb.1686:
	s_or_b32 s1, s1, exec_lo
                                        ; implicit-def: $vgpr6
	s_cbranch_execz .LBB24_1622
	s_branch .LBB24_1623
.LBB24_1687:
	s_mov_b32 s0, 0
.LBB24_1688:
	s_and_b32 vcc_lo, exec_lo, s7
	s_cbranch_vccz .LBB24_1693
; %bb.1689:
	v_cmp_eq_u16_e64 s0, s2, 44
	s_delay_alu instid0(VALU_DEP_1)
	s_and_b32 vcc_lo, exec_lo, s0
	s_mov_b32 s0, -1
	s_cbranch_vccz .LBB24_1693
; %bb.1690:
	v_cvt_f32_f16_e32 v11, v10
	v_mov_b32_e32 v12, 0xff
	s_mov_b32 s6, exec_lo
	s_delay_alu instid0(VALU_DEP_2) | instskip(NEXT) | instid1(VALU_DEP_1)
	v_bfe_u32 v17, v11, 23, 8
	v_cmpx_ne_u32_e32 0xff, v17
; %bb.1691:
	v_and_b32_e32 v12, 0x400000, v11
	v_and_or_b32 v17, 0x3fffff, v11, v17
	v_lshrrev_b32_e32 v11, 23, v11
	s_delay_alu instid0(VALU_DEP_3) | instskip(NEXT) | instid1(VALU_DEP_3)
	v_cmp_ne_u32_e32 vcc_lo, 0, v12
	v_cmp_ne_u32_e64 s0, 0, v17
	s_delay_alu instid0(VALU_DEP_1) | instskip(NEXT) | instid1(SALU_CYCLE_1)
	s_and_b32 s0, vcc_lo, s0
	v_cndmask_b32_e64 v12, 0, 1, s0
	s_delay_alu instid0(VALU_DEP_1)
	v_add_nc_u32_e32 v12, v11, v12
; %bb.1692:
	s_or_b32 exec_lo, exec_lo, s6
	s_mov_b32 s0, 0
	s_mov_b32 s6, -1
	global_store_b8 v[3:4], v12, off
.LBB24_1693:
	s_mov_b32 s7, 0
.LBB24_1694:
	s_delay_alu instid0(SALU_CYCLE_1)
	s_and_b32 vcc_lo, exec_lo, s7
	s_cbranch_vccz .LBB24_1697
; %bb.1695:
	v_cmp_eq_u16_e64 s0, s2, 29
	s_delay_alu instid0(VALU_DEP_1)
	s_and_b32 vcc_lo, exec_lo, s0
	s_mov_b32 s0, -1
	s_cbranch_vccz .LBB24_1697
; %bb.1696:
	v_cvt_f32_f16_e32 v11, v10
	v_mov_b32_e32 v12, 0
	s_mov_b32 s0, 0
	s_mov_b32 s6, -1
	s_mov_b32 s7, 0
	v_cvt_u32_f32_e32 v11, v11
	global_store_b64 v[3:4], v[11:12], off
	s_branch .LBB24_1698
.LBB24_1697:
	s_mov_b32 s7, 0
.LBB24_1698:
	s_delay_alu instid0(SALU_CYCLE_1)
	s_and_b32 vcc_lo, exec_lo, s7
	s_cbranch_vccz .LBB24_1714
; %bb.1699:
	v_cmp_lt_i16_e64 s6, s2, 27
	s_delay_alu instid0(VALU_DEP_1)
	s_and_b32 vcc_lo, exec_lo, s6
	s_mov_b32 s6, -1
	s_cbranch_vccnz .LBB24_1705
; %bb.1700:
	v_cmp_gt_i16_e64 s6, s2, 27
	s_delay_alu instid0(VALU_DEP_1)
	s_and_b32 vcc_lo, exec_lo, s6
	s_mov_b32 s6, -1
	s_cbranch_vccz .LBB24_1702
; %bb.1701:
	v_cvt_f32_f16_e32 v11, v10
	s_mov_b32 s6, 0
	s_delay_alu instid0(VALU_DEP_1)
	v_cvt_u32_f32_e32 v11, v11
	global_store_b32 v[3:4], v11, off
.LBB24_1702:
	s_and_not1_b32 vcc_lo, exec_lo, s6
	s_cbranch_vccnz .LBB24_1704
; %bb.1703:
	v_cvt_u16_f16_e32 v11, v10
	global_store_b16 v[3:4], v11, off
.LBB24_1704:
	s_mov_b32 s6, 0
.LBB24_1705:
	s_delay_alu instid0(SALU_CYCLE_1)
	s_and_not1_b32 vcc_lo, exec_lo, s6
	s_cbranch_vccnz .LBB24_1713
; %bb.1706:
	v_cvt_f32_f16_e32 v11, v10
	v_mov_b32_e32 v17, 0x80
	s_mov_b32 s6, exec_lo
	s_delay_alu instid0(VALU_DEP_2) | instskip(NEXT) | instid1(VALU_DEP_1)
	v_and_b32_e32 v12, 0x7fffffff, v11
	v_cmpx_gt_u32_e32 0x43800000, v12
	s_cbranch_execz .LBB24_1712
; %bb.1707:
	v_cmp_lt_u32_e32 vcc_lo, 0x3bffffff, v12
	s_mov_b32 s7, 0
                                        ; implicit-def: $vgpr12
	s_and_saveexec_b32 s8, vcc_lo
	s_delay_alu instid0(SALU_CYCLE_1)
	s_xor_b32 s8, exec_lo, s8
	s_cbranch_execz .LBB24_1807
; %bb.1708:
	v_bfe_u32 v12, v11, 20, 1
	s_mov_b32 s7, exec_lo
	s_delay_alu instid0(VALU_DEP_1) | instskip(NEXT) | instid1(VALU_DEP_1)
	v_add3_u32 v12, v11, v12, 0x487ffff
	v_lshrrev_b32_e32 v12, 20, v12
	s_or_saveexec_b32 s8, s8
                                        ; implicit-def: $sgpr9
	s_delay_alu instid0(SALU_CYCLE_1)
	s_xor_b32 exec_lo, exec_lo, s8
	s_cbranch_execnz .LBB24_1808
.LBB24_1709:
	s_or_b32 exec_lo, exec_lo, s8
	v_mov_b32_e32 v17, s9
	s_and_saveexec_b32 s8, s7
.LBB24_1710:
	v_lshrrev_b32_e32 v11, 24, v11
	s_delay_alu instid0(VALU_DEP_1)
	v_and_or_b32 v17, 0x80, v11, v12
.LBB24_1711:
	s_or_b32 exec_lo, exec_lo, s8
.LBB24_1712:
	s_delay_alu instid0(SALU_CYCLE_1)
	s_or_b32 exec_lo, exec_lo, s6
	global_store_b8 v[3:4], v17, off
.LBB24_1713:
	s_mov_b32 s6, -1
.LBB24_1714:
	s_mov_b32 s7, 0
.LBB24_1715:
	s_delay_alu instid0(SALU_CYCLE_1)
	s_and_b32 vcc_lo, exec_lo, s7
	s_cbranch_vccz .LBB24_1755
; %bb.1716:
	v_cmp_gt_i16_e64 s3, s2, 22
	s_delay_alu instid0(VALU_DEP_1)
	s_and_b32 vcc_lo, exec_lo, s3
	s_mov_b32 s3, -1
	s_cbranch_vccz .LBB24_1748
; %bb.1717:
	v_cmp_lt_i16_e64 s3, s2, 24
	s_delay_alu instid0(VALU_DEP_1)
	s_and_b32 vcc_lo, exec_lo, s3
	s_mov_b32 s3, -1
	s_cbranch_vccnz .LBB24_1737
; %bb.1718:
	v_cmp_gt_i16_e64 s3, s2, 24
	s_delay_alu instid0(VALU_DEP_1)
	s_and_b32 vcc_lo, exec_lo, s3
	s_mov_b32 s3, -1
	s_cbranch_vccz .LBB24_1726
; %bb.1719:
	v_cvt_f32_f16_e32 v11, v10
	v_mov_b32_e32 v17, 0x80
	s_mov_b32 s3, exec_lo
	s_delay_alu instid0(VALU_DEP_2) | instskip(NEXT) | instid1(VALU_DEP_1)
	v_and_b32_e32 v12, 0x7fffffff, v11
	v_cmpx_gt_u32_e32 0x47800000, v12
	s_cbranch_execz .LBB24_1725
; %bb.1720:
	v_cmp_lt_u32_e32 vcc_lo, 0x37ffffff, v12
	s_mov_b32 s6, 0
                                        ; implicit-def: $vgpr12
	s_and_saveexec_b32 s7, vcc_lo
	s_delay_alu instid0(SALU_CYCLE_1)
	s_xor_b32 s7, exec_lo, s7
	s_cbranch_execz .LBB24_1814
; %bb.1721:
	v_bfe_u32 v12, v11, 21, 1
	s_mov_b32 s6, exec_lo
	s_delay_alu instid0(VALU_DEP_1) | instskip(NEXT) | instid1(VALU_DEP_1)
	v_add3_u32 v12, v11, v12, 0x88fffff
	v_lshrrev_b32_e32 v12, 21, v12
	s_or_saveexec_b32 s7, s7
                                        ; implicit-def: $sgpr8
	s_delay_alu instid0(SALU_CYCLE_1)
	s_xor_b32 exec_lo, exec_lo, s7
	s_cbranch_execnz .LBB24_1815
.LBB24_1722:
	s_or_b32 exec_lo, exec_lo, s7
	v_mov_b32_e32 v17, s8
	s_and_saveexec_b32 s7, s6
.LBB24_1723:
	v_lshrrev_b32_e32 v11, 24, v11
	s_delay_alu instid0(VALU_DEP_1)
	v_and_or_b32 v17, 0x80, v11, v12
.LBB24_1724:
	s_or_b32 exec_lo, exec_lo, s7
.LBB24_1725:
	s_delay_alu instid0(SALU_CYCLE_1)
	s_or_b32 exec_lo, exec_lo, s3
	s_mov_b32 s3, 0
	global_store_b8 v[3:4], v17, off
.LBB24_1726:
	s_and_b32 vcc_lo, exec_lo, s3
	s_cbranch_vccz .LBB24_1736
; %bb.1727:
	v_cvt_f32_f16_e32 v11, v10
	s_mov_b32 s3, exec_lo
                                        ; implicit-def: $vgpr12
	s_delay_alu instid0(VALU_DEP_1) | instskip(NEXT) | instid1(VALU_DEP_1)
	v_and_b32_e32 v17, 0x7fffffff, v11
	v_cmpx_gt_u32_e32 0x43f00000, v17
	s_xor_b32 s3, exec_lo, s3
	s_cbranch_execz .LBB24_1733
; %bb.1728:
	s_mov_b32 s6, exec_lo
                                        ; implicit-def: $vgpr12
	v_cmpx_lt_u32_e32 0x3c7fffff, v17
	s_xor_b32 s6, exec_lo, s6
; %bb.1729:
	v_bfe_u32 v12, v11, 20, 1
	s_delay_alu instid0(VALU_DEP_1) | instskip(NEXT) | instid1(VALU_DEP_1)
	v_add3_u32 v12, v11, v12, 0x407ffff
	v_and_b32_e32 v17, 0xff00000, v12
	v_lshrrev_b32_e32 v12, 20, v12
	s_delay_alu instid0(VALU_DEP_2) | instskip(NEXT) | instid1(VALU_DEP_2)
	v_cmp_ne_u32_e32 vcc_lo, 0x7f00000, v17
	v_cndmask_b32_e32 v12, 0x7e, v12, vcc_lo
; %bb.1730:
	s_and_not1_saveexec_b32 s6, s6
; %bb.1731:
	v_add_f32_e64 v12, 0x46800000, |v11|
; %bb.1732:
	s_or_b32 exec_lo, exec_lo, s6
                                        ; implicit-def: $vgpr17
.LBB24_1733:
	s_and_not1_saveexec_b32 s3, s3
; %bb.1734:
	v_mov_b32_e32 v12, 0x7f
	v_cmp_lt_u32_e32 vcc_lo, 0x7f800000, v17
	s_delay_alu instid0(VALU_DEP_2)
	v_cndmask_b32_e32 v12, 0x7e, v12, vcc_lo
; %bb.1735:
	s_or_b32 exec_lo, exec_lo, s3
	v_lshrrev_b32_e32 v11, 24, v11
	s_delay_alu instid0(VALU_DEP_1)
	v_and_or_b32 v11, 0x80, v11, v12
	global_store_b8 v[3:4], v11, off
.LBB24_1736:
	s_mov_b32 s3, 0
.LBB24_1737:
	s_delay_alu instid0(SALU_CYCLE_1)
	s_and_not1_b32 vcc_lo, exec_lo, s3
	s_cbranch_vccnz .LBB24_1747
; %bb.1738:
	v_cvt_f32_f16_e32 v11, v10
	s_mov_b32 s3, exec_lo
                                        ; implicit-def: $vgpr12
	s_delay_alu instid0(VALU_DEP_1) | instskip(NEXT) | instid1(VALU_DEP_1)
	v_and_b32_e32 v17, 0x7fffffff, v11
	v_cmpx_gt_u32_e32 0x47800000, v17
	s_xor_b32 s3, exec_lo, s3
	s_cbranch_execz .LBB24_1744
; %bb.1739:
	s_mov_b32 s6, exec_lo
                                        ; implicit-def: $vgpr12
	v_cmpx_lt_u32_e32 0x387fffff, v17
	s_xor_b32 s6, exec_lo, s6
; %bb.1740:
	v_bfe_u32 v12, v11, 21, 1
	s_delay_alu instid0(VALU_DEP_1) | instskip(NEXT) | instid1(VALU_DEP_1)
	v_add3_u32 v12, v11, v12, 0x80fffff
	v_lshrrev_b32_e32 v12, 21, v12
; %bb.1741:
	s_and_not1_saveexec_b32 s6, s6
; %bb.1742:
	v_add_f32_e64 v12, 0x43000000, |v11|
; %bb.1743:
	s_or_b32 exec_lo, exec_lo, s6
                                        ; implicit-def: $vgpr17
.LBB24_1744:
	s_and_not1_saveexec_b32 s3, s3
; %bb.1745:
	v_mov_b32_e32 v12, 0x7f
	v_cmp_lt_u32_e32 vcc_lo, 0x7f800000, v17
	s_delay_alu instid0(VALU_DEP_2)
	v_cndmask_b32_e32 v12, 0x7c, v12, vcc_lo
; %bb.1746:
	s_or_b32 exec_lo, exec_lo, s3
	v_lshrrev_b32_e32 v11, 24, v11
	s_delay_alu instid0(VALU_DEP_1)
	v_and_or_b32 v11, 0x80, v11, v12
	global_store_b8 v[3:4], v11, off
.LBB24_1747:
	s_mov_b32 s3, 0
	s_mov_b32 s6, -1
.LBB24_1748:
	s_and_not1_b32 vcc_lo, exec_lo, s3
	s_mov_b32 s3, 0
	s_cbranch_vccnz .LBB24_1755
; %bb.1749:
	v_cmp_gt_i16_e64 s3, s2, 14
	s_delay_alu instid0(VALU_DEP_1)
	s_and_b32 vcc_lo, exec_lo, s3
	s_mov_b32 s3, -1
	s_cbranch_vccz .LBB24_1753
; %bb.1750:
	v_cmp_eq_u16_e64 s0, s2, 15
	s_delay_alu instid0(VALU_DEP_1)
	s_and_b32 vcc_lo, exec_lo, s0
	s_mov_b32 s0, -1
	s_cbranch_vccz .LBB24_1752
; %bb.1751:
	v_cvt_f32_f16_e32 v11, v10
	v_cmp_o_f16_e32 vcc_lo, v10, v10
	s_mov_b32 s0, 0
	s_mov_b32 s6, -1
	s_delay_alu instid0(VALU_DEP_2) | instskip(NEXT) | instid1(VALU_DEP_1)
	v_bfe_u32 v12, v11, 16, 1
	v_add3_u32 v11, v11, v12, 0x7fff
	s_delay_alu instid0(VALU_DEP_1) | instskip(NEXT) | instid1(VALU_DEP_1)
	v_lshrrev_b32_e32 v11, 16, v11
	v_cndmask_b32_e32 v11, 0x7fc0, v11, vcc_lo
	global_store_b16 v[3:4], v11, off
.LBB24_1752:
	s_mov_b32 s3, 0
.LBB24_1753:
	s_delay_alu instid0(SALU_CYCLE_1)
	s_and_b32 vcc_lo, exec_lo, s3
	s_mov_b32 s3, 0
	s_cbranch_vccz .LBB24_1755
; %bb.1754:
	v_cmp_ne_u16_e64 s0, s2, 11
	s_mov_b32 s3, -1
.LBB24_1755:
	s_delay_alu instid0(VALU_DEP_1)
	s_and_b32 vcc_lo, exec_lo, s0
	s_cbranch_vccnz .LBB24_1812
; %bb.1756:
	s_and_not1_b32 vcc_lo, exec_lo, s3
	s_cbranch_vccnz .LBB24_1758
.LBB24_1757:
	v_cmp_neq_f16_e32 vcc_lo, 0, v10
	s_mov_b32 s6, -1
	v_cndmask_b32_e64 v11, 0, 1, vcc_lo
	global_store_b8 v[3:4], v11, off
.LBB24_1758:
	s_mov_b32 s0, 0
.LBB24_1759:
	s_delay_alu instid0(SALU_CYCLE_1)
	s_and_b32 vcc_lo, exec_lo, s0
	s_cbranch_vccz .LBB24_1798
; %bb.1760:
	v_cmp_lt_i16_e64 s0, s2, 5
	s_delay_alu instid0(VALU_DEP_1)
	s_and_b32 vcc_lo, exec_lo, s0
	s_mov_b32 s0, -1
	s_cbranch_vccnz .LBB24_1781
; %bb.1761:
	v_cmp_lt_i16_e64 s0, s2, 8
	s_delay_alu instid0(VALU_DEP_1)
	s_and_b32 vcc_lo, exec_lo, s0
	s_mov_b32 s0, -1
	s_cbranch_vccnz .LBB24_1771
	;; [unrolled: 6-line block ×3, first 2 shown]
; %bb.1763:
	v_cmp_gt_i16_e64 s0, s2, 9
	s_delay_alu instid0(VALU_DEP_1)
	s_and_b32 vcc_lo, exec_lo, s0
	s_mov_b32 s0, -1
	s_cbranch_vccz .LBB24_1765
; %bb.1764:
	v_cvt_f32_f16_e32 v11, v10
	v_mov_b32_e32 v19, 0
	s_mov_b32 s0, 0
	s_delay_alu instid0(VALU_DEP_2) | instskip(NEXT) | instid1(VALU_DEP_2)
	v_cvt_f64_f32_e32 v[17:18], v11
	v_mov_b32_e32 v20, v19
	global_store_b128 v[3:4], v[17:20], off
.LBB24_1765:
	s_and_not1_b32 vcc_lo, exec_lo, s0
	s_cbranch_vccnz .LBB24_1767
; %bb.1766:
	v_cvt_f32_f16_e32 v11, v10
	v_mov_b32_e32 v12, 0
	global_store_b64 v[3:4], v[11:12], off
.LBB24_1767:
	s_mov_b32 s0, 0
.LBB24_1768:
	s_delay_alu instid0(SALU_CYCLE_1)
	s_and_not1_b32 vcc_lo, exec_lo, s0
	s_cbranch_vccnz .LBB24_1770
; %bb.1769:
	v_and_b32_e32 v11, 0xffff, v10
	global_store_b32 v[3:4], v11, off
.LBB24_1770:
	s_mov_b32 s0, 0
.LBB24_1771:
	s_delay_alu instid0(SALU_CYCLE_1)
	s_and_not1_b32 vcc_lo, exec_lo, s0
	s_cbranch_vccnz .LBB24_1780
; %bb.1772:
	v_cmp_lt_i16_e64 s0, s2, 6
	s_delay_alu instid0(VALU_DEP_1)
	s_and_b32 vcc_lo, exec_lo, s0
	s_mov_b32 s0, -1
	s_cbranch_vccnz .LBB24_1778
; %bb.1773:
	v_cmp_gt_i16_e64 s0, s2, 6
	s_delay_alu instid0(VALU_DEP_1)
	s_and_b32 vcc_lo, exec_lo, s0
	s_mov_b32 s0, -1
	s_cbranch_vccz .LBB24_1775
; %bb.1774:
	v_cvt_f32_f16_e32 v11, v10
	s_mov_b32 s0, 0
	s_delay_alu instid0(VALU_DEP_1)
	v_cvt_f64_f32_e32 v[11:12], v11
	global_store_b64 v[3:4], v[11:12], off
.LBB24_1775:
	s_and_not1_b32 vcc_lo, exec_lo, s0
	s_cbranch_vccnz .LBB24_1777
; %bb.1776:
	v_cvt_f32_f16_e32 v11, v10
	global_store_b32 v[3:4], v11, off
.LBB24_1777:
	s_mov_b32 s0, 0
.LBB24_1778:
	s_delay_alu instid0(SALU_CYCLE_1)
	s_and_not1_b32 vcc_lo, exec_lo, s0
	s_cbranch_vccnz .LBB24_1780
; %bb.1779:
	global_store_b16 v[3:4], v10, off
.LBB24_1780:
	s_mov_b32 s0, 0
.LBB24_1781:
	s_delay_alu instid0(SALU_CYCLE_1)
	s_and_not1_b32 vcc_lo, exec_lo, s0
	s_cbranch_vccnz .LBB24_1797
; %bb.1782:
	v_cmp_lt_i16_e64 s0, s2, 2
	s_delay_alu instid0(VALU_DEP_1)
	s_and_b32 vcc_lo, exec_lo, s0
	s_mov_b32 s0, -1
	s_cbranch_vccnz .LBB24_1792
; %bb.1783:
	v_cmp_lt_i16_e64 s0, s2, 3
	s_delay_alu instid0(VALU_DEP_1)
	s_and_b32 vcc_lo, exec_lo, s0
	s_mov_b32 s0, -1
	s_cbranch_vccnz .LBB24_1789
; %bb.1784:
	v_cmp_gt_i16_e64 s0, s2, 3
	s_delay_alu instid0(VALU_DEP_1)
	s_and_b32 vcc_lo, exec_lo, s0
	s_mov_b32 s0, -1
	s_cbranch_vccz .LBB24_1786
; %bb.1785:
	v_cvt_f32_f16_e32 v11, v10
	s_mov_b32 s0, 0
	s_delay_alu instid0(VALU_DEP_1) | instskip(NEXT) | instid1(VALU_DEP_1)
	v_cvt_i32_f32_e32 v11, v11
	v_ashrrev_i32_e32 v12, 31, v11
	global_store_b64 v[3:4], v[11:12], off
.LBB24_1786:
	s_and_not1_b32 vcc_lo, exec_lo, s0
	s_cbranch_vccnz .LBB24_1788
; %bb.1787:
	v_cvt_f32_f16_e32 v11, v10
	s_delay_alu instid0(VALU_DEP_1)
	v_cvt_i32_f32_e32 v11, v11
	global_store_b32 v[3:4], v11, off
.LBB24_1788:
	s_mov_b32 s0, 0
.LBB24_1789:
	s_delay_alu instid0(SALU_CYCLE_1)
	s_and_not1_b32 vcc_lo, exec_lo, s0
	s_cbranch_vccnz .LBB24_1791
; %bb.1790:
	v_cvt_i16_f16_e32 v11, v10
	global_store_b16 v[3:4], v11, off
.LBB24_1791:
	s_mov_b32 s0, 0
.LBB24_1792:
	s_delay_alu instid0(SALU_CYCLE_1)
	s_and_not1_b32 vcc_lo, exec_lo, s0
	s_cbranch_vccnz .LBB24_1797
; %bb.1793:
	v_cmp_gt_i16_e64 s0, s2, 0
	s_delay_alu instid0(VALU_DEP_1)
	s_and_b32 vcc_lo, exec_lo, s0
	s_mov_b32 s0, -1
	s_cbranch_vccz .LBB24_1795
; %bb.1794:
	v_cvt_i16_f16_e32 v11, v10
	s_mov_b32 s0, 0
	global_store_b8 v[3:4], v11, off
.LBB24_1795:
	s_and_not1_b32 vcc_lo, exec_lo, s0
	s_cbranch_vccnz .LBB24_1797
; %bb.1796:
	v_cvt_f32_f16_e32 v10, v10
	s_delay_alu instid0(VALU_DEP_1)
	v_cvt_i32_f32_e32 v10, v10
	global_store_b8 v[3:4], v10, off
.LBB24_1797:
	s_mov_b32 s6, -1
.LBB24_1798:
	s_delay_alu instid0(SALU_CYCLE_1)
	s_and_not1_b32 vcc_lo, exec_lo, s6
	s_cbranch_vccnz .LBB24_2065
; %bb.1799:
	v_fma_mixlo_f16 v3, v13, v14, 0
	v_cmp_eq_f32_e32 vcc_lo, 1.0, v13
	v_cmp_lt_i16_e64 s0, s2, 11
	v_add_co_u32 v2, s3, s4, v2
	s_mov_b32 s6, 0
	v_cndmask_b32_e32 v4, v3, v8, vcc_lo
	v_add_co_ci_u32_e64 v3, null, s5, 0, s3
	s_and_b32 vcc_lo, exec_lo, s0
	s_mov_b32 s0, -1
	s_cbranch_vccnz .LBB24_1888
; %bb.1800:
	v_cmp_gt_i16_e64 s0, s2, 25
	s_mov_b32 s7, -1
	s_mov_b32 s3, 0
	s_delay_alu instid0(VALU_DEP_1)
	s_and_b32 vcc_lo, exec_lo, s0
	s_mov_b32 s0, 0
	s_cbranch_vccz .LBB24_1844
; %bb.1801:
	v_cmp_gt_i16_e64 s0, s2, 28
	s_delay_alu instid0(VALU_DEP_1)
	s_and_b32 vcc_lo, exec_lo, s0
	s_cbranch_vccz .LBB24_1806
; %bb.1802:
	v_cmp_gt_i16_e64 s0, s2, 43
	s_delay_alu instid0(VALU_DEP_1)
	s_and_b32 vcc_lo, exec_lo, s0
	;; [unrolled: 5-line block ×3, first 2 shown]
	s_cbranch_vccz .LBB24_1816
; %bb.1804:
	v_cmp_eq_u16_e64 s6, s2, 46
	s_mov_b32 s0, -1
	s_mov_b32 s7, 0
	s_delay_alu instid0(VALU_DEP_1)
	s_and_b32 vcc_lo, exec_lo, s6
	s_mov_b32 s6, 0
	s_cbranch_vccz .LBB24_1817
; %bb.1805:
	v_cvt_f32_f16_e32 v8, v4
	v_cmp_o_f16_e32 vcc_lo, v4, v4
	s_mov_b32 s0, 0
	s_mov_b32 s6, -1
	s_delay_alu instid0(VALU_DEP_2) | instskip(NEXT) | instid1(VALU_DEP_1)
	v_bfe_u32 v10, v8, 16, 1
	v_add3_u32 v8, v8, v10, 0x7fff
	s_delay_alu instid0(VALU_DEP_1) | instskip(NEXT) | instid1(VALU_DEP_1)
	v_lshrrev_b32_e32 v8, 16, v8
	v_cndmask_b32_e32 v8, 0x7fc0, v8, vcc_lo
	global_store_b32 v[2:3], v8, off
	s_branch .LBB24_1817
.LBB24_1806:
	s_mov_b32 s0, 0
	s_branch .LBB24_1827
.LBB24_1807:
	s_or_saveexec_b32 s8, s8
                                        ; implicit-def: $sgpr9
	s_delay_alu instid0(SALU_CYCLE_1)
	s_xor_b32 exec_lo, exec_lo, s8
	s_cbranch_execz .LBB24_1709
.LBB24_1808:
	v_add_f32_e64 v12, 0x46000000, |v11|
	s_and_not1_b32 s7, s7, exec_lo
	s_mov_b32 s9, 0
	s_delay_alu instid0(VALU_DEP_1) | instskip(NEXT) | instid1(VALU_DEP_1)
	v_and_b32_e32 v12, 0xff, v12
	v_cmp_ne_u32_e32 vcc_lo, 0, v12
	s_and_b32 s10, vcc_lo, exec_lo
	s_delay_alu instid0(SALU_CYCLE_1)
	s_or_b32 s7, s7, s10
	s_or_b32 exec_lo, exec_lo, s8
	v_mov_b32_e32 v17, s9
	s_and_saveexec_b32 s8, s7
	s_cbranch_execnz .LBB24_1710
	s_branch .LBB24_1711
.LBB24_1809:
	s_mov_b32 s0, 0
	s_branch .LBB24_1823
.LBB24_1810:
	s_trap 2
	s_sendmsg_rtn_b32 s0, sendmsg(MSG_RTN_GET_DOORBELL)
	s_mov_b32 ttmp2, m0
	s_waitcnt lgkmcnt(0)
	s_and_b32 s0, s0, 0x3ff
	s_delay_alu instid0(SALU_CYCLE_1) | instskip(NEXT) | instid1(SALU_CYCLE_1)
	s_bitset1_b32 s0, 10
	s_mov_b32 m0, s0
	s_sendmsg sendmsg(MSG_INTERRUPT)
	s_mov_b32 m0, ttmp2
.LBB24_1811:                            ; =>This Inner Loop Header: Depth=1
	s_sethalt 5
	s_branch .LBB24_1811
.LBB24_1812:
	s_cbranch_execnz .LBB24_1939
; %bb.1813:
	s_or_b32 s1, s1, exec_lo
	s_cbranch_execz .LBB24_1757
	s_branch .LBB24_1758
.LBB24_1814:
	s_or_saveexec_b32 s7, s7
                                        ; implicit-def: $sgpr8
	s_delay_alu instid0(SALU_CYCLE_1)
	s_xor_b32 exec_lo, exec_lo, s7
	s_cbranch_execz .LBB24_1722
.LBB24_1815:
	v_add_f32_e64 v12, 0x42800000, |v11|
	s_and_not1_b32 s6, s6, exec_lo
	s_mov_b32 s8, 0
	s_delay_alu instid0(VALU_DEP_1) | instskip(NEXT) | instid1(VALU_DEP_1)
	v_and_b32_e32 v12, 0xff, v12
	v_cmp_ne_u32_e32 vcc_lo, 0, v12
	s_and_b32 s9, vcc_lo, exec_lo
	s_delay_alu instid0(SALU_CYCLE_1)
	s_or_b32 s6, s6, s9
	s_or_b32 exec_lo, exec_lo, s7
	v_mov_b32_e32 v17, s8
	s_and_saveexec_b32 s7, s6
	s_cbranch_execnz .LBB24_1723
	s_branch .LBB24_1724
.LBB24_1816:
	s_mov_b32 s0, 0
.LBB24_1817:
	s_and_b32 vcc_lo, exec_lo, s7
	s_cbranch_vccz .LBB24_1822
; %bb.1818:
	v_cmp_eq_u16_e64 s0, s2, 44
	s_delay_alu instid0(VALU_DEP_1)
	s_and_b32 vcc_lo, exec_lo, s0
	s_mov_b32 s0, -1
	s_cbranch_vccz .LBB24_1822
; %bb.1819:
	v_cvt_f32_f16_e32 v8, v4
	v_mov_b32_e32 v10, 0xff
	s_mov_b32 s6, exec_lo
	s_delay_alu instid0(VALU_DEP_2) | instskip(NEXT) | instid1(VALU_DEP_1)
	v_bfe_u32 v11, v8, 23, 8
	v_cmpx_ne_u32_e32 0xff, v11
; %bb.1820:
	v_and_b32_e32 v10, 0x400000, v8
	v_and_or_b32 v11, 0x3fffff, v8, v11
	v_lshrrev_b32_e32 v8, 23, v8
	s_delay_alu instid0(VALU_DEP_3) | instskip(NEXT) | instid1(VALU_DEP_3)
	v_cmp_ne_u32_e32 vcc_lo, 0, v10
	v_cmp_ne_u32_e64 s0, 0, v11
	s_delay_alu instid0(VALU_DEP_1) | instskip(NEXT) | instid1(SALU_CYCLE_1)
	s_and_b32 s0, vcc_lo, s0
	v_cndmask_b32_e64 v10, 0, 1, s0
	s_delay_alu instid0(VALU_DEP_1)
	v_add_nc_u32_e32 v10, v8, v10
; %bb.1821:
	s_or_b32 exec_lo, exec_lo, s6
	s_mov_b32 s0, 0
	s_mov_b32 s6, -1
	global_store_b8 v[2:3], v10, off
.LBB24_1822:
	s_mov_b32 s7, 0
.LBB24_1823:
	s_delay_alu instid0(SALU_CYCLE_1)
	s_and_b32 vcc_lo, exec_lo, s7
	s_cbranch_vccz .LBB24_1826
; %bb.1824:
	v_cmp_eq_u16_e64 s0, s2, 29
	s_delay_alu instid0(VALU_DEP_1)
	s_and_b32 vcc_lo, exec_lo, s0
	s_mov_b32 s0, -1
	s_cbranch_vccz .LBB24_1826
; %bb.1825:
	v_cvt_f32_f16_e32 v8, v4
	v_mov_b32_e32 v11, 0
	s_mov_b32 s0, 0
	s_mov_b32 s6, -1
	s_mov_b32 s7, 0
	v_cvt_u32_f32_e32 v10, v8
	global_store_b64 v[2:3], v[10:11], off
	s_branch .LBB24_1827
.LBB24_1826:
	s_mov_b32 s7, 0
.LBB24_1827:
	s_delay_alu instid0(SALU_CYCLE_1)
	s_and_b32 vcc_lo, exec_lo, s7
	s_cbranch_vccz .LBB24_1843
; %bb.1828:
	v_cmp_lt_i16_e64 s6, s2, 27
	s_delay_alu instid0(VALU_DEP_1)
	s_and_b32 vcc_lo, exec_lo, s6
	s_mov_b32 s6, -1
	s_cbranch_vccnz .LBB24_1834
; %bb.1829:
	v_cmp_gt_i16_e64 s6, s2, 27
	s_delay_alu instid0(VALU_DEP_1)
	s_and_b32 vcc_lo, exec_lo, s6
	s_mov_b32 s6, -1
	s_cbranch_vccz .LBB24_1831
; %bb.1830:
	v_cvt_f32_f16_e32 v8, v4
	s_mov_b32 s6, 0
	s_delay_alu instid0(VALU_DEP_1)
	v_cvt_u32_f32_e32 v8, v8
	global_store_b32 v[2:3], v8, off
.LBB24_1831:
	s_and_not1_b32 vcc_lo, exec_lo, s6
	s_cbranch_vccnz .LBB24_1833
; %bb.1832:
	v_cvt_u16_f16_e32 v8, v4
	global_store_b16 v[2:3], v8, off
.LBB24_1833:
	s_mov_b32 s6, 0
.LBB24_1834:
	s_delay_alu instid0(SALU_CYCLE_1)
	s_and_not1_b32 vcc_lo, exec_lo, s6
	s_cbranch_vccnz .LBB24_1842
; %bb.1835:
	v_cvt_f32_f16_e32 v8, v4
	v_mov_b32_e32 v11, 0x80
	s_mov_b32 s6, exec_lo
	s_delay_alu instid0(VALU_DEP_2) | instskip(NEXT) | instid1(VALU_DEP_1)
	v_and_b32_e32 v10, 0x7fffffff, v8
	v_cmpx_gt_u32_e32 0x43800000, v10
	s_cbranch_execz .LBB24_1841
; %bb.1836:
	v_cmp_lt_u32_e32 vcc_lo, 0x3bffffff, v10
	s_mov_b32 s7, 0
                                        ; implicit-def: $vgpr10
	s_and_saveexec_b32 s8, vcc_lo
	s_delay_alu instid0(SALU_CYCLE_1)
	s_xor_b32 s8, exec_lo, s8
	s_cbranch_execz .LBB24_1936
; %bb.1837:
	v_bfe_u32 v10, v8, 20, 1
	s_mov_b32 s7, exec_lo
	s_delay_alu instid0(VALU_DEP_1) | instskip(NEXT) | instid1(VALU_DEP_1)
	v_add3_u32 v10, v8, v10, 0x487ffff
	v_lshrrev_b32_e32 v10, 20, v10
	s_or_saveexec_b32 s8, s8
                                        ; implicit-def: $sgpr9
	s_delay_alu instid0(SALU_CYCLE_1)
	s_xor_b32 exec_lo, exec_lo, s8
	s_cbranch_execnz .LBB24_1937
.LBB24_1838:
	s_or_b32 exec_lo, exec_lo, s8
	v_mov_b32_e32 v11, s9
	s_and_saveexec_b32 s8, s7
.LBB24_1839:
	v_lshrrev_b32_e32 v8, 24, v8
	s_delay_alu instid0(VALU_DEP_1)
	v_and_or_b32 v11, 0x80, v8, v10
.LBB24_1840:
	s_or_b32 exec_lo, exec_lo, s8
.LBB24_1841:
	s_delay_alu instid0(SALU_CYCLE_1)
	s_or_b32 exec_lo, exec_lo, s6
	global_store_b8 v[2:3], v11, off
.LBB24_1842:
	s_mov_b32 s6, -1
.LBB24_1843:
	s_mov_b32 s7, 0
.LBB24_1844:
	s_delay_alu instid0(SALU_CYCLE_1)
	s_and_b32 vcc_lo, exec_lo, s7
	s_cbranch_vccz .LBB24_1884
; %bb.1845:
	v_cmp_gt_i16_e64 s3, s2, 22
	s_delay_alu instid0(VALU_DEP_1)
	s_and_b32 vcc_lo, exec_lo, s3
	s_mov_b32 s3, -1
	s_cbranch_vccz .LBB24_1877
; %bb.1846:
	v_cmp_lt_i16_e64 s3, s2, 24
	s_delay_alu instid0(VALU_DEP_1)
	s_and_b32 vcc_lo, exec_lo, s3
	s_mov_b32 s3, -1
	s_cbranch_vccnz .LBB24_1866
; %bb.1847:
	v_cmp_gt_i16_e64 s3, s2, 24
	s_delay_alu instid0(VALU_DEP_1)
	s_and_b32 vcc_lo, exec_lo, s3
	s_mov_b32 s3, -1
	s_cbranch_vccz .LBB24_1855
; %bb.1848:
	v_cvt_f32_f16_e32 v8, v4
	v_mov_b32_e32 v11, 0x80
	s_mov_b32 s3, exec_lo
	s_delay_alu instid0(VALU_DEP_2) | instskip(NEXT) | instid1(VALU_DEP_1)
	v_and_b32_e32 v10, 0x7fffffff, v8
	v_cmpx_gt_u32_e32 0x47800000, v10
	s_cbranch_execz .LBB24_1854
; %bb.1849:
	v_cmp_lt_u32_e32 vcc_lo, 0x37ffffff, v10
	s_mov_b32 s6, 0
                                        ; implicit-def: $vgpr10
	s_and_saveexec_b32 s7, vcc_lo
	s_delay_alu instid0(SALU_CYCLE_1)
	s_xor_b32 s7, exec_lo, s7
	s_cbranch_execz .LBB24_1943
; %bb.1850:
	v_bfe_u32 v10, v8, 21, 1
	s_mov_b32 s6, exec_lo
	s_delay_alu instid0(VALU_DEP_1) | instskip(NEXT) | instid1(VALU_DEP_1)
	v_add3_u32 v10, v8, v10, 0x88fffff
	v_lshrrev_b32_e32 v10, 21, v10
	s_or_saveexec_b32 s7, s7
                                        ; implicit-def: $sgpr8
	s_delay_alu instid0(SALU_CYCLE_1)
	s_xor_b32 exec_lo, exec_lo, s7
	s_cbranch_execnz .LBB24_1944
.LBB24_1851:
	s_or_b32 exec_lo, exec_lo, s7
	v_mov_b32_e32 v11, s8
	s_and_saveexec_b32 s7, s6
.LBB24_1852:
	v_lshrrev_b32_e32 v8, 24, v8
	s_delay_alu instid0(VALU_DEP_1)
	v_and_or_b32 v11, 0x80, v8, v10
.LBB24_1853:
	s_or_b32 exec_lo, exec_lo, s7
.LBB24_1854:
	s_delay_alu instid0(SALU_CYCLE_1)
	s_or_b32 exec_lo, exec_lo, s3
	s_mov_b32 s3, 0
	global_store_b8 v[2:3], v11, off
.LBB24_1855:
	s_and_b32 vcc_lo, exec_lo, s3
	s_cbranch_vccz .LBB24_1865
; %bb.1856:
	v_cvt_f32_f16_e32 v8, v4
	s_mov_b32 s3, exec_lo
                                        ; implicit-def: $vgpr10
	s_delay_alu instid0(VALU_DEP_1) | instskip(NEXT) | instid1(VALU_DEP_1)
	v_and_b32_e32 v11, 0x7fffffff, v8
	v_cmpx_gt_u32_e32 0x43f00000, v11
	s_xor_b32 s3, exec_lo, s3
	s_cbranch_execz .LBB24_1862
; %bb.1857:
	s_mov_b32 s6, exec_lo
                                        ; implicit-def: $vgpr10
	v_cmpx_lt_u32_e32 0x3c7fffff, v11
	s_xor_b32 s6, exec_lo, s6
; %bb.1858:
	v_bfe_u32 v10, v8, 20, 1
	s_delay_alu instid0(VALU_DEP_1) | instskip(NEXT) | instid1(VALU_DEP_1)
	v_add3_u32 v10, v8, v10, 0x407ffff
	v_and_b32_e32 v11, 0xff00000, v10
	v_lshrrev_b32_e32 v10, 20, v10
	s_delay_alu instid0(VALU_DEP_2) | instskip(NEXT) | instid1(VALU_DEP_2)
	v_cmp_ne_u32_e32 vcc_lo, 0x7f00000, v11
	v_cndmask_b32_e32 v10, 0x7e, v10, vcc_lo
; %bb.1859:
	s_and_not1_saveexec_b32 s6, s6
; %bb.1860:
	v_add_f32_e64 v10, 0x46800000, |v8|
; %bb.1861:
	s_or_b32 exec_lo, exec_lo, s6
                                        ; implicit-def: $vgpr11
.LBB24_1862:
	s_and_not1_saveexec_b32 s3, s3
; %bb.1863:
	v_mov_b32_e32 v10, 0x7f
	v_cmp_lt_u32_e32 vcc_lo, 0x7f800000, v11
	s_delay_alu instid0(VALU_DEP_2)
	v_cndmask_b32_e32 v10, 0x7e, v10, vcc_lo
; %bb.1864:
	s_or_b32 exec_lo, exec_lo, s3
	v_lshrrev_b32_e32 v8, 24, v8
	s_delay_alu instid0(VALU_DEP_1)
	v_and_or_b32 v8, 0x80, v8, v10
	global_store_b8 v[2:3], v8, off
.LBB24_1865:
	s_mov_b32 s3, 0
.LBB24_1866:
	s_delay_alu instid0(SALU_CYCLE_1)
	s_and_not1_b32 vcc_lo, exec_lo, s3
	s_cbranch_vccnz .LBB24_1876
; %bb.1867:
	v_cvt_f32_f16_e32 v8, v4
	s_mov_b32 s3, exec_lo
                                        ; implicit-def: $vgpr10
	s_delay_alu instid0(VALU_DEP_1) | instskip(NEXT) | instid1(VALU_DEP_1)
	v_and_b32_e32 v11, 0x7fffffff, v8
	v_cmpx_gt_u32_e32 0x47800000, v11
	s_xor_b32 s3, exec_lo, s3
	s_cbranch_execz .LBB24_1873
; %bb.1868:
	s_mov_b32 s6, exec_lo
                                        ; implicit-def: $vgpr10
	v_cmpx_lt_u32_e32 0x387fffff, v11
	s_xor_b32 s6, exec_lo, s6
; %bb.1869:
	v_bfe_u32 v10, v8, 21, 1
	s_delay_alu instid0(VALU_DEP_1) | instskip(NEXT) | instid1(VALU_DEP_1)
	v_add3_u32 v10, v8, v10, 0x80fffff
	v_lshrrev_b32_e32 v10, 21, v10
; %bb.1870:
	s_and_not1_saveexec_b32 s6, s6
; %bb.1871:
	v_add_f32_e64 v10, 0x43000000, |v8|
; %bb.1872:
	s_or_b32 exec_lo, exec_lo, s6
                                        ; implicit-def: $vgpr11
.LBB24_1873:
	s_and_not1_saveexec_b32 s3, s3
; %bb.1874:
	v_mov_b32_e32 v10, 0x7f
	v_cmp_lt_u32_e32 vcc_lo, 0x7f800000, v11
	s_delay_alu instid0(VALU_DEP_2)
	v_cndmask_b32_e32 v10, 0x7c, v10, vcc_lo
; %bb.1875:
	s_or_b32 exec_lo, exec_lo, s3
	v_lshrrev_b32_e32 v8, 24, v8
	s_delay_alu instid0(VALU_DEP_1)
	v_and_or_b32 v8, 0x80, v8, v10
	global_store_b8 v[2:3], v8, off
.LBB24_1876:
	s_mov_b32 s3, 0
	s_mov_b32 s6, -1
.LBB24_1877:
	s_and_not1_b32 vcc_lo, exec_lo, s3
	s_mov_b32 s3, 0
	s_cbranch_vccnz .LBB24_1884
; %bb.1878:
	v_cmp_gt_i16_e64 s3, s2, 14
	s_delay_alu instid0(VALU_DEP_1)
	s_and_b32 vcc_lo, exec_lo, s3
	s_mov_b32 s3, -1
	s_cbranch_vccz .LBB24_1882
; %bb.1879:
	v_cmp_eq_u16_e64 s0, s2, 15
	s_delay_alu instid0(VALU_DEP_1)
	s_and_b32 vcc_lo, exec_lo, s0
	s_mov_b32 s0, -1
	s_cbranch_vccz .LBB24_1881
; %bb.1880:
	v_cvt_f32_f16_e32 v8, v4
	v_cmp_o_f16_e32 vcc_lo, v4, v4
	s_mov_b32 s0, 0
	s_mov_b32 s6, -1
	s_delay_alu instid0(VALU_DEP_2) | instskip(NEXT) | instid1(VALU_DEP_1)
	v_bfe_u32 v10, v8, 16, 1
	v_add3_u32 v8, v8, v10, 0x7fff
	s_delay_alu instid0(VALU_DEP_1) | instskip(NEXT) | instid1(VALU_DEP_1)
	v_lshrrev_b32_e32 v8, 16, v8
	v_cndmask_b32_e32 v8, 0x7fc0, v8, vcc_lo
	global_store_b16 v[2:3], v8, off
.LBB24_1881:
	s_mov_b32 s3, 0
.LBB24_1882:
	s_delay_alu instid0(SALU_CYCLE_1)
	s_and_b32 vcc_lo, exec_lo, s3
	s_mov_b32 s3, 0
	s_cbranch_vccz .LBB24_1884
; %bb.1883:
	v_cmp_ne_u16_e64 s0, s2, 11
	s_mov_b32 s3, -1
.LBB24_1884:
	s_delay_alu instid0(VALU_DEP_1)
	s_and_b32 vcc_lo, exec_lo, s0
	s_cbranch_vccnz .LBB24_1941
; %bb.1885:
	s_and_not1_b32 vcc_lo, exec_lo, s3
	s_cbranch_vccnz .LBB24_1887
.LBB24_1886:
	v_cmp_neq_f16_e32 vcc_lo, 0, v4
	s_mov_b32 s6, -1
	v_cndmask_b32_e64 v8, 0, 1, vcc_lo
	global_store_b8 v[2:3], v8, off
.LBB24_1887:
	s_mov_b32 s0, 0
.LBB24_1888:
	s_delay_alu instid0(SALU_CYCLE_1)
	s_and_b32 vcc_lo, exec_lo, s0
	s_cbranch_vccz .LBB24_1927
; %bb.1889:
	v_cmp_lt_i16_e64 s0, s2, 5
	s_delay_alu instid0(VALU_DEP_1)
	s_and_b32 vcc_lo, exec_lo, s0
	s_mov_b32 s0, -1
	s_cbranch_vccnz .LBB24_1910
; %bb.1890:
	v_cmp_lt_i16_e64 s0, s2, 8
	s_delay_alu instid0(VALU_DEP_1)
	s_and_b32 vcc_lo, exec_lo, s0
	s_mov_b32 s0, -1
	s_cbranch_vccnz .LBB24_1900
	;; [unrolled: 6-line block ×3, first 2 shown]
; %bb.1892:
	v_cmp_gt_i16_e64 s0, s2, 9
	s_delay_alu instid0(VALU_DEP_1)
	s_and_b32 vcc_lo, exec_lo, s0
	s_mov_b32 s0, -1
	s_cbranch_vccz .LBB24_1894
; %bb.1893:
	v_cvt_f32_f16_e32 v8, v4
	v_mov_b32_e32 v12, 0
	s_mov_b32 s0, 0
	s_delay_alu instid0(VALU_DEP_2) | instskip(NEXT) | instid1(VALU_DEP_2)
	v_cvt_f64_f32_e32 v[10:11], v8
	v_mov_b32_e32 v13, v12
	global_store_b128 v[2:3], v[10:13], off
.LBB24_1894:
	s_and_not1_b32 vcc_lo, exec_lo, s0
	s_cbranch_vccnz .LBB24_1896
; %bb.1895:
	v_cvt_f32_f16_e32 v10, v4
	v_mov_b32_e32 v11, 0
	global_store_b64 v[2:3], v[10:11], off
.LBB24_1896:
	s_mov_b32 s0, 0
.LBB24_1897:
	s_delay_alu instid0(SALU_CYCLE_1)
	s_and_not1_b32 vcc_lo, exec_lo, s0
	s_cbranch_vccnz .LBB24_1899
; %bb.1898:
	v_and_b32_e32 v8, 0xffff, v4
	global_store_b32 v[2:3], v8, off
.LBB24_1899:
	s_mov_b32 s0, 0
.LBB24_1900:
	s_delay_alu instid0(SALU_CYCLE_1)
	s_and_not1_b32 vcc_lo, exec_lo, s0
	s_cbranch_vccnz .LBB24_1909
; %bb.1901:
	v_cmp_lt_i16_e64 s0, s2, 6
	s_delay_alu instid0(VALU_DEP_1)
	s_and_b32 vcc_lo, exec_lo, s0
	s_mov_b32 s0, -1
	s_cbranch_vccnz .LBB24_1907
; %bb.1902:
	v_cmp_gt_i16_e64 s0, s2, 6
	s_delay_alu instid0(VALU_DEP_1)
	s_and_b32 vcc_lo, exec_lo, s0
	s_mov_b32 s0, -1
	s_cbranch_vccz .LBB24_1904
; %bb.1903:
	v_cvt_f32_f16_e32 v8, v4
	s_mov_b32 s0, 0
	s_delay_alu instid0(VALU_DEP_1)
	v_cvt_f64_f32_e32 v[10:11], v8
	global_store_b64 v[2:3], v[10:11], off
.LBB24_1904:
	s_and_not1_b32 vcc_lo, exec_lo, s0
	s_cbranch_vccnz .LBB24_1906
; %bb.1905:
	v_cvt_f32_f16_e32 v8, v4
	global_store_b32 v[2:3], v8, off
.LBB24_1906:
	s_mov_b32 s0, 0
.LBB24_1907:
	s_delay_alu instid0(SALU_CYCLE_1)
	s_and_not1_b32 vcc_lo, exec_lo, s0
	s_cbranch_vccnz .LBB24_1909
; %bb.1908:
	global_store_b16 v[2:3], v4, off
.LBB24_1909:
	s_mov_b32 s0, 0
.LBB24_1910:
	s_delay_alu instid0(SALU_CYCLE_1)
	s_and_not1_b32 vcc_lo, exec_lo, s0
	s_cbranch_vccnz .LBB24_1926
; %bb.1911:
	v_cmp_lt_i16_e64 s0, s2, 2
	s_delay_alu instid0(VALU_DEP_1)
	s_and_b32 vcc_lo, exec_lo, s0
	s_mov_b32 s0, -1
	s_cbranch_vccnz .LBB24_1921
; %bb.1912:
	v_cmp_lt_i16_e64 s0, s2, 3
	s_delay_alu instid0(VALU_DEP_1)
	s_and_b32 vcc_lo, exec_lo, s0
	s_mov_b32 s0, -1
	s_cbranch_vccnz .LBB24_1918
; %bb.1913:
	v_cmp_gt_i16_e64 s0, s2, 3
	s_delay_alu instid0(VALU_DEP_1)
	s_and_b32 vcc_lo, exec_lo, s0
	s_mov_b32 s0, -1
	s_cbranch_vccz .LBB24_1915
; %bb.1914:
	v_cvt_f32_f16_e32 v8, v4
	s_mov_b32 s0, 0
	s_delay_alu instid0(VALU_DEP_1) | instskip(NEXT) | instid1(VALU_DEP_1)
	v_cvt_i32_f32_e32 v10, v8
	v_ashrrev_i32_e32 v11, 31, v10
	global_store_b64 v[2:3], v[10:11], off
.LBB24_1915:
	s_and_not1_b32 vcc_lo, exec_lo, s0
	s_cbranch_vccnz .LBB24_1917
; %bb.1916:
	v_cvt_f32_f16_e32 v8, v4
	s_delay_alu instid0(VALU_DEP_1)
	v_cvt_i32_f32_e32 v8, v8
	global_store_b32 v[2:3], v8, off
.LBB24_1917:
	s_mov_b32 s0, 0
.LBB24_1918:
	s_delay_alu instid0(SALU_CYCLE_1)
	s_and_not1_b32 vcc_lo, exec_lo, s0
	s_cbranch_vccnz .LBB24_1920
; %bb.1919:
	v_cvt_i16_f16_e32 v8, v4
	global_store_b16 v[2:3], v8, off
.LBB24_1920:
	s_mov_b32 s0, 0
.LBB24_1921:
	s_delay_alu instid0(SALU_CYCLE_1)
	s_and_not1_b32 vcc_lo, exec_lo, s0
	s_cbranch_vccnz .LBB24_1926
; %bb.1922:
	v_cmp_gt_i16_e64 s0, s2, 0
	s_delay_alu instid0(VALU_DEP_1)
	s_and_b32 vcc_lo, exec_lo, s0
	s_mov_b32 s0, -1
	s_cbranch_vccz .LBB24_1924
; %bb.1923:
	v_cvt_i16_f16_e32 v8, v4
	s_mov_b32 s0, 0
	global_store_b8 v[2:3], v8, off
.LBB24_1924:
	s_and_not1_b32 vcc_lo, exec_lo, s0
	s_cbranch_vccnz .LBB24_1926
; %bb.1925:
	v_cvt_f32_f16_e32 v4, v4
	s_delay_alu instid0(VALU_DEP_1)
	v_cvt_i32_f32_e32 v4, v4
	global_store_b8 v[2:3], v4, off
.LBB24_1926:
	s_mov_b32 s6, -1
.LBB24_1927:
	s_delay_alu instid0(SALU_CYCLE_1)
	s_and_not1_b32 vcc_lo, exec_lo, s6
	s_cbranch_vccnz .LBB24_2065
; %bb.1928:
	v_fma_mixlo_f16 v2, v15, v16, 0
	v_cmp_eq_f32_e32 vcc_lo, 1.0, v15
	v_cmp_lt_i16_e64 s0, s2, 11
	v_add_co_u32 v1, s3, s4, v1
	s_mov_b32 s6, 0
	v_cndmask_b32_e32 v3, v2, v7, vcc_lo
	v_add_co_ci_u32_e64 v2, null, s5, 0, s3
	s_and_b32 vcc_lo, exec_lo, s0
	s_mov_b32 s0, -1
	s_cbranch_vccnz .LBB24_2017
; %bb.1929:
	v_cmp_gt_i16_e64 s0, s2, 25
	s_mov_b32 s7, -1
	s_mov_b32 s3, 0
	s_delay_alu instid0(VALU_DEP_1)
	s_and_b32 vcc_lo, exec_lo, s0
	s_mov_b32 s0, 0
	s_cbranch_vccz .LBB24_1973
; %bb.1930:
	v_cmp_gt_i16_e64 s0, s2, 28
	s_delay_alu instid0(VALU_DEP_1)
	s_and_b32 vcc_lo, exec_lo, s0
	s_cbranch_vccz .LBB24_1935
; %bb.1931:
	v_cmp_gt_i16_e64 s0, s2, 43
	s_delay_alu instid0(VALU_DEP_1)
	s_and_b32 vcc_lo, exec_lo, s0
	;; [unrolled: 5-line block ×3, first 2 shown]
	s_cbranch_vccz .LBB24_1945
; %bb.1933:
	v_cmp_eq_u16_e64 s6, s2, 46
	s_mov_b32 s0, -1
	s_mov_b32 s7, 0
	s_delay_alu instid0(VALU_DEP_1)
	s_and_b32 vcc_lo, exec_lo, s6
	s_mov_b32 s6, 0
	s_cbranch_vccz .LBB24_1946
; %bb.1934:
	v_cvt_f32_f16_e32 v4, v3
	v_cmp_o_f16_e32 vcc_lo, v3, v3
	s_mov_b32 s0, 0
	s_mov_b32 s6, -1
	s_delay_alu instid0(VALU_DEP_2) | instskip(NEXT) | instid1(VALU_DEP_1)
	v_bfe_u32 v7, v4, 16, 1
	v_add3_u32 v4, v4, v7, 0x7fff
	s_delay_alu instid0(VALU_DEP_1) | instskip(NEXT) | instid1(VALU_DEP_1)
	v_lshrrev_b32_e32 v4, 16, v4
	v_cndmask_b32_e32 v4, 0x7fc0, v4, vcc_lo
	global_store_b32 v[1:2], v4, off
	s_branch .LBB24_1946
.LBB24_1935:
	s_mov_b32 s0, 0
	s_branch .LBB24_1956
.LBB24_1936:
	s_or_saveexec_b32 s8, s8
                                        ; implicit-def: $sgpr9
	s_delay_alu instid0(SALU_CYCLE_1)
	s_xor_b32 exec_lo, exec_lo, s8
	s_cbranch_execz .LBB24_1838
.LBB24_1937:
	v_add_f32_e64 v10, 0x46000000, |v8|
	s_and_not1_b32 s7, s7, exec_lo
	s_mov_b32 s9, 0
	s_delay_alu instid0(VALU_DEP_1) | instskip(NEXT) | instid1(VALU_DEP_1)
	v_and_b32_e32 v10, 0xff, v10
	v_cmp_ne_u32_e32 vcc_lo, 0, v10
	s_and_b32 s10, vcc_lo, exec_lo
	s_delay_alu instid0(SALU_CYCLE_1)
	s_or_b32 s7, s7, s10
	s_or_b32 exec_lo, exec_lo, s8
	v_mov_b32_e32 v11, s9
	s_and_saveexec_b32 s8, s7
	s_cbranch_execnz .LBB24_1839
	s_branch .LBB24_1840
.LBB24_1938:
	s_mov_b32 s0, 0
	s_branch .LBB24_1952
.LBB24_1939:
	s_trap 2
	s_sendmsg_rtn_b32 s0, sendmsg(MSG_RTN_GET_DOORBELL)
	s_mov_b32 ttmp2, m0
	s_waitcnt lgkmcnt(0)
	s_and_b32 s0, s0, 0x3ff
	s_delay_alu instid0(SALU_CYCLE_1) | instskip(NEXT) | instid1(SALU_CYCLE_1)
	s_bitset1_b32 s0, 10
	s_mov_b32 m0, s0
	s_sendmsg sendmsg(MSG_INTERRUPT)
	s_mov_b32 m0, ttmp2
.LBB24_1940:                            ; =>This Inner Loop Header: Depth=1
	s_sethalt 5
	s_branch .LBB24_1940
.LBB24_1941:
	s_cbranch_execnz .LBB24_2114
; %bb.1942:
	s_or_b32 s1, s1, exec_lo
	s_cbranch_execz .LBB24_1886
	s_branch .LBB24_1887
.LBB24_1943:
	s_or_saveexec_b32 s7, s7
                                        ; implicit-def: $sgpr8
	s_delay_alu instid0(SALU_CYCLE_1)
	s_xor_b32 exec_lo, exec_lo, s7
	s_cbranch_execz .LBB24_1851
.LBB24_1944:
	v_add_f32_e64 v10, 0x42800000, |v8|
	s_and_not1_b32 s6, s6, exec_lo
	s_mov_b32 s8, 0
	s_delay_alu instid0(VALU_DEP_1) | instskip(NEXT) | instid1(VALU_DEP_1)
	v_and_b32_e32 v10, 0xff, v10
	v_cmp_ne_u32_e32 vcc_lo, 0, v10
	s_and_b32 s9, vcc_lo, exec_lo
	s_delay_alu instid0(SALU_CYCLE_1)
	s_or_b32 s6, s6, s9
	s_or_b32 exec_lo, exec_lo, s7
	v_mov_b32_e32 v11, s8
	s_and_saveexec_b32 s7, s6
	s_cbranch_execnz .LBB24_1852
	s_branch .LBB24_1853
.LBB24_1945:
	s_mov_b32 s0, 0
.LBB24_1946:
	s_and_b32 vcc_lo, exec_lo, s7
	s_cbranch_vccz .LBB24_1951
; %bb.1947:
	v_cmp_eq_u16_e64 s0, s2, 44
	s_delay_alu instid0(VALU_DEP_1)
	s_and_b32 vcc_lo, exec_lo, s0
	s_mov_b32 s0, -1
	s_cbranch_vccz .LBB24_1951
; %bb.1948:
	v_cvt_f32_f16_e32 v4, v3
	v_mov_b32_e32 v7, 0xff
	s_mov_b32 s6, exec_lo
	s_delay_alu instid0(VALU_DEP_2) | instskip(NEXT) | instid1(VALU_DEP_1)
	v_bfe_u32 v8, v4, 23, 8
	v_cmpx_ne_u32_e32 0xff, v8
; %bb.1949:
	v_and_b32_e32 v7, 0x400000, v4
	v_and_or_b32 v8, 0x3fffff, v4, v8
	v_lshrrev_b32_e32 v4, 23, v4
	s_delay_alu instid0(VALU_DEP_3) | instskip(NEXT) | instid1(VALU_DEP_3)
	v_cmp_ne_u32_e32 vcc_lo, 0, v7
	v_cmp_ne_u32_e64 s0, 0, v8
	s_delay_alu instid0(VALU_DEP_1) | instskip(NEXT) | instid1(SALU_CYCLE_1)
	s_and_b32 s0, vcc_lo, s0
	v_cndmask_b32_e64 v7, 0, 1, s0
	s_delay_alu instid0(VALU_DEP_1)
	v_add_nc_u32_e32 v7, v4, v7
; %bb.1950:
	s_or_b32 exec_lo, exec_lo, s6
	s_mov_b32 s0, 0
	s_mov_b32 s6, -1
	global_store_b8 v[1:2], v7, off
.LBB24_1951:
	s_mov_b32 s7, 0
.LBB24_1952:
	s_delay_alu instid0(SALU_CYCLE_1)
	s_and_b32 vcc_lo, exec_lo, s7
	s_cbranch_vccz .LBB24_1955
; %bb.1953:
	v_cmp_eq_u16_e64 s0, s2, 29
	s_delay_alu instid0(VALU_DEP_1)
	s_and_b32 vcc_lo, exec_lo, s0
	s_mov_b32 s0, -1
	s_cbranch_vccz .LBB24_1955
; %bb.1954:
	v_cvt_f32_f16_e32 v4, v3
	v_mov_b32_e32 v8, 0
	s_mov_b32 s0, 0
	s_mov_b32 s6, -1
	s_mov_b32 s7, 0
	v_cvt_u32_f32_e32 v7, v4
	global_store_b64 v[1:2], v[7:8], off
	s_branch .LBB24_1956
.LBB24_1955:
	s_mov_b32 s7, 0
.LBB24_1956:
	s_delay_alu instid0(SALU_CYCLE_1)
	s_and_b32 vcc_lo, exec_lo, s7
	s_cbranch_vccz .LBB24_1972
; %bb.1957:
	v_cmp_lt_i16_e64 s6, s2, 27
	s_delay_alu instid0(VALU_DEP_1)
	s_and_b32 vcc_lo, exec_lo, s6
	s_mov_b32 s6, -1
	s_cbranch_vccnz .LBB24_1963
; %bb.1958:
	v_cmp_gt_i16_e64 s6, s2, 27
	s_delay_alu instid0(VALU_DEP_1)
	s_and_b32 vcc_lo, exec_lo, s6
	s_mov_b32 s6, -1
	s_cbranch_vccz .LBB24_1960
; %bb.1959:
	v_cvt_f32_f16_e32 v4, v3
	s_mov_b32 s6, 0
	s_delay_alu instid0(VALU_DEP_1)
	v_cvt_u32_f32_e32 v4, v4
	global_store_b32 v[1:2], v4, off
.LBB24_1960:
	s_and_not1_b32 vcc_lo, exec_lo, s6
	s_cbranch_vccnz .LBB24_1962
; %bb.1961:
	v_cvt_u16_f16_e32 v4, v3
	global_store_b16 v[1:2], v4, off
.LBB24_1962:
	s_mov_b32 s6, 0
.LBB24_1963:
	s_delay_alu instid0(SALU_CYCLE_1)
	s_and_not1_b32 vcc_lo, exec_lo, s6
	s_cbranch_vccnz .LBB24_1971
; %bb.1964:
	v_cvt_f32_f16_e32 v4, v3
	v_mov_b32_e32 v8, 0x80
	s_mov_b32 s6, exec_lo
	s_delay_alu instid0(VALU_DEP_2) | instskip(NEXT) | instid1(VALU_DEP_1)
	v_and_b32_e32 v7, 0x7fffffff, v4
	v_cmpx_gt_u32_e32 0x43800000, v7
	s_cbranch_execz .LBB24_1970
; %bb.1965:
	v_cmp_lt_u32_e32 vcc_lo, 0x3bffffff, v7
	s_mov_b32 s7, 0
                                        ; implicit-def: $vgpr7
	s_and_saveexec_b32 s8, vcc_lo
	s_delay_alu instid0(SALU_CYCLE_1)
	s_xor_b32 s8, exec_lo, s8
	s_cbranch_execz .LBB24_2111
; %bb.1966:
	v_bfe_u32 v7, v4, 20, 1
	s_mov_b32 s7, exec_lo
	s_delay_alu instid0(VALU_DEP_1) | instskip(NEXT) | instid1(VALU_DEP_1)
	v_add3_u32 v7, v4, v7, 0x487ffff
	v_lshrrev_b32_e32 v7, 20, v7
	s_or_saveexec_b32 s8, s8
                                        ; implicit-def: $sgpr9
	s_delay_alu instid0(SALU_CYCLE_1)
	s_xor_b32 exec_lo, exec_lo, s8
	s_cbranch_execnz .LBB24_2112
.LBB24_1967:
	s_or_b32 exec_lo, exec_lo, s8
	v_mov_b32_e32 v8, s9
	s_and_saveexec_b32 s8, s7
.LBB24_1968:
	v_lshrrev_b32_e32 v4, 24, v4
	s_delay_alu instid0(VALU_DEP_1)
	v_and_or_b32 v8, 0x80, v4, v7
.LBB24_1969:
	s_or_b32 exec_lo, exec_lo, s8
.LBB24_1970:
	s_delay_alu instid0(SALU_CYCLE_1)
	s_or_b32 exec_lo, exec_lo, s6
	global_store_b8 v[1:2], v8, off
.LBB24_1971:
	s_mov_b32 s6, -1
.LBB24_1972:
	s_mov_b32 s7, 0
.LBB24_1973:
	s_delay_alu instid0(SALU_CYCLE_1)
	s_and_b32 vcc_lo, exec_lo, s7
	s_cbranch_vccz .LBB24_2013
; %bb.1974:
	v_cmp_gt_i16_e64 s3, s2, 22
	s_delay_alu instid0(VALU_DEP_1)
	s_and_b32 vcc_lo, exec_lo, s3
	s_mov_b32 s3, -1
	s_cbranch_vccz .LBB24_2006
; %bb.1975:
	v_cmp_lt_i16_e64 s3, s2, 24
	s_delay_alu instid0(VALU_DEP_1)
	s_and_b32 vcc_lo, exec_lo, s3
	s_mov_b32 s3, -1
	s_cbranch_vccnz .LBB24_1995
; %bb.1976:
	v_cmp_gt_i16_e64 s3, s2, 24
	s_delay_alu instid0(VALU_DEP_1)
	s_and_b32 vcc_lo, exec_lo, s3
	s_mov_b32 s3, -1
	s_cbranch_vccz .LBB24_1984
; %bb.1977:
	v_cvt_f32_f16_e32 v4, v3
	v_mov_b32_e32 v8, 0x80
	s_mov_b32 s3, exec_lo
	s_delay_alu instid0(VALU_DEP_2) | instskip(NEXT) | instid1(VALU_DEP_1)
	v_and_b32_e32 v7, 0x7fffffff, v4
	v_cmpx_gt_u32_e32 0x47800000, v7
	s_cbranch_execz .LBB24_1983
; %bb.1978:
	v_cmp_lt_u32_e32 vcc_lo, 0x37ffffff, v7
	s_mov_b32 s6, 0
                                        ; implicit-def: $vgpr7
	s_and_saveexec_b32 s7, vcc_lo
	s_delay_alu instid0(SALU_CYCLE_1)
	s_xor_b32 s7, exec_lo, s7
	s_cbranch_execz .LBB24_2118
; %bb.1979:
	v_bfe_u32 v7, v4, 21, 1
	s_mov_b32 s6, exec_lo
	s_delay_alu instid0(VALU_DEP_1) | instskip(NEXT) | instid1(VALU_DEP_1)
	v_add3_u32 v7, v4, v7, 0x88fffff
	v_lshrrev_b32_e32 v7, 21, v7
	s_or_saveexec_b32 s7, s7
                                        ; implicit-def: $sgpr8
	s_delay_alu instid0(SALU_CYCLE_1)
	s_xor_b32 exec_lo, exec_lo, s7
	s_cbranch_execnz .LBB24_2119
.LBB24_1980:
	s_or_b32 exec_lo, exec_lo, s7
	v_mov_b32_e32 v8, s8
	s_and_saveexec_b32 s7, s6
.LBB24_1981:
	v_lshrrev_b32_e32 v4, 24, v4
	s_delay_alu instid0(VALU_DEP_1)
	v_and_or_b32 v8, 0x80, v4, v7
.LBB24_1982:
	s_or_b32 exec_lo, exec_lo, s7
.LBB24_1983:
	s_delay_alu instid0(SALU_CYCLE_1)
	s_or_b32 exec_lo, exec_lo, s3
	s_mov_b32 s3, 0
	global_store_b8 v[1:2], v8, off
.LBB24_1984:
	s_and_b32 vcc_lo, exec_lo, s3
	s_cbranch_vccz .LBB24_1994
; %bb.1985:
	v_cvt_f32_f16_e32 v4, v3
	s_mov_b32 s3, exec_lo
                                        ; implicit-def: $vgpr7
	s_delay_alu instid0(VALU_DEP_1) | instskip(NEXT) | instid1(VALU_DEP_1)
	v_and_b32_e32 v8, 0x7fffffff, v4
	v_cmpx_gt_u32_e32 0x43f00000, v8
	s_xor_b32 s3, exec_lo, s3
	s_cbranch_execz .LBB24_1991
; %bb.1986:
	s_mov_b32 s6, exec_lo
                                        ; implicit-def: $vgpr7
	v_cmpx_lt_u32_e32 0x3c7fffff, v8
	s_xor_b32 s6, exec_lo, s6
; %bb.1987:
	v_bfe_u32 v7, v4, 20, 1
	s_delay_alu instid0(VALU_DEP_1) | instskip(NEXT) | instid1(VALU_DEP_1)
	v_add3_u32 v7, v4, v7, 0x407ffff
	v_and_b32_e32 v8, 0xff00000, v7
	v_lshrrev_b32_e32 v7, 20, v7
	s_delay_alu instid0(VALU_DEP_2) | instskip(NEXT) | instid1(VALU_DEP_2)
	v_cmp_ne_u32_e32 vcc_lo, 0x7f00000, v8
	v_cndmask_b32_e32 v7, 0x7e, v7, vcc_lo
; %bb.1988:
	s_and_not1_saveexec_b32 s6, s6
; %bb.1989:
	v_add_f32_e64 v7, 0x46800000, |v4|
; %bb.1990:
	s_or_b32 exec_lo, exec_lo, s6
                                        ; implicit-def: $vgpr8
.LBB24_1991:
	s_and_not1_saveexec_b32 s3, s3
; %bb.1992:
	v_mov_b32_e32 v7, 0x7f
	v_cmp_lt_u32_e32 vcc_lo, 0x7f800000, v8
	s_delay_alu instid0(VALU_DEP_2)
	v_cndmask_b32_e32 v7, 0x7e, v7, vcc_lo
; %bb.1993:
	s_or_b32 exec_lo, exec_lo, s3
	v_lshrrev_b32_e32 v4, 24, v4
	s_delay_alu instid0(VALU_DEP_1)
	v_and_or_b32 v4, 0x80, v4, v7
	global_store_b8 v[1:2], v4, off
.LBB24_1994:
	s_mov_b32 s3, 0
.LBB24_1995:
	s_delay_alu instid0(SALU_CYCLE_1)
	s_and_not1_b32 vcc_lo, exec_lo, s3
	s_cbranch_vccnz .LBB24_2005
; %bb.1996:
	v_cvt_f32_f16_e32 v4, v3
	s_mov_b32 s3, exec_lo
                                        ; implicit-def: $vgpr7
	s_delay_alu instid0(VALU_DEP_1) | instskip(NEXT) | instid1(VALU_DEP_1)
	v_and_b32_e32 v8, 0x7fffffff, v4
	v_cmpx_gt_u32_e32 0x47800000, v8
	s_xor_b32 s3, exec_lo, s3
	s_cbranch_execz .LBB24_2002
; %bb.1997:
	s_mov_b32 s6, exec_lo
                                        ; implicit-def: $vgpr7
	v_cmpx_lt_u32_e32 0x387fffff, v8
	s_xor_b32 s6, exec_lo, s6
; %bb.1998:
	v_bfe_u32 v7, v4, 21, 1
	s_delay_alu instid0(VALU_DEP_1) | instskip(NEXT) | instid1(VALU_DEP_1)
	v_add3_u32 v7, v4, v7, 0x80fffff
	v_lshrrev_b32_e32 v7, 21, v7
; %bb.1999:
	s_and_not1_saveexec_b32 s6, s6
; %bb.2000:
	v_add_f32_e64 v7, 0x43000000, |v4|
; %bb.2001:
	s_or_b32 exec_lo, exec_lo, s6
                                        ; implicit-def: $vgpr8
.LBB24_2002:
	s_and_not1_saveexec_b32 s3, s3
; %bb.2003:
	v_mov_b32_e32 v7, 0x7f
	v_cmp_lt_u32_e32 vcc_lo, 0x7f800000, v8
	s_delay_alu instid0(VALU_DEP_2)
	v_cndmask_b32_e32 v7, 0x7c, v7, vcc_lo
; %bb.2004:
	s_or_b32 exec_lo, exec_lo, s3
	v_lshrrev_b32_e32 v4, 24, v4
	s_delay_alu instid0(VALU_DEP_1)
	v_and_or_b32 v4, 0x80, v4, v7
	global_store_b8 v[1:2], v4, off
.LBB24_2005:
	s_mov_b32 s3, 0
	s_mov_b32 s6, -1
.LBB24_2006:
	s_and_not1_b32 vcc_lo, exec_lo, s3
	s_mov_b32 s3, 0
	s_cbranch_vccnz .LBB24_2013
; %bb.2007:
	v_cmp_gt_i16_e64 s3, s2, 14
	s_delay_alu instid0(VALU_DEP_1)
	s_and_b32 vcc_lo, exec_lo, s3
	s_mov_b32 s3, -1
	s_cbranch_vccz .LBB24_2011
; %bb.2008:
	v_cmp_eq_u16_e64 s0, s2, 15
	s_delay_alu instid0(VALU_DEP_1)
	s_and_b32 vcc_lo, exec_lo, s0
	s_mov_b32 s0, -1
	s_cbranch_vccz .LBB24_2010
; %bb.2009:
	v_cvt_f32_f16_e32 v4, v3
	v_cmp_o_f16_e32 vcc_lo, v3, v3
	s_mov_b32 s0, 0
	s_mov_b32 s6, -1
	s_delay_alu instid0(VALU_DEP_2) | instskip(NEXT) | instid1(VALU_DEP_1)
	v_bfe_u32 v7, v4, 16, 1
	v_add3_u32 v4, v4, v7, 0x7fff
	s_delay_alu instid0(VALU_DEP_1) | instskip(NEXT) | instid1(VALU_DEP_1)
	v_lshrrev_b32_e32 v4, 16, v4
	v_cndmask_b32_e32 v4, 0x7fc0, v4, vcc_lo
	global_store_b16 v[1:2], v4, off
.LBB24_2010:
	s_mov_b32 s3, 0
.LBB24_2011:
	s_delay_alu instid0(SALU_CYCLE_1)
	s_and_b32 vcc_lo, exec_lo, s3
	s_mov_b32 s3, 0
	s_cbranch_vccz .LBB24_2013
; %bb.2012:
	v_cmp_ne_u16_e64 s0, s2, 11
	s_mov_b32 s3, -1
.LBB24_2013:
	s_delay_alu instid0(VALU_DEP_1)
	s_and_b32 vcc_lo, exec_lo, s0
	s_cbranch_vccnz .LBB24_2116
; %bb.2014:
	s_and_not1_b32 vcc_lo, exec_lo, s3
	s_cbranch_vccnz .LBB24_2016
.LBB24_2015:
	v_cmp_neq_f16_e32 vcc_lo, 0, v3
	s_mov_b32 s6, -1
	v_cndmask_b32_e64 v4, 0, 1, vcc_lo
	global_store_b8 v[1:2], v4, off
.LBB24_2016:
	s_mov_b32 s0, 0
.LBB24_2017:
	s_delay_alu instid0(SALU_CYCLE_1)
	s_and_b32 vcc_lo, exec_lo, s0
	s_cbranch_vccz .LBB24_2056
; %bb.2018:
	v_cmp_lt_i16_e64 s0, s2, 5
	s_delay_alu instid0(VALU_DEP_1)
	s_and_b32 vcc_lo, exec_lo, s0
	s_mov_b32 s0, -1
	s_cbranch_vccnz .LBB24_2039
; %bb.2019:
	v_cmp_lt_i16_e64 s0, s2, 8
	s_delay_alu instid0(VALU_DEP_1)
	s_and_b32 vcc_lo, exec_lo, s0
	s_mov_b32 s0, -1
	s_cbranch_vccnz .LBB24_2029
	;; [unrolled: 6-line block ×3, first 2 shown]
; %bb.2021:
	v_cmp_gt_i16_e64 s0, s2, 9
	s_delay_alu instid0(VALU_DEP_1)
	s_and_b32 vcc_lo, exec_lo, s0
	s_mov_b32 s0, -1
	s_cbranch_vccz .LBB24_2023
; %bb.2022:
	v_cvt_f32_f16_e32 v4, v3
	v_mov_b32_e32 v12, 0
	s_mov_b32 s0, 0
	s_delay_alu instid0(VALU_DEP_2) | instskip(NEXT) | instid1(VALU_DEP_2)
	v_cvt_f64_f32_e32 v[10:11], v4
	v_mov_b32_e32 v13, v12
	global_store_b128 v[1:2], v[10:13], off
.LBB24_2023:
	s_and_not1_b32 vcc_lo, exec_lo, s0
	s_cbranch_vccnz .LBB24_2025
; %bb.2024:
	v_cvt_f32_f16_e32 v7, v3
	v_mov_b32_e32 v8, 0
	global_store_b64 v[1:2], v[7:8], off
.LBB24_2025:
	s_mov_b32 s0, 0
.LBB24_2026:
	s_delay_alu instid0(SALU_CYCLE_1)
	s_and_not1_b32 vcc_lo, exec_lo, s0
	s_cbranch_vccnz .LBB24_2028
; %bb.2027:
	v_and_b32_e32 v4, 0xffff, v3
	global_store_b32 v[1:2], v4, off
.LBB24_2028:
	s_mov_b32 s0, 0
.LBB24_2029:
	s_delay_alu instid0(SALU_CYCLE_1)
	s_and_not1_b32 vcc_lo, exec_lo, s0
	s_cbranch_vccnz .LBB24_2038
; %bb.2030:
	v_cmp_lt_i16_e64 s0, s2, 6
	s_delay_alu instid0(VALU_DEP_1)
	s_and_b32 vcc_lo, exec_lo, s0
	s_mov_b32 s0, -1
	s_cbranch_vccnz .LBB24_2036
; %bb.2031:
	v_cmp_gt_i16_e64 s0, s2, 6
	s_delay_alu instid0(VALU_DEP_1)
	s_and_b32 vcc_lo, exec_lo, s0
	s_mov_b32 s0, -1
	s_cbranch_vccz .LBB24_2033
; %bb.2032:
	v_cvt_f32_f16_e32 v4, v3
	s_mov_b32 s0, 0
	s_delay_alu instid0(VALU_DEP_1)
	v_cvt_f64_f32_e32 v[7:8], v4
	global_store_b64 v[1:2], v[7:8], off
.LBB24_2033:
	s_and_not1_b32 vcc_lo, exec_lo, s0
	s_cbranch_vccnz .LBB24_2035
; %bb.2034:
	v_cvt_f32_f16_e32 v4, v3
	global_store_b32 v[1:2], v4, off
.LBB24_2035:
	s_mov_b32 s0, 0
.LBB24_2036:
	s_delay_alu instid0(SALU_CYCLE_1)
	s_and_not1_b32 vcc_lo, exec_lo, s0
	s_cbranch_vccnz .LBB24_2038
; %bb.2037:
	global_store_b16 v[1:2], v3, off
.LBB24_2038:
	s_mov_b32 s0, 0
.LBB24_2039:
	s_delay_alu instid0(SALU_CYCLE_1)
	s_and_not1_b32 vcc_lo, exec_lo, s0
	s_cbranch_vccnz .LBB24_2055
; %bb.2040:
	v_cmp_lt_i16_e64 s0, s2, 2
	s_delay_alu instid0(VALU_DEP_1)
	s_and_b32 vcc_lo, exec_lo, s0
	s_mov_b32 s0, -1
	s_cbranch_vccnz .LBB24_2050
; %bb.2041:
	v_cmp_lt_i16_e64 s0, s2, 3
	s_delay_alu instid0(VALU_DEP_1)
	s_and_b32 vcc_lo, exec_lo, s0
	s_mov_b32 s0, -1
	s_cbranch_vccnz .LBB24_2047
; %bb.2042:
	v_cmp_gt_i16_e64 s0, s2, 3
	s_delay_alu instid0(VALU_DEP_1)
	s_and_b32 vcc_lo, exec_lo, s0
	s_mov_b32 s0, -1
	s_cbranch_vccz .LBB24_2044
; %bb.2043:
	v_cvt_f32_f16_e32 v4, v3
	s_mov_b32 s0, 0
	s_delay_alu instid0(VALU_DEP_1) | instskip(NEXT) | instid1(VALU_DEP_1)
	v_cvt_i32_f32_e32 v7, v4
	v_ashrrev_i32_e32 v8, 31, v7
	global_store_b64 v[1:2], v[7:8], off
.LBB24_2044:
	s_and_not1_b32 vcc_lo, exec_lo, s0
	s_cbranch_vccnz .LBB24_2046
; %bb.2045:
	v_cvt_f32_f16_e32 v4, v3
	s_delay_alu instid0(VALU_DEP_1)
	v_cvt_i32_f32_e32 v4, v4
	global_store_b32 v[1:2], v4, off
.LBB24_2046:
	s_mov_b32 s0, 0
.LBB24_2047:
	s_delay_alu instid0(SALU_CYCLE_1)
	s_and_not1_b32 vcc_lo, exec_lo, s0
	s_cbranch_vccnz .LBB24_2049
; %bb.2048:
	v_cvt_i16_f16_e32 v4, v3
	global_store_b16 v[1:2], v4, off
.LBB24_2049:
	s_mov_b32 s0, 0
.LBB24_2050:
	s_delay_alu instid0(SALU_CYCLE_1)
	s_and_not1_b32 vcc_lo, exec_lo, s0
	s_cbranch_vccnz .LBB24_2055
; %bb.2051:
	v_cmp_gt_i16_e64 s0, s2, 0
	s_delay_alu instid0(VALU_DEP_1)
	s_and_b32 vcc_lo, exec_lo, s0
	s_mov_b32 s0, -1
	s_cbranch_vccz .LBB24_2053
; %bb.2052:
	v_cvt_i16_f16_e32 v4, v3
	s_mov_b32 s0, 0
	global_store_b8 v[1:2], v4, off
.LBB24_2053:
	s_and_not1_b32 vcc_lo, exec_lo, s0
	s_cbranch_vccnz .LBB24_2055
; %bb.2054:
	v_cvt_f32_f16_e32 v3, v3
	s_delay_alu instid0(VALU_DEP_1)
	v_cvt_i32_f32_e32 v3, v3
	global_store_b8 v[1:2], v3, off
.LBB24_2055:
	s_mov_b32 s6, -1
.LBB24_2056:
	s_delay_alu instid0(SALU_CYCLE_1)
	s_and_not1_b32 vcc_lo, exec_lo, s6
	s_cbranch_vccnz .LBB24_2065
; %bb.2057:
	s_waitcnt vmcnt(0)
	v_fma_mixlo_f16 v1, v5, v9, 0
	v_cmp_eq_f32_e32 vcc_lo, 1.0, v5
	v_cmp_lt_i16_e64 s0, s2, 11
	v_add_co_u32 v0, s4, s4, v0
	s_mov_b32 s3, 0
	v_cndmask_b32_e32 v2, v1, v6, vcc_lo
	v_add_co_ci_u32_e64 v1, null, s5, 0, s4
	s_and_b32 vcc_lo, exec_lo, s0
	s_mov_b32 s0, -1
	s_cbranch_vccnz .LBB24_2066
; %bb.2058:
	v_cmp_gt_i16_e64 s0, s2, 25
	s_mov_b32 s4, -1
	s_delay_alu instid0(VALU_DEP_1)
	s_and_b32 vcc_lo, exec_lo, s0
	s_mov_b32 s0, 0
	s_cbranch_vccz .LBB24_2147
; %bb.2059:
	v_cmp_gt_i16_e64 s0, s2, 28
	s_delay_alu instid0(VALU_DEP_1)
	s_and_b32 vcc_lo, exec_lo, s0
	s_cbranch_vccz .LBB24_2110
; %bb.2060:
	v_cmp_gt_i16_e64 s0, s2, 43
	s_delay_alu instid0(VALU_DEP_1)
	s_and_b32 vcc_lo, exec_lo, s0
	;; [unrolled: 5-line block ×3, first 2 shown]
	s_cbranch_vccz .LBB24_2120
; %bb.2062:
	v_cmp_eq_u16_e64 s0, s2, 46
	s_delay_alu instid0(VALU_DEP_1)
	s_and_b32 vcc_lo, exec_lo, s0
	s_mov_b32 s0, -1
	s_cbranch_vccz .LBB24_2064
; %bb.2063:
	v_cvt_f32_f16_e32 v3, v2
	v_cmp_o_f16_e32 vcc_lo, v2, v2
	s_mov_b32 s0, 0
	s_delay_alu instid0(VALU_DEP_2) | instskip(NEXT) | instid1(VALU_DEP_1)
	v_bfe_u32 v4, v3, 16, 1
	v_add3_u32 v3, v3, v4, 0x7fff
	s_delay_alu instid0(VALU_DEP_1) | instskip(NEXT) | instid1(VALU_DEP_1)
	v_lshrrev_b32_e32 v3, 16, v3
	v_cndmask_b32_e32 v3, 0x7fc0, v3, vcc_lo
	global_store_b32 v[0:1], v3, off
.LBB24_2064:
	s_mov_b32 s4, 0
	s_branch .LBB24_2121
.LBB24_2065:
	s_mov_b32 s0, 0
	s_mov_b32 s3, 0
                                        ; implicit-def: $vgpr0_vgpr1
                                        ; implicit-def: $sgpr2
                                        ; implicit-def: $vgpr2
.LBB24_2066:
	s_and_b32 s4, s0, exec_lo
	s_and_not1_b32 s0, s12, exec_lo
	s_and_b32 s1, s1, exec_lo
	s_and_b32 s30, s3, exec_lo
	s_or_b32 s12, s0, s1
.LBB24_2067:
	s_or_b32 exec_lo, exec_lo, s13
	s_and_saveexec_b32 s0, s12
	s_cbranch_execz .LBB24_2070
; %bb.2068:
	; divergent unreachable
	s_or_b32 exec_lo, exec_lo, s0
	s_and_saveexec_b32 s0, s30
	s_delay_alu instid0(SALU_CYCLE_1)
	s_xor_b32 s0, exec_lo, s0
	s_cbranch_execnz .LBB24_2071
.LBB24_2069:
	s_or_b32 exec_lo, exec_lo, s0
	s_and_saveexec_b32 s0, s4
	s_cbranch_execnz .LBB24_2072
	s_branch .LBB24_2109
.LBB24_2070:
	s_or_b32 exec_lo, exec_lo, s0
	s_and_saveexec_b32 s0, s30
	s_delay_alu instid0(SALU_CYCLE_1)
	s_xor_b32 s0, exec_lo, s0
	s_cbranch_execz .LBB24_2069
.LBB24_2071:
	v_cmp_neq_f16_e32 vcc_lo, 0, v2
	v_cndmask_b32_e64 v3, 0, 1, vcc_lo
	global_store_b8 v[0:1], v3, off
	s_or_b32 exec_lo, exec_lo, s0
	s_and_saveexec_b32 s0, s4
	s_cbranch_execz .LBB24_2109
.LBB24_2072:
	v_cmp_lt_i16_e64 s0, s2, 5
	s_delay_alu instid0(VALU_DEP_1)
	s_and_b32 vcc_lo, exec_lo, s0
	s_mov_b32 s0, -1
	s_cbranch_vccnz .LBB24_2093
; %bb.2073:
	v_cmp_lt_i16_e64 s0, s2, 8
	s_delay_alu instid0(VALU_DEP_1)
	s_and_b32 vcc_lo, exec_lo, s0
	s_mov_b32 s0, -1
	s_cbranch_vccnz .LBB24_2083
; %bb.2074:
	;; [unrolled: 6-line block ×3, first 2 shown]
	v_cmp_gt_i16_e64 s0, s2, 9
	s_delay_alu instid0(VALU_DEP_1)
	s_and_b32 vcc_lo, exec_lo, s0
	s_mov_b32 s0, -1
	s_cbranch_vccz .LBB24_2077
; %bb.2076:
	v_cvt_f32_f16_e32 v3, v2
	s_waitcnt vmcnt(0)
	v_mov_b32_e32 v5, 0
	s_mov_b32 s0, 0
	s_delay_alu instid0(VALU_DEP_2) | instskip(NEXT) | instid1(VALU_DEP_2)
	v_cvt_f64_f32_e32 v[3:4], v3
	v_mov_b32_e32 v6, v5
	global_store_b128 v[0:1], v[3:6], off
.LBB24_2077:
	s_and_not1_b32 vcc_lo, exec_lo, s0
	s_cbranch_vccnz .LBB24_2079
; %bb.2078:
	v_cvt_f32_f16_e32 v3, v2
	v_mov_b32_e32 v4, 0
	global_store_b64 v[0:1], v[3:4], off
.LBB24_2079:
	s_mov_b32 s0, 0
.LBB24_2080:
	s_delay_alu instid0(SALU_CYCLE_1)
	s_and_not1_b32 vcc_lo, exec_lo, s0
	s_cbranch_vccnz .LBB24_2082
; %bb.2081:
	v_and_b32_e32 v3, 0xffff, v2
	global_store_b32 v[0:1], v3, off
.LBB24_2082:
	s_mov_b32 s0, 0
.LBB24_2083:
	s_delay_alu instid0(SALU_CYCLE_1)
	s_and_not1_b32 vcc_lo, exec_lo, s0
	s_cbranch_vccnz .LBB24_2092
; %bb.2084:
	v_cmp_lt_i16_e64 s0, s2, 6
	s_delay_alu instid0(VALU_DEP_1)
	s_and_b32 vcc_lo, exec_lo, s0
	s_mov_b32 s0, -1
	s_cbranch_vccnz .LBB24_2090
; %bb.2085:
	v_cmp_gt_i16_e64 s0, s2, 6
	s_delay_alu instid0(VALU_DEP_1)
	s_and_b32 vcc_lo, exec_lo, s0
	s_mov_b32 s0, -1
	s_cbranch_vccz .LBB24_2087
; %bb.2086:
	v_cvt_f32_f16_e32 v3, v2
	s_mov_b32 s0, 0
	s_delay_alu instid0(VALU_DEP_1)
	v_cvt_f64_f32_e32 v[3:4], v3
	global_store_b64 v[0:1], v[3:4], off
.LBB24_2087:
	s_and_not1_b32 vcc_lo, exec_lo, s0
	s_cbranch_vccnz .LBB24_2089
; %bb.2088:
	v_cvt_f32_f16_e32 v3, v2
	global_store_b32 v[0:1], v3, off
.LBB24_2089:
	s_mov_b32 s0, 0
.LBB24_2090:
	s_delay_alu instid0(SALU_CYCLE_1)
	s_and_not1_b32 vcc_lo, exec_lo, s0
	s_cbranch_vccnz .LBB24_2092
; %bb.2091:
	global_store_b16 v[0:1], v2, off
.LBB24_2092:
	s_mov_b32 s0, 0
.LBB24_2093:
	s_delay_alu instid0(SALU_CYCLE_1)
	s_and_not1_b32 vcc_lo, exec_lo, s0
	s_cbranch_vccnz .LBB24_2109
; %bb.2094:
	v_cmp_lt_i16_e64 s0, s2, 2
	s_delay_alu instid0(VALU_DEP_1)
	s_and_b32 vcc_lo, exec_lo, s0
	s_mov_b32 s0, -1
	s_cbranch_vccnz .LBB24_2104
; %bb.2095:
	v_cmp_lt_i16_e64 s0, s2, 3
	s_delay_alu instid0(VALU_DEP_1)
	s_and_b32 vcc_lo, exec_lo, s0
	s_mov_b32 s0, -1
	s_cbranch_vccnz .LBB24_2101
; %bb.2096:
	v_cmp_gt_i16_e64 s0, s2, 3
	s_delay_alu instid0(VALU_DEP_1)
	s_and_b32 vcc_lo, exec_lo, s0
	s_mov_b32 s0, -1
	s_cbranch_vccz .LBB24_2098
; %bb.2097:
	v_cvt_f32_f16_e32 v3, v2
	s_mov_b32 s0, 0
	s_delay_alu instid0(VALU_DEP_1) | instskip(NEXT) | instid1(VALU_DEP_1)
	v_cvt_i32_f32_e32 v3, v3
	v_ashrrev_i32_e32 v4, 31, v3
	global_store_b64 v[0:1], v[3:4], off
.LBB24_2098:
	s_and_not1_b32 vcc_lo, exec_lo, s0
	s_cbranch_vccnz .LBB24_2100
; %bb.2099:
	v_cvt_f32_f16_e32 v3, v2
	s_delay_alu instid0(VALU_DEP_1)
	v_cvt_i32_f32_e32 v3, v3
	global_store_b32 v[0:1], v3, off
.LBB24_2100:
	s_mov_b32 s0, 0
.LBB24_2101:
	s_delay_alu instid0(SALU_CYCLE_1)
	s_and_not1_b32 vcc_lo, exec_lo, s0
	s_cbranch_vccnz .LBB24_2103
; %bb.2102:
	v_cvt_i16_f16_e32 v3, v2
	global_store_b16 v[0:1], v3, off
.LBB24_2103:
	s_mov_b32 s0, 0
.LBB24_2104:
	s_delay_alu instid0(SALU_CYCLE_1)
	s_and_not1_b32 vcc_lo, exec_lo, s0
	s_cbranch_vccnz .LBB24_2109
; %bb.2105:
	v_cmp_gt_i16_e64 s0, s2, 0
	s_delay_alu instid0(VALU_DEP_1)
	s_and_b32 vcc_lo, exec_lo, s0
	s_mov_b32 s0, -1
	s_cbranch_vccz .LBB24_2107
; %bb.2106:
	v_cvt_i16_f16_e32 v3, v2
	s_mov_b32 s0, 0
	global_store_b8 v[0:1], v3, off
.LBB24_2107:
	s_and_not1_b32 vcc_lo, exec_lo, s0
	s_cbranch_vccnz .LBB24_2109
; %bb.2108:
	v_cvt_f32_f16_e32 v2, v2
	s_delay_alu instid0(VALU_DEP_1)
	v_cvt_i32_f32_e32 v2, v2
	global_store_b8 v[0:1], v2, off
	s_nop 0
	s_sendmsg sendmsg(MSG_DEALLOC_VGPRS)
	s_endpgm
.LBB24_2109:
	s_nop 0
	s_sendmsg sendmsg(MSG_DEALLOC_VGPRS)
	s_endpgm
.LBB24_2110:
	s_mov_b32 s0, 0
	s_branch .LBB24_2131
.LBB24_2111:
	s_or_saveexec_b32 s8, s8
                                        ; implicit-def: $sgpr9
	s_delay_alu instid0(SALU_CYCLE_1)
	s_xor_b32 exec_lo, exec_lo, s8
	s_cbranch_execz .LBB24_1967
.LBB24_2112:
	v_add_f32_e64 v7, 0x46000000, |v4|
	s_and_not1_b32 s7, s7, exec_lo
	s_mov_b32 s9, 0
	s_delay_alu instid0(VALU_DEP_1) | instskip(NEXT) | instid1(VALU_DEP_1)
	v_and_b32_e32 v7, 0xff, v7
	v_cmp_ne_u32_e32 vcc_lo, 0, v7
	s_and_b32 s10, vcc_lo, exec_lo
	s_delay_alu instid0(SALU_CYCLE_1)
	s_or_b32 s7, s7, s10
	s_or_b32 exec_lo, exec_lo, s8
	v_mov_b32_e32 v8, s9
	s_and_saveexec_b32 s8, s7
	s_cbranch_execnz .LBB24_1968
	s_branch .LBB24_1969
.LBB24_2113:
	s_mov_b32 s0, 0
	s_branch .LBB24_2127
.LBB24_2114:
	s_trap 2
	s_sendmsg_rtn_b32 s0, sendmsg(MSG_RTN_GET_DOORBELL)
	s_mov_b32 ttmp2, m0
	s_waitcnt lgkmcnt(0)
	s_and_b32 s0, s0, 0x3ff
	s_delay_alu instid0(SALU_CYCLE_1) | instskip(NEXT) | instid1(SALU_CYCLE_1)
	s_bitset1_b32 s0, 10
	s_mov_b32 m0, s0
	s_sendmsg sendmsg(MSG_INTERRUPT)
	s_mov_b32 m0, ttmp2
.LBB24_2115:                            ; =>This Inner Loop Header: Depth=1
	s_sethalt 5
	s_branch .LBB24_2115
.LBB24_2116:
	s_cbranch_execnz .LBB24_2191
; %bb.2117:
	s_or_b32 s1, s1, exec_lo
	s_cbranch_execz .LBB24_2015
	s_branch .LBB24_2016
.LBB24_2118:
	s_or_saveexec_b32 s7, s7
                                        ; implicit-def: $sgpr8
	s_delay_alu instid0(SALU_CYCLE_1)
	s_xor_b32 exec_lo, exec_lo, s7
	s_cbranch_execz .LBB24_1980
.LBB24_2119:
	v_add_f32_e64 v7, 0x42800000, |v4|
	s_and_not1_b32 s6, s6, exec_lo
	s_mov_b32 s8, 0
	s_delay_alu instid0(VALU_DEP_1) | instskip(NEXT) | instid1(VALU_DEP_1)
	v_and_b32_e32 v7, 0xff, v7
	v_cmp_ne_u32_e32 vcc_lo, 0, v7
	s_and_b32 s9, vcc_lo, exec_lo
	s_delay_alu instid0(SALU_CYCLE_1)
	s_or_b32 s6, s6, s9
	s_or_b32 exec_lo, exec_lo, s7
	v_mov_b32_e32 v8, s8
	s_and_saveexec_b32 s7, s6
	s_cbranch_execnz .LBB24_1981
	s_branch .LBB24_1982
.LBB24_2120:
	s_mov_b32 s0, 0
.LBB24_2121:
	s_and_b32 vcc_lo, exec_lo, s4
	s_cbranch_vccz .LBB24_2126
; %bb.2122:
	v_cmp_eq_u16_e64 s0, s2, 44
	s_delay_alu instid0(VALU_DEP_1)
	s_and_b32 vcc_lo, exec_lo, s0
	s_mov_b32 s0, -1
	s_cbranch_vccz .LBB24_2126
; %bb.2123:
	v_cvt_f32_f16_e32 v3, v2
	v_mov_b32_e32 v4, 0xff
	s_mov_b32 s4, exec_lo
	s_delay_alu instid0(VALU_DEP_2) | instskip(NEXT) | instid1(VALU_DEP_1)
	v_bfe_u32 v5, v3, 23, 8
	v_cmpx_ne_u32_e32 0xff, v5
; %bb.2124:
	v_and_b32_e32 v4, 0x400000, v3
	v_and_or_b32 v5, 0x3fffff, v3, v5
	v_lshrrev_b32_e32 v3, 23, v3
	s_delay_alu instid0(VALU_DEP_3) | instskip(NEXT) | instid1(VALU_DEP_3)
	v_cmp_ne_u32_e32 vcc_lo, 0, v4
	v_cmp_ne_u32_e64 s0, 0, v5
	s_delay_alu instid0(VALU_DEP_1) | instskip(NEXT) | instid1(SALU_CYCLE_1)
	s_and_b32 s0, vcc_lo, s0
	v_cndmask_b32_e64 v4, 0, 1, s0
	s_delay_alu instid0(VALU_DEP_1)
	v_add_nc_u32_e32 v4, v3, v4
; %bb.2125:
	s_or_b32 exec_lo, exec_lo, s4
	s_mov_b32 s0, 0
	global_store_b8 v[0:1], v4, off
.LBB24_2126:
	s_mov_b32 s4, 0
.LBB24_2127:
	s_delay_alu instid0(SALU_CYCLE_1)
	s_and_b32 vcc_lo, exec_lo, s4
	s_cbranch_vccz .LBB24_2130
; %bb.2128:
	v_cmp_eq_u16_e64 s0, s2, 29
	s_delay_alu instid0(VALU_DEP_1)
	s_and_b32 vcc_lo, exec_lo, s0
	s_mov_b32 s0, -1
	s_cbranch_vccz .LBB24_2130
; %bb.2129:
	v_cvt_f32_f16_e32 v3, v2
	v_mov_b32_e32 v4, 0
	s_mov_b32 s0, 0
	s_delay_alu instid0(VALU_DEP_2)
	v_cvt_u32_f32_e32 v3, v3
	global_store_b64 v[0:1], v[3:4], off
.LBB24_2130:
	s_mov_b32 s4, 0
.LBB24_2131:
	s_delay_alu instid0(SALU_CYCLE_1)
	s_and_b32 vcc_lo, exec_lo, s4
	s_cbranch_vccz .LBB24_2146
; %bb.2132:
	v_cmp_lt_i16_e64 s4, s2, 27
	s_delay_alu instid0(VALU_DEP_1)
	s_and_b32 vcc_lo, exec_lo, s4
	s_mov_b32 s4, -1
	s_cbranch_vccnz .LBB24_2138
; %bb.2133:
	v_cmp_gt_i16_e64 s4, s2, 27
	s_delay_alu instid0(VALU_DEP_1)
	s_and_b32 vcc_lo, exec_lo, s4
	s_mov_b32 s4, -1
	s_cbranch_vccz .LBB24_2135
; %bb.2134:
	v_cvt_f32_f16_e32 v3, v2
	s_mov_b32 s4, 0
	s_delay_alu instid0(VALU_DEP_1)
	v_cvt_u32_f32_e32 v3, v3
	global_store_b32 v[0:1], v3, off
.LBB24_2135:
	s_and_not1_b32 vcc_lo, exec_lo, s4
	s_cbranch_vccnz .LBB24_2137
; %bb.2136:
	v_cvt_u16_f16_e32 v3, v2
	global_store_b16 v[0:1], v3, off
.LBB24_2137:
	s_mov_b32 s4, 0
.LBB24_2138:
	s_delay_alu instid0(SALU_CYCLE_1)
	s_and_not1_b32 vcc_lo, exec_lo, s4
	s_cbranch_vccnz .LBB24_2146
; %bb.2139:
	v_cvt_f32_f16_e32 v3, v2
	v_mov_b32_e32 v5, 0x80
	s_mov_b32 s4, exec_lo
	s_delay_alu instid0(VALU_DEP_2) | instskip(NEXT) | instid1(VALU_DEP_1)
	v_and_b32_e32 v4, 0x7fffffff, v3
	v_cmpx_gt_u32_e32 0x43800000, v4
	s_cbranch_execz .LBB24_2145
; %bb.2140:
	v_cmp_lt_u32_e32 vcc_lo, 0x3bffffff, v4
	s_mov_b32 s5, 0
                                        ; implicit-def: $vgpr4
	s_and_saveexec_b32 s6, vcc_lo
	s_delay_alu instid0(SALU_CYCLE_1)
	s_xor_b32 s6, exec_lo, s6
	s_cbranch_execz .LBB24_2189
; %bb.2141:
	v_bfe_u32 v4, v3, 20, 1
	s_mov_b32 s5, exec_lo
	s_delay_alu instid0(VALU_DEP_1) | instskip(NEXT) | instid1(VALU_DEP_1)
	v_add3_u32 v4, v3, v4, 0x487ffff
	v_lshrrev_b32_e32 v4, 20, v4
	s_or_saveexec_b32 s6, s6
                                        ; implicit-def: $sgpr7
	s_delay_alu instid0(SALU_CYCLE_1)
	s_xor_b32 exec_lo, exec_lo, s6
	s_cbranch_execnz .LBB24_2190
.LBB24_2142:
	s_or_b32 exec_lo, exec_lo, s6
	v_mov_b32_e32 v5, s7
	s_and_saveexec_b32 s6, s5
.LBB24_2143:
	v_lshrrev_b32_e32 v3, 24, v3
	s_delay_alu instid0(VALU_DEP_1)
	v_and_or_b32 v5, 0x80, v3, v4
.LBB24_2144:
	s_or_b32 exec_lo, exec_lo, s6
.LBB24_2145:
	s_delay_alu instid0(SALU_CYCLE_1)
	s_or_b32 exec_lo, exec_lo, s4
	global_store_b8 v[0:1], v5, off
.LBB24_2146:
	s_mov_b32 s4, 0
.LBB24_2147:
	s_delay_alu instid0(SALU_CYCLE_1)
	s_and_b32 vcc_lo, exec_lo, s4
	s_cbranch_vccz .LBB24_2187
; %bb.2148:
	v_cmp_gt_i16_e64 s3, s2, 22
	s_delay_alu instid0(VALU_DEP_1)
	s_and_b32 vcc_lo, exec_lo, s3
	s_mov_b32 s3, -1
	s_cbranch_vccz .LBB24_2180
; %bb.2149:
	v_cmp_lt_i16_e64 s3, s2, 24
	s_delay_alu instid0(VALU_DEP_1)
	s_and_b32 vcc_lo, exec_lo, s3
	s_mov_b32 s3, -1
	s_cbranch_vccnz .LBB24_2169
; %bb.2150:
	v_cmp_gt_i16_e64 s3, s2, 24
	s_delay_alu instid0(VALU_DEP_1)
	s_and_b32 vcc_lo, exec_lo, s3
	s_mov_b32 s3, -1
	s_cbranch_vccz .LBB24_2158
; %bb.2151:
	v_cvt_f32_f16_e32 v3, v2
	v_mov_b32_e32 v5, 0x80
	s_mov_b32 s3, exec_lo
	s_delay_alu instid0(VALU_DEP_2) | instskip(NEXT) | instid1(VALU_DEP_1)
	v_and_b32_e32 v4, 0x7fffffff, v3
	v_cmpx_gt_u32_e32 0x47800000, v4
	s_cbranch_execz .LBB24_2157
; %bb.2152:
	v_cmp_lt_u32_e32 vcc_lo, 0x37ffffff, v4
	s_mov_b32 s4, 0
                                        ; implicit-def: $vgpr4
	s_and_saveexec_b32 s5, vcc_lo
	s_delay_alu instid0(SALU_CYCLE_1)
	s_xor_b32 s5, exec_lo, s5
	s_cbranch_execz .LBB24_2195
; %bb.2153:
	v_bfe_u32 v4, v3, 21, 1
	s_mov_b32 s4, exec_lo
	s_delay_alu instid0(VALU_DEP_1) | instskip(NEXT) | instid1(VALU_DEP_1)
	v_add3_u32 v4, v3, v4, 0x88fffff
	v_lshrrev_b32_e32 v4, 21, v4
	s_or_saveexec_b32 s5, s5
                                        ; implicit-def: $sgpr6
	s_delay_alu instid0(SALU_CYCLE_1)
	s_xor_b32 exec_lo, exec_lo, s5
	s_cbranch_execnz .LBB24_2196
.LBB24_2154:
	s_or_b32 exec_lo, exec_lo, s5
	v_mov_b32_e32 v5, s6
	s_and_saveexec_b32 s5, s4
.LBB24_2155:
	v_lshrrev_b32_e32 v3, 24, v3
	s_delay_alu instid0(VALU_DEP_1)
	v_and_or_b32 v5, 0x80, v3, v4
.LBB24_2156:
	s_or_b32 exec_lo, exec_lo, s5
.LBB24_2157:
	s_delay_alu instid0(SALU_CYCLE_1)
	s_or_b32 exec_lo, exec_lo, s3
	s_mov_b32 s3, 0
	global_store_b8 v[0:1], v5, off
.LBB24_2158:
	s_and_b32 vcc_lo, exec_lo, s3
	s_cbranch_vccz .LBB24_2168
; %bb.2159:
	v_cvt_f32_f16_e32 v3, v2
	s_mov_b32 s3, exec_lo
                                        ; implicit-def: $vgpr4
	s_delay_alu instid0(VALU_DEP_1) | instskip(NEXT) | instid1(VALU_DEP_1)
	v_and_b32_e32 v5, 0x7fffffff, v3
	v_cmpx_gt_u32_e32 0x43f00000, v5
	s_xor_b32 s3, exec_lo, s3
	s_cbranch_execz .LBB24_2165
; %bb.2160:
	s_mov_b32 s4, exec_lo
                                        ; implicit-def: $vgpr4
	v_cmpx_lt_u32_e32 0x3c7fffff, v5
	s_xor_b32 s4, exec_lo, s4
; %bb.2161:
	v_bfe_u32 v4, v3, 20, 1
	s_delay_alu instid0(VALU_DEP_1) | instskip(NEXT) | instid1(VALU_DEP_1)
	v_add3_u32 v4, v3, v4, 0x407ffff
	v_and_b32_e32 v5, 0xff00000, v4
	v_lshrrev_b32_e32 v4, 20, v4
	s_delay_alu instid0(VALU_DEP_2) | instskip(NEXT) | instid1(VALU_DEP_2)
	v_cmp_ne_u32_e32 vcc_lo, 0x7f00000, v5
	v_cndmask_b32_e32 v4, 0x7e, v4, vcc_lo
; %bb.2162:
	s_and_not1_saveexec_b32 s4, s4
; %bb.2163:
	v_add_f32_e64 v4, 0x46800000, |v3|
; %bb.2164:
	s_or_b32 exec_lo, exec_lo, s4
                                        ; implicit-def: $vgpr5
.LBB24_2165:
	s_and_not1_saveexec_b32 s3, s3
; %bb.2166:
	v_mov_b32_e32 v4, 0x7f
	v_cmp_lt_u32_e32 vcc_lo, 0x7f800000, v5
	s_delay_alu instid0(VALU_DEP_2)
	v_cndmask_b32_e32 v4, 0x7e, v4, vcc_lo
; %bb.2167:
	s_or_b32 exec_lo, exec_lo, s3
	v_lshrrev_b32_e32 v3, 24, v3
	s_delay_alu instid0(VALU_DEP_1)
	v_and_or_b32 v3, 0x80, v3, v4
	global_store_b8 v[0:1], v3, off
.LBB24_2168:
	s_mov_b32 s3, 0
.LBB24_2169:
	s_delay_alu instid0(SALU_CYCLE_1)
	s_and_not1_b32 vcc_lo, exec_lo, s3
	s_cbranch_vccnz .LBB24_2179
; %bb.2170:
	v_cvt_f32_f16_e32 v3, v2
	s_mov_b32 s3, exec_lo
                                        ; implicit-def: $vgpr4
	s_delay_alu instid0(VALU_DEP_1) | instskip(NEXT) | instid1(VALU_DEP_1)
	v_and_b32_e32 v5, 0x7fffffff, v3
	v_cmpx_gt_u32_e32 0x47800000, v5
	s_xor_b32 s3, exec_lo, s3
	s_cbranch_execz .LBB24_2176
; %bb.2171:
	s_mov_b32 s4, exec_lo
                                        ; implicit-def: $vgpr4
	v_cmpx_lt_u32_e32 0x387fffff, v5
	s_xor_b32 s4, exec_lo, s4
; %bb.2172:
	v_bfe_u32 v4, v3, 21, 1
	s_delay_alu instid0(VALU_DEP_1) | instskip(NEXT) | instid1(VALU_DEP_1)
	v_add3_u32 v4, v3, v4, 0x80fffff
	v_lshrrev_b32_e32 v4, 21, v4
; %bb.2173:
	s_and_not1_saveexec_b32 s4, s4
; %bb.2174:
	v_add_f32_e64 v4, 0x43000000, |v3|
; %bb.2175:
	s_or_b32 exec_lo, exec_lo, s4
                                        ; implicit-def: $vgpr5
.LBB24_2176:
	s_and_not1_saveexec_b32 s3, s3
; %bb.2177:
	v_mov_b32_e32 v4, 0x7f
	v_cmp_lt_u32_e32 vcc_lo, 0x7f800000, v5
	s_delay_alu instid0(VALU_DEP_2)
	v_cndmask_b32_e32 v4, 0x7c, v4, vcc_lo
; %bb.2178:
	s_or_b32 exec_lo, exec_lo, s3
	v_lshrrev_b32_e32 v3, 24, v3
	s_delay_alu instid0(VALU_DEP_1)
	v_and_or_b32 v3, 0x80, v3, v4
	global_store_b8 v[0:1], v3, off
.LBB24_2179:
	s_mov_b32 s3, 0
.LBB24_2180:
	s_delay_alu instid0(SALU_CYCLE_1)
	s_and_not1_b32 vcc_lo, exec_lo, s3
	s_mov_b32 s3, 0
	s_cbranch_vccnz .LBB24_2187
; %bb.2181:
	v_cmp_gt_i16_e64 s3, s2, 14
	s_delay_alu instid0(VALU_DEP_1)
	s_and_b32 vcc_lo, exec_lo, s3
	s_mov_b32 s3, -1
	s_cbranch_vccz .LBB24_2185
; %bb.2182:
	v_cmp_eq_u16_e64 s0, s2, 15
	s_delay_alu instid0(VALU_DEP_1)
	s_and_b32 vcc_lo, exec_lo, s0
	s_mov_b32 s0, -1
	s_cbranch_vccz .LBB24_2184
; %bb.2183:
	v_cvt_f32_f16_e32 v3, v2
	v_cmp_o_f16_e32 vcc_lo, v2, v2
	s_mov_b32 s0, 0
	s_delay_alu instid0(VALU_DEP_2) | instskip(NEXT) | instid1(VALU_DEP_1)
	v_bfe_u32 v4, v3, 16, 1
	v_add3_u32 v3, v3, v4, 0x7fff
	s_delay_alu instid0(VALU_DEP_1) | instskip(NEXT) | instid1(VALU_DEP_1)
	v_lshrrev_b32_e32 v3, 16, v3
	v_cndmask_b32_e32 v3, 0x7fc0, v3, vcc_lo
	global_store_b16 v[0:1], v3, off
.LBB24_2184:
	s_mov_b32 s3, 0
.LBB24_2185:
	s_delay_alu instid0(SALU_CYCLE_1)
	s_and_b32 vcc_lo, exec_lo, s3
	s_mov_b32 s3, 0
	s_cbranch_vccz .LBB24_2187
; %bb.2186:
	v_cmp_ne_u16_e64 s0, s2, 11
	s_mov_b32 s3, -1
.LBB24_2187:
	s_delay_alu instid0(VALU_DEP_1)
	s_and_b32 vcc_lo, exec_lo, s0
	s_cbranch_vccnz .LBB24_2193
.LBB24_2188:
	s_mov_b32 s0, 0
	s_branch .LBB24_2066
.LBB24_2189:
	s_or_saveexec_b32 s6, s6
                                        ; implicit-def: $sgpr7
	s_delay_alu instid0(SALU_CYCLE_1)
	s_xor_b32 exec_lo, exec_lo, s6
	s_cbranch_execz .LBB24_2142
.LBB24_2190:
	v_add_f32_e64 v4, 0x46000000, |v3|
	s_and_not1_b32 s5, s5, exec_lo
	s_mov_b32 s7, 0
	s_delay_alu instid0(VALU_DEP_1) | instskip(NEXT) | instid1(VALU_DEP_1)
	v_and_b32_e32 v4, 0xff, v4
	v_cmp_ne_u32_e32 vcc_lo, 0, v4
	s_and_b32 s8, vcc_lo, exec_lo
	s_delay_alu instid0(SALU_CYCLE_1)
	s_or_b32 s5, s5, s8
	s_or_b32 exec_lo, exec_lo, s6
	v_mov_b32_e32 v5, s7
	s_and_saveexec_b32 s6, s5
	s_cbranch_execnz .LBB24_2143
	s_branch .LBB24_2144
.LBB24_2191:
	s_trap 2
	s_sendmsg_rtn_b32 s0, sendmsg(MSG_RTN_GET_DOORBELL)
	s_mov_b32 ttmp2, m0
	s_waitcnt lgkmcnt(0)
	s_and_b32 s0, s0, 0x3ff
	s_delay_alu instid0(SALU_CYCLE_1) | instskip(NEXT) | instid1(SALU_CYCLE_1)
	s_bitset1_b32 s0, 10
	s_mov_b32 m0, s0
	s_sendmsg sendmsg(MSG_INTERRUPT)
	s_mov_b32 m0, ttmp2
.LBB24_2192:                            ; =>This Inner Loop Header: Depth=1
	s_sethalt 5
	s_branch .LBB24_2192
.LBB24_2193:
	s_cbranch_execnz .LBB24_2197
; %bb.2194:
	s_mov_b32 s3, 0
	s_or_b32 s1, s1, exec_lo
	s_branch .LBB24_2188
.LBB24_2195:
	s_or_saveexec_b32 s5, s5
                                        ; implicit-def: $sgpr6
	s_delay_alu instid0(SALU_CYCLE_1)
	s_xor_b32 exec_lo, exec_lo, s5
	s_cbranch_execz .LBB24_2154
.LBB24_2196:
	v_add_f32_e64 v4, 0x42800000, |v3|
	s_and_not1_b32 s4, s4, exec_lo
	s_mov_b32 s6, 0
	s_delay_alu instid0(VALU_DEP_1) | instskip(NEXT) | instid1(VALU_DEP_1)
	v_and_b32_e32 v4, 0xff, v4
	v_cmp_ne_u32_e32 vcc_lo, 0, v4
	s_and_b32 s7, vcc_lo, exec_lo
	s_delay_alu instid0(SALU_CYCLE_1)
	s_or_b32 s4, s4, s7
	s_or_b32 exec_lo, exec_lo, s5
	v_mov_b32_e32 v5, s6
	s_and_saveexec_b32 s5, s4
	s_cbranch_execnz .LBB24_2155
	s_branch .LBB24_2156
.LBB24_2197:
	s_trap 2
	s_sendmsg_rtn_b32 s0, sendmsg(MSG_RTN_GET_DOORBELL)
	s_mov_b32 ttmp2, m0
	s_waitcnt lgkmcnt(0)
	s_and_b32 s0, s0, 0x3ff
	s_delay_alu instid0(SALU_CYCLE_1) | instskip(NEXT) | instid1(SALU_CYCLE_1)
	s_bitset1_b32 s0, 10
	s_mov_b32 m0, s0
	s_sendmsg sendmsg(MSG_INTERRUPT)
	s_mov_b32 m0, ttmp2
.LBB24_2198:                            ; =>This Inner Loop Header: Depth=1
	s_sethalt 5
	s_branch .LBB24_2198
	.section	.rodata,"a",@progbits
	.p2align	6, 0x0
	.amdhsa_kernel _ZN2at6native32elementwise_kernel_manual_unrollILi128ELi4EZNS0_15gpu_kernel_implIZZZNS0_12_GLOBAL__N_139_amp_non_finite_check_and_unscale_cuda_ERNS_6TensorES5_RKS4_ENKUlvE_clEvENKUlvE1_clEvEUlN3c104HalfEE_EEvRNS_18TensorIteratorBaseERKT_EUlibE0_EEviT1_
		.amdhsa_group_segment_fixed_size 0
		.amdhsa_private_segment_fixed_size 0
		.amdhsa_kernarg_size 376
		.amdhsa_user_sgpr_count 15
		.amdhsa_user_sgpr_dispatch_ptr 0
		.amdhsa_user_sgpr_queue_ptr 0
		.amdhsa_user_sgpr_kernarg_segment_ptr 1
		.amdhsa_user_sgpr_dispatch_id 0
		.amdhsa_user_sgpr_private_segment_size 0
		.amdhsa_wavefront_size32 1
		.amdhsa_uses_dynamic_stack 0
		.amdhsa_enable_private_segment 0
		.amdhsa_system_sgpr_workgroup_id_x 1
		.amdhsa_system_sgpr_workgroup_id_y 0
		.amdhsa_system_sgpr_workgroup_id_z 0
		.amdhsa_system_sgpr_workgroup_info 0
		.amdhsa_system_vgpr_workitem_id 0
		.amdhsa_next_free_vgpr 21
		.amdhsa_next_free_sgpr 72
		.amdhsa_reserve_vcc 1
		.amdhsa_float_round_mode_32 0
		.amdhsa_float_round_mode_16_64 0
		.amdhsa_float_denorm_mode_32 3
		.amdhsa_float_denorm_mode_16_64 3
		.amdhsa_dx10_clamp 1
		.amdhsa_ieee_mode 1
		.amdhsa_fp16_overflow 0
		.amdhsa_workgroup_processor_mode 1
		.amdhsa_memory_ordered 1
		.amdhsa_forward_progress 0
		.amdhsa_shared_vgpr_count 0
		.amdhsa_exception_fp_ieee_invalid_op 0
		.amdhsa_exception_fp_denorm_src 0
		.amdhsa_exception_fp_ieee_div_zero 0
		.amdhsa_exception_fp_ieee_overflow 0
		.amdhsa_exception_fp_ieee_underflow 0
		.amdhsa_exception_fp_ieee_inexact 0
		.amdhsa_exception_int_div_zero 0
	.end_amdhsa_kernel
	.section	.text._ZN2at6native32elementwise_kernel_manual_unrollILi128ELi4EZNS0_15gpu_kernel_implIZZZNS0_12_GLOBAL__N_139_amp_non_finite_check_and_unscale_cuda_ERNS_6TensorES5_RKS4_ENKUlvE_clEvENKUlvE1_clEvEUlN3c104HalfEE_EEvRNS_18TensorIteratorBaseERKT_EUlibE0_EEviT1_,"axG",@progbits,_ZN2at6native32elementwise_kernel_manual_unrollILi128ELi4EZNS0_15gpu_kernel_implIZZZNS0_12_GLOBAL__N_139_amp_non_finite_check_and_unscale_cuda_ERNS_6TensorES5_RKS4_ENKUlvE_clEvENKUlvE1_clEvEUlN3c104HalfEE_EEvRNS_18TensorIteratorBaseERKT_EUlibE0_EEviT1_,comdat
.Lfunc_end24:
	.size	_ZN2at6native32elementwise_kernel_manual_unrollILi128ELi4EZNS0_15gpu_kernel_implIZZZNS0_12_GLOBAL__N_139_amp_non_finite_check_and_unscale_cuda_ERNS_6TensorES5_RKS4_ENKUlvE_clEvENKUlvE1_clEvEUlN3c104HalfEE_EEvRNS_18TensorIteratorBaseERKT_EUlibE0_EEviT1_, .Lfunc_end24-_ZN2at6native32elementwise_kernel_manual_unrollILi128ELi4EZNS0_15gpu_kernel_implIZZZNS0_12_GLOBAL__N_139_amp_non_finite_check_and_unscale_cuda_ERNS_6TensorES5_RKS4_ENKUlvE_clEvENKUlvE1_clEvEUlN3c104HalfEE_EEvRNS_18TensorIteratorBaseERKT_EUlibE0_EEviT1_
                                        ; -- End function
	.section	.AMDGPU.csdata,"",@progbits
; Kernel info:
; codeLenInByte = 43396
; NumSgprs: 74
; NumVgprs: 21
; ScratchSize: 0
; MemoryBound: 0
; FloatMode: 240
; IeeeMode: 1
; LDSByteSize: 0 bytes/workgroup (compile time only)
; SGPRBlocks: 9
; VGPRBlocks: 2
; NumSGPRsForWavesPerEU: 74
; NumVGPRsForWavesPerEU: 21
; Occupancy: 16
; WaveLimiterHint : 1
; COMPUTE_PGM_RSRC2:SCRATCH_EN: 0
; COMPUTE_PGM_RSRC2:USER_SGPR: 15
; COMPUTE_PGM_RSRC2:TRAP_HANDLER: 0
; COMPUTE_PGM_RSRC2:TGID_X_EN: 1
; COMPUTE_PGM_RSRC2:TGID_Y_EN: 0
; COMPUTE_PGM_RSRC2:TGID_Z_EN: 0
; COMPUTE_PGM_RSRC2:TIDIG_COMP_CNT: 0
	.section	.text._ZN2at6native12_GLOBAL__N_125multi_tensor_apply_kernelINS1_18TensorListMetadataILi1EEENS1_14UnaryOpFunctorIdLi1ELi1ELi0EEEJZZZNS0_47_amp_foreach_non_finite_check_and_unscale_cuda_EN3c108ArrayRefINS_6TensorEEERS9_RKS9_ENKUlvE_clEvENKUlvE_clEvEUldE_EEEvT_T0_DpT1_,"axG",@progbits,_ZN2at6native12_GLOBAL__N_125multi_tensor_apply_kernelINS1_18TensorListMetadataILi1EEENS1_14UnaryOpFunctorIdLi1ELi1ELi0EEEJZZZNS0_47_amp_foreach_non_finite_check_and_unscale_cuda_EN3c108ArrayRefINS_6TensorEEERS9_RKS9_ENKUlvE_clEvENKUlvE_clEvEUldE_EEEvT_T0_DpT1_,comdat
	.globl	_ZN2at6native12_GLOBAL__N_125multi_tensor_apply_kernelINS1_18TensorListMetadataILi1EEENS1_14UnaryOpFunctorIdLi1ELi1ELi0EEEJZZZNS0_47_amp_foreach_non_finite_check_and_unscale_cuda_EN3c108ArrayRefINS_6TensorEEERS9_RKS9_ENKUlvE_clEvENKUlvE_clEvEUldE_EEEvT_T0_DpT1_ ; -- Begin function _ZN2at6native12_GLOBAL__N_125multi_tensor_apply_kernelINS1_18TensorListMetadataILi1EEENS1_14UnaryOpFunctorIdLi1ELi1ELi0EEEJZZZNS0_47_amp_foreach_non_finite_check_and_unscale_cuda_EN3c108ArrayRefINS_6TensorEEERS9_RKS9_ENKUlvE_clEvENKUlvE_clEvEUldE_EEEvT_T0_DpT1_
	.p2align	8
	.type	_ZN2at6native12_GLOBAL__N_125multi_tensor_apply_kernelINS1_18TensorListMetadataILi1EEENS1_14UnaryOpFunctorIdLi1ELi1ELi0EEEJZZZNS0_47_amp_foreach_non_finite_check_and_unscale_cuda_EN3c108ArrayRefINS_6TensorEEERS9_RKS9_ENKUlvE_clEvENKUlvE_clEvEUldE_EEEvT_T0_DpT1_,@function
_ZN2at6native12_GLOBAL__N_125multi_tensor_apply_kernelINS1_18TensorListMetadataILi1EEENS1_14UnaryOpFunctorIdLi1ELi1ELi0EEEJZZZNS0_47_amp_foreach_non_finite_check_and_unscale_cuda_EN3c108ArrayRefINS_6TensorEEERS9_RKS9_ENKUlvE_clEvENKUlvE_clEvEUldE_EEEvT_T0_DpT1_: ; @_ZN2at6native12_GLOBAL__N_125multi_tensor_apply_kernelINS1_18TensorListMetadataILi1EEENS1_14UnaryOpFunctorIdLi1ELi1ELi0EEEJZZZNS0_47_amp_foreach_non_finite_check_and_unscale_cuda_EN3c108ArrayRefINS_6TensorEEERS9_RKS9_ENKUlvE_clEvENKUlvE_clEvEUldE_EEEvT_T0_DpT1_
; %bb.0:
	v_mov_b32_e32 v1, s15
	s_add_u32 s2, s0, s15
	s_mul_hi_u32 s3, s15, 3
	s_mul_i32 s15, s15, 3
	s_addc_u32 s4, s1, 0
	global_load_u8 v1, v1, s[0:1] offset:1760
	s_add_u32 s2, s2, s15
	s_addc_u32 s3, s4, s3
	s_mov_b32 s17, 0
	s_load_b32 s2, s[2:3], 0x820
	s_waitcnt vmcnt(0)
	v_readfirstlane_b32 s3, v1
	s_delay_alu instid0(VALU_DEP_1)
	s_lshl_b32 s3, s3, 3
	s_clause 0x2
	s_load_b64 s[12:13], s[0:1], s3 offset:0x0
	s_load_b64 s[4:5], s[0:1], s3 offset:0x370
	s_load_b128 s[8:11], s[0:1], 0xd30
	s_waitcnt lgkmcnt(0)
	s_ashr_i32 s3, s2, 31
	s_delay_alu instid0(SALU_CYCLE_1)
	s_lshl_b64 s[14:15], s[2:3], 19
	s_lshl_b64 s[2:3], s[2:3], 16
	s_and_b32 s16, s12, 31
	s_sub_u32 s6, s4, s2
	s_subb_u32 s7, s5, s3
	s_and_b32 s2, s4, 3
	s_mov_b32 s3, s17
	s_delay_alu instid0(SALU_CYCLE_1) | instskip(NEXT) | instid1(SALU_CYCLE_1)
	s_or_b64 s[2:3], s[16:17], s[2:3]
	s_cmp_eq_u64 s[2:3], 0
	s_cbranch_scc1 .LBB25_29
; %bb.1:
	v_cmp_lt_i64_e64 s2, s[6:7], 1
	s_delay_alu instid0(VALU_DEP_1)
	s_and_b32 vcc_lo, exec_lo, s2
	s_cbranch_vccnz .LBB25_28
; %bb.2:
	s_load_b32 s2, s[0:1], 0xd4c
	v_cmp_gt_u64_e64 s3, 0x10000, s[6:7]
	v_lshlrev_b32_e32 v1, 3, v0
	v_dual_mov_b32 v21, 0 :: v_dual_mov_b32 v28, 1.0
	s_waitcnt lgkmcnt(0)
	s_and_b32 s2, s2, 0xffff
	s_delay_alu instid0(VALU_DEP_3)
	s_and_b32 s3, s3, exec_lo
	v_add_co_u32 v22, s5, v0, s2
	s_cselect_b32 s17, s7, 0
	s_cselect_b32 s16, s6, 0x10000
	s_lshl_b32 s3, s2, 1
	s_lshl_b32 s20, s2, 2
	v_lshlrev_b32_e32 v3, 3, v22
	v_add_co_ci_u32_e64 v23, null, 0, 0, s5
	s_add_u32 s5, s12, s14
	v_add_co_u32 v26, s3, s3, v0
	s_mul_i32 s4, s2, 3
	s_addc_u32 s18, s13, s15
	v_add_co_ci_u32_e64 v27, null, 0, 0, s3
	v_add_co_u32 v1, s3, s5, v1
	v_add_co_u32 v24, s4, s4, v0
	v_add_co_ci_u32_e64 v2, null, s18, 0, s3
	v_add_co_u32 v3, s3, s5, v3
	v_add_co_ci_u32_e64 v25, null, 0, 0, s4
	v_add_co_ci_u32_e64 v4, null, s18, 0, s3
	s_lshl_b32 s21, s2, 5
	s_mul_i32 s22, s2, 24
	s_lshl_b32 s23, s2, 4
	s_mov_b64 s[18:19], 0
	s_branch .LBB25_4
.LBB25_3:                               ;   in Loop: Header=BB25_4 Depth=1
	s_or_b32 exec_lo, exec_lo, s2
	s_add_u32 s18, s18, s20
	s_addc_u32 s19, s19, 0
	v_add_co_u32 v1, vcc_lo, v1, s21
	v_cmp_ge_i64_e64 s2, s[18:19], s[6:7]
	v_cmp_lt_u64_e64 s3, 0xffff, s[18:19]
	v_add_co_ci_u32_e32 v2, vcc_lo, 0, v2, vcc_lo
	v_add_co_u32 v3, vcc_lo, v3, s21
	v_add_co_ci_u32_e32 v4, vcc_lo, 0, v4, vcc_lo
	s_delay_alu instid0(VALU_DEP_4) | instskip(NEXT) | instid1(SALU_CYCLE_1)
	s_or_b32 s2, s2, s3
	s_and_b32 vcc_lo, exec_lo, s2
	s_cbranch_vccnz .LBB25_28
.LBB25_4:                               ; =>This Inner Loop Header: Depth=1
	v_add_co_u32 v7, s2, v0, s18
	s_delay_alu instid0(VALU_DEP_1) | instskip(SKIP_2) | instid1(VALU_DEP_3)
	v_add_co_ci_u32_e64 v8, null, 0, s19, s2
	v_mov_b32_e32 v5, 0
	v_mov_b32_e32 v6, 0
	v_cmp_gt_u64_e32 vcc_lo, s[16:17], v[7:8]
	s_delay_alu instid0(VALU_DEP_2)
	v_dual_mov_b32 v10, v6 :: v_dual_mov_b32 v9, v5
	s_and_saveexec_b32 s2, vcc_lo
	s_cbranch_execz .LBB25_6
; %bb.5:                                ;   in Loop: Header=BB25_4 Depth=1
	global_load_b64 v[9:10], v[1:2], off
.LBB25_6:                               ;   in Loop: Header=BB25_4 Depth=1
	s_or_b32 exec_lo, exec_lo, s2
	v_add_co_u32 v7, s2, v22, s18
	s_delay_alu instid0(VALU_DEP_1) | instskip(NEXT) | instid1(VALU_DEP_1)
	v_add_co_ci_u32_e64 v8, s2, s19, v23, s2
	v_cmp_gt_u64_e64 s2, s[16:17], v[7:8]
	s_delay_alu instid0(VALU_DEP_1)
	s_and_saveexec_b32 s3, s2
	s_cbranch_execz .LBB25_8
; %bb.7:                                ;   in Loop: Header=BB25_4 Depth=1
	global_load_b64 v[5:6], v[3:4], off
.LBB25_8:                               ;   in Loop: Header=BB25_4 Depth=1
	s_or_b32 exec_lo, exec_lo, s3
	v_add_co_u32 v11, s3, v26, s18
	s_delay_alu instid0(VALU_DEP_1) | instskip(SKIP_2) | instid1(VALU_DEP_3)
	v_add_co_ci_u32_e64 v12, s3, s19, v27, s3
	v_mov_b32_e32 v7, 0
	v_mov_b32_e32 v8, 0
	v_cmp_gt_u64_e64 s3, s[16:17], v[11:12]
	s_delay_alu instid0(VALU_DEP_2) | instskip(NEXT) | instid1(VALU_DEP_2)
	v_dual_mov_b32 v12, v8 :: v_dual_mov_b32 v11, v7
	s_and_saveexec_b32 s5, s3
	s_cbranch_execz .LBB25_10
; %bb.9:                                ;   in Loop: Header=BB25_4 Depth=1
	v_add_co_u32 v11, s4, v1, s23
	s_delay_alu instid0(VALU_DEP_1)
	v_add_co_ci_u32_e64 v12, s4, 0, v2, s4
	global_load_b64 v[11:12], v[11:12], off
.LBB25_10:                              ;   in Loop: Header=BB25_4 Depth=1
	s_or_b32 exec_lo, exec_lo, s5
	v_add_co_u32 v13, s4, v24, s18
	s_delay_alu instid0(VALU_DEP_1) | instskip(NEXT) | instid1(VALU_DEP_1)
	v_add_co_ci_u32_e64 v14, s4, s19, v25, s4
	v_cmp_gt_u64_e64 s4, s[16:17], v[13:14]
	s_delay_alu instid0(VALU_DEP_1)
	s_and_saveexec_b32 s24, s4
	s_cbranch_execz .LBB25_12
; %bb.11:                               ;   in Loop: Header=BB25_4 Depth=1
	v_add_co_u32 v7, s5, v1, s22
	s_delay_alu instid0(VALU_DEP_1)
	v_add_co_ci_u32_e64 v8, s5, 0, v2, s5
	global_load_b64 v[7:8], v[7:8], off
.LBB25_12:                              ;   in Loop: Header=BB25_4 Depth=1
	s_or_b32 exec_lo, exec_lo, s24
	s_waitcnt vmcnt(0)
	v_cvt_f32_f64_e32 v13, v[9:10]
	s_mov_b32 s5, exec_lo
	s_delay_alu instid0(VALU_DEP_1)
	v_cmpx_nlg_f32_e64 0x7f800000, |v13|
	s_cbranch_execz .LBB25_14
; %bb.13:                               ;   in Loop: Header=BB25_4 Depth=1
	global_store_b32 v21, v28, s[8:9]
.LBB25_14:                              ;   in Loop: Header=BB25_4 Depth=1
	s_or_b32 exec_lo, exec_lo, s5
	global_load_b32 v32, v21, s[10:11]
	v_cvt_f32_f64_e32 v13, v[5:6]
	s_delay_alu instid0(VALU_DEP_1) | instskip(SKIP_3) | instid1(VALU_DEP_2)
	v_cmp_nlg_f32_e64 s24, 0x7f800000, |v13|
	s_waitcnt vmcnt(0)
	v_cvt_f64_f32_e32 v[19:20], v32
	v_mov_b32_e32 v29, v32
	v_dual_mov_b32 v13, v19 :: v_dual_mov_b32 v14, v20
	s_and_saveexec_b32 s5, s24
	s_cbranch_execz .LBB25_16
; %bb.15:                               ;   in Loop: Header=BB25_4 Depth=1
	global_store_b32 v21, v28, s[8:9]
	global_load_b32 v29, v21, s[10:11]
	s_waitcnt vmcnt(0)
	v_cvt_f64_f32_e32 v[13:14], v29
.LBB25_16:                              ;   in Loop: Header=BB25_4 Depth=1
	s_or_b32 exec_lo, exec_lo, s5
	v_cvt_f32_f64_e32 v17, v[11:12]
	s_delay_alu instid0(VALU_DEP_2) | instskip(SKIP_2) | instid1(VALU_DEP_3)
	v_dual_mov_b32 v16, v14 :: v_dual_mov_b32 v15, v13
	v_mov_b32_e32 v30, v29
	s_mov_b32 s5, exec_lo
	v_cmpx_nlg_f32_e64 0x7f800000, |v17|
	s_cbranch_execz .LBB25_18
; %bb.17:                               ;   in Loop: Header=BB25_4 Depth=1
	global_store_b32 v21, v28, s[8:9]
	global_load_b32 v30, v21, s[10:11]
	s_waitcnt vmcnt(0)
	v_cvt_f64_f32_e32 v[15:16], v30
.LBB25_18:                              ;   in Loop: Header=BB25_4 Depth=1
	s_or_b32 exec_lo, exec_lo, s5
	v_cvt_f32_f64_e32 v31, v[7:8]
	s_delay_alu instid0(VALU_DEP_2) | instskip(NEXT) | instid1(VALU_DEP_2)
	v_dual_mov_b32 v18, v16 :: v_dual_mov_b32 v17, v15
	v_cmp_nlg_f32_e64 s24, 0x7f800000, |v31|
	v_mov_b32_e32 v31, v30
	s_delay_alu instid0(VALU_DEP_2)
	s_and_saveexec_b32 s5, s24
	s_cbranch_execnz .LBB25_23
; %bb.19:                               ;   in Loop: Header=BB25_4 Depth=1
	s_or_b32 exec_lo, exec_lo, s5
	s_and_saveexec_b32 s5, vcc_lo
	s_delay_alu instid0(SALU_CYCLE_1)
	s_xor_b32 s5, exec_lo, s5
	s_cbranch_execnz .LBB25_24
.LBB25_20:                              ;   in Loop: Header=BB25_4 Depth=1
	s_or_b32 exec_lo, exec_lo, s5
	s_and_saveexec_b32 s5, s2
	s_cbranch_execnz .LBB25_25
.LBB25_21:                              ;   in Loop: Header=BB25_4 Depth=1
	s_or_b32 exec_lo, exec_lo, s5
	s_and_saveexec_b32 s2, s3
	s_cbranch_execnz .LBB25_26
.LBB25_22:                              ;   in Loop: Header=BB25_4 Depth=1
	s_or_b32 exec_lo, exec_lo, s2
	s_and_saveexec_b32 s2, s4
	s_cbranch_execz .LBB25_3
	s_branch .LBB25_27
.LBB25_23:                              ;   in Loop: Header=BB25_4 Depth=1
	global_store_b32 v21, v28, s[8:9]
	global_load_b32 v31, v21, s[10:11]
	s_waitcnt vmcnt(0)
	v_cvt_f64_f32_e32 v[17:18], v31
	s_or_b32 exec_lo, exec_lo, s5
	s_and_saveexec_b32 s5, vcc_lo
	s_delay_alu instid0(SALU_CYCLE_1)
	s_xor_b32 s5, exec_lo, s5
	s_cbranch_execz .LBB25_20
.LBB25_24:                              ;   in Loop: Header=BB25_4 Depth=1
	v_mul_f64 v[19:20], v[9:10], v[19:20]
	v_cmp_eq_f32_e32 vcc_lo, 1.0, v32
	s_delay_alu instid0(VALU_DEP_2)
	v_dual_cndmask_b32 v10, v20, v10 :: v_dual_cndmask_b32 v9, v19, v9
	global_store_b64 v[1:2], v[9:10], off
	s_or_b32 exec_lo, exec_lo, s5
	s_and_saveexec_b32 s5, s2
	s_cbranch_execz .LBB25_21
.LBB25_25:                              ;   in Loop: Header=BB25_4 Depth=1
	v_mul_f64 v[9:10], v[5:6], v[13:14]
	v_cmp_eq_f32_e32 vcc_lo, 1.0, v29
	s_delay_alu instid0(VALU_DEP_2)
	v_dual_cndmask_b32 v6, v10, v6 :: v_dual_cndmask_b32 v5, v9, v5
	global_store_b64 v[3:4], v[5:6], off
	s_or_b32 exec_lo, exec_lo, s5
	s_and_saveexec_b32 s2, s3
	s_cbranch_execz .LBB25_22
.LBB25_26:                              ;   in Loop: Header=BB25_4 Depth=1
	v_mul_f64 v[5:6], v[11:12], v[15:16]
	v_cmp_eq_f32_e32 vcc_lo, 1.0, v30
	s_delay_alu instid0(VALU_DEP_2)
	v_dual_cndmask_b32 v6, v6, v12 :: v_dual_cndmask_b32 v5, v5, v11
	v_add_co_u32 v9, vcc_lo, v1, s23
	v_add_co_ci_u32_e32 v10, vcc_lo, 0, v2, vcc_lo
	global_store_b64 v[9:10], v[5:6], off
	s_or_b32 exec_lo, exec_lo, s2
	s_and_saveexec_b32 s2, s4
	s_cbranch_execz .LBB25_3
.LBB25_27:                              ;   in Loop: Header=BB25_4 Depth=1
	s_delay_alu instid0(VALU_DEP_1) | instskip(SKIP_1) | instid1(VALU_DEP_2)
	v_mul_f64 v[5:6], v[7:8], v[17:18]
	v_cmp_eq_f32_e32 vcc_lo, 1.0, v31
	v_dual_cndmask_b32 v6, v6, v8 :: v_dual_cndmask_b32 v5, v5, v7
	v_add_co_u32 v7, vcc_lo, v1, s22
	v_add_co_ci_u32_e32 v8, vcc_lo, 0, v2, vcc_lo
	global_store_b64 v[7:8], v[5:6], off
	s_branch .LBB25_3
.LBB25_28:
	s_cbranch_execz .LBB25_30
	s_branch .LBB25_41
.LBB25_29:
.LBB25_30:
	v_dual_mov_b32 v8, 0 :: v_dual_lshlrev_b32 v7, 2, v0
	s_mov_b32 s5, 0
	s_mov_b32 s2, exec_lo
	s_delay_alu instid0(VALU_DEP_1)
	v_cmpx_gt_i64_e64 s[6:7], v[7:8]
	s_cbranch_execz .LBB25_41
; %bb.31:
	s_load_b32 s0, s[0:1], 0xd4c
	v_mov_b32_e32 v21, 1.0
	s_waitcnt lgkmcnt(0)
	s_and_b32 s0, s0, 0xffff
	s_delay_alu instid0(SALU_CYCLE_1) | instskip(SKIP_4) | instid1(VALU_DEP_1)
	v_add_lshl_u32 v7, v0, s0, 2
	v_dual_mov_b32 v12, v8 :: v_dual_lshlrev_b32 v1, 5, v0
	s_lshl_b32 s16, s0, 2
	s_add_u32 s1, s12, s14
	s_addc_u32 s2, s13, s15
	v_add_co_u32 v1, s1, s1, v1
	s_delay_alu instid0(VALU_DEP_1) | instskip(SKIP_1) | instid1(VALU_DEP_3)
	v_add_co_ci_u32_e64 v2, null, s2, 0, s1
	v_mov_b32_e32 v11, v7
	v_add_co_u32 v9, vcc_lo, v1, 16
	s_delay_alu instid0(VALU_DEP_3)
	v_add_co_ci_u32_e32 v10, vcc_lo, 0, v2, vcc_lo
	s_lshl_b32 s12, s0, 5
	s_branch .LBB25_33
.LBB25_32:                              ;   in Loop: Header=BB25_33 Depth=1
	s_or_b32 exec_lo, exec_lo, s0
	v_mul_f64 v[15:16], v[6:7], v[15:16]
	v_mul_f64 v[13:14], v[4:5], v[13:14]
	;; [unrolled: 1-line block ×3, first 2 shown]
	s_delay_alu instid0(VALU_DEP_4)
	v_mul_f64 v[19:20], v[2:3], v[19:20]
	v_cmp_eq_f32_e32 vcc_lo, 1.0, v23
	v_cmp_eq_f32_e64 s0, 1.0, v22
	v_cmp_eq_f32_e64 s1, 1.0, v24
	;; [unrolled: 1-line block ×3, first 2 shown]
	v_cmp_le_i64_e64 s3, s[6:7], v[11:12]
	v_cmp_lt_u64_e64 s4, 0xffff, v[11:12]
	v_dual_cndmask_b32 v7, v16, v7 :: v_dual_cndmask_b32 v6, v15, v6
	v_cndmask_b32_e64 v5, v14, v5, s0
	v_cndmask_b32_e64 v4, v13, v4, s0
	;; [unrolled: 1-line block ×6, first 2 shown]
	v_add_co_u32 v11, vcc_lo, v11, s16
	v_add_co_ci_u32_e32 v12, vcc_lo, 0, v12, vcc_lo
	s_clause 0x1
	global_store_b128 v[9:10], v[4:7], off offset:-16
	global_store_b128 v[9:10], v[0:3], off
	v_add_co_u32 v9, vcc_lo, v9, s12
	s_or_b32 s0, s3, s4
	v_add_co_ci_u32_e32 v10, vcc_lo, 0, v10, vcc_lo
	s_and_b32 s0, exec_lo, s0
	s_delay_alu instid0(SALU_CYCLE_1) | instskip(NEXT) | instid1(SALU_CYCLE_1)
	s_or_b32 s5, s0, s5
	s_and_not1_b32 exec_lo, exec_lo, s5
	s_cbranch_execz .LBB25_41
.LBB25_33:                              ; =>This Inner Loop Header: Depth=1
	s_clause 0x1
	global_load_b128 v[4:7], v[9:10], off offset:-16
	global_load_b128 v[0:3], v[9:10], off
	s_mov_b32 s0, exec_lo
	s_waitcnt vmcnt(1)
	v_cvt_f32_f64_e32 v13, v[4:5]
	s_delay_alu instid0(VALU_DEP_1)
	v_cmpx_nlg_f32_e64 0x7f800000, |v13|
	s_cbranch_execz .LBB25_35
; %bb.34:                               ;   in Loop: Header=BB25_33 Depth=1
	global_store_b32 v8, v21, s[8:9]
.LBB25_35:                              ;   in Loop: Header=BB25_33 Depth=1
	s_or_b32 exec_lo, exec_lo, s0
	global_load_b32 v22, v8, s[10:11]
	v_cvt_f32_f64_e32 v15, v[6:7]
	s_delay_alu instid0(VALU_DEP_1) | instskip(SKIP_3) | instid1(VALU_DEP_2)
	v_cmp_nlg_f32_e64 s1, 0x7f800000, |v15|
	s_waitcnt vmcnt(0)
	v_cvt_f64_f32_e32 v[13:14], v22
	v_mov_b32_e32 v23, v22
	v_dual_mov_b32 v16, v14 :: v_dual_mov_b32 v15, v13
	s_and_saveexec_b32 s0, s1
	s_cbranch_execz .LBB25_37
; %bb.36:                               ;   in Loop: Header=BB25_33 Depth=1
	global_store_b32 v8, v21, s[8:9]
	global_load_b32 v23, v8, s[10:11]
	s_waitcnt vmcnt(0)
	v_cvt_f64_f32_e32 v[15:16], v23
.LBB25_37:                              ;   in Loop: Header=BB25_33 Depth=1
	s_or_b32 exec_lo, exec_lo, s0
	v_cvt_f32_f64_e32 v19, v[0:1]
	s_delay_alu instid0(VALU_DEP_2) | instskip(SKIP_2) | instid1(VALU_DEP_3)
	v_dual_mov_b32 v18, v16 :: v_dual_mov_b32 v17, v15
	v_mov_b32_e32 v24, v23
	s_mov_b32 s0, exec_lo
	v_cmpx_nlg_f32_e64 0x7f800000, |v19|
	s_cbranch_execz .LBB25_39
; %bb.38:                               ;   in Loop: Header=BB25_33 Depth=1
	global_store_b32 v8, v21, s[8:9]
	global_load_b32 v24, v8, s[10:11]
	s_waitcnt vmcnt(0)
	v_cvt_f64_f32_e32 v[17:18], v24
.LBB25_39:                              ;   in Loop: Header=BB25_33 Depth=1
	s_or_b32 exec_lo, exec_lo, s0
	v_cvt_f32_f64_e32 v25, v[2:3]
	s_delay_alu instid0(VALU_DEP_2) | instskip(NEXT) | instid1(VALU_DEP_2)
	v_dual_mov_b32 v20, v18 :: v_dual_mov_b32 v19, v17
	v_cmp_nlg_f32_e64 s1, 0x7f800000, |v25|
	v_mov_b32_e32 v25, v24
	s_delay_alu instid0(VALU_DEP_2)
	s_and_saveexec_b32 s0, s1
	s_cbranch_execz .LBB25_32
; %bb.40:                               ;   in Loop: Header=BB25_33 Depth=1
	global_store_b32 v8, v21, s[8:9]
	global_load_b32 v25, v8, s[10:11]
	s_waitcnt vmcnt(0)
	v_cvt_f64_f32_e32 v[19:20], v25
	s_branch .LBB25_32
.LBB25_41:
	s_nop 0
	s_sendmsg sendmsg(MSG_DEALLOC_VGPRS)
	s_endpgm
	.section	.rodata,"a",@progbits
	.p2align	6, 0x0
	.amdhsa_kernel _ZN2at6native12_GLOBAL__N_125multi_tensor_apply_kernelINS1_18TensorListMetadataILi1EEENS1_14UnaryOpFunctorIdLi1ELi1ELi0EEEJZZZNS0_47_amp_foreach_non_finite_check_and_unscale_cuda_EN3c108ArrayRefINS_6TensorEEERS9_RKS9_ENKUlvE_clEvENKUlvE_clEvEUldE_EEEvT_T0_DpT1_
		.amdhsa_group_segment_fixed_size 0
		.amdhsa_private_segment_fixed_size 0
		.amdhsa_kernarg_size 3648
		.amdhsa_user_sgpr_count 15
		.amdhsa_user_sgpr_dispatch_ptr 0
		.amdhsa_user_sgpr_queue_ptr 0
		.amdhsa_user_sgpr_kernarg_segment_ptr 1
		.amdhsa_user_sgpr_dispatch_id 0
		.amdhsa_user_sgpr_private_segment_size 0
		.amdhsa_wavefront_size32 1
		.amdhsa_uses_dynamic_stack 0
		.amdhsa_enable_private_segment 0
		.amdhsa_system_sgpr_workgroup_id_x 1
		.amdhsa_system_sgpr_workgroup_id_y 0
		.amdhsa_system_sgpr_workgroup_id_z 0
		.amdhsa_system_sgpr_workgroup_info 0
		.amdhsa_system_vgpr_workitem_id 0
		.amdhsa_next_free_vgpr 33
		.amdhsa_next_free_sgpr 25
		.amdhsa_reserve_vcc 1
		.amdhsa_float_round_mode_32 0
		.amdhsa_float_round_mode_16_64 0
		.amdhsa_float_denorm_mode_32 3
		.amdhsa_float_denorm_mode_16_64 3
		.amdhsa_dx10_clamp 1
		.amdhsa_ieee_mode 1
		.amdhsa_fp16_overflow 0
		.amdhsa_workgroup_processor_mode 1
		.amdhsa_memory_ordered 1
		.amdhsa_forward_progress 0
		.amdhsa_shared_vgpr_count 0
		.amdhsa_exception_fp_ieee_invalid_op 0
		.amdhsa_exception_fp_denorm_src 0
		.amdhsa_exception_fp_ieee_div_zero 0
		.amdhsa_exception_fp_ieee_overflow 0
		.amdhsa_exception_fp_ieee_underflow 0
		.amdhsa_exception_fp_ieee_inexact 0
		.amdhsa_exception_int_div_zero 0
	.end_amdhsa_kernel
	.section	.text._ZN2at6native12_GLOBAL__N_125multi_tensor_apply_kernelINS1_18TensorListMetadataILi1EEENS1_14UnaryOpFunctorIdLi1ELi1ELi0EEEJZZZNS0_47_amp_foreach_non_finite_check_and_unscale_cuda_EN3c108ArrayRefINS_6TensorEEERS9_RKS9_ENKUlvE_clEvENKUlvE_clEvEUldE_EEEvT_T0_DpT1_,"axG",@progbits,_ZN2at6native12_GLOBAL__N_125multi_tensor_apply_kernelINS1_18TensorListMetadataILi1EEENS1_14UnaryOpFunctorIdLi1ELi1ELi0EEEJZZZNS0_47_amp_foreach_non_finite_check_and_unscale_cuda_EN3c108ArrayRefINS_6TensorEEERS9_RKS9_ENKUlvE_clEvENKUlvE_clEvEUldE_EEEvT_T0_DpT1_,comdat
.Lfunc_end25:
	.size	_ZN2at6native12_GLOBAL__N_125multi_tensor_apply_kernelINS1_18TensorListMetadataILi1EEENS1_14UnaryOpFunctorIdLi1ELi1ELi0EEEJZZZNS0_47_amp_foreach_non_finite_check_and_unscale_cuda_EN3c108ArrayRefINS_6TensorEEERS9_RKS9_ENKUlvE_clEvENKUlvE_clEvEUldE_EEEvT_T0_DpT1_, .Lfunc_end25-_ZN2at6native12_GLOBAL__N_125multi_tensor_apply_kernelINS1_18TensorListMetadataILi1EEENS1_14UnaryOpFunctorIdLi1ELi1ELi0EEEJZZZNS0_47_amp_foreach_non_finite_check_and_unscale_cuda_EN3c108ArrayRefINS_6TensorEEERS9_RKS9_ENKUlvE_clEvENKUlvE_clEvEUldE_EEEvT_T0_DpT1_
                                        ; -- End function
	.section	.AMDGPU.csdata,"",@progbits
; Kernel info:
; codeLenInByte = 1896
; NumSgprs: 27
; NumVgprs: 33
; ScratchSize: 0
; MemoryBound: 1
; FloatMode: 240
; IeeeMode: 1
; LDSByteSize: 0 bytes/workgroup (compile time only)
; SGPRBlocks: 3
; VGPRBlocks: 4
; NumSGPRsForWavesPerEU: 27
; NumVGPRsForWavesPerEU: 33
; Occupancy: 16
; WaveLimiterHint : 0
; COMPUTE_PGM_RSRC2:SCRATCH_EN: 0
; COMPUTE_PGM_RSRC2:USER_SGPR: 15
; COMPUTE_PGM_RSRC2:TRAP_HANDLER: 0
; COMPUTE_PGM_RSRC2:TGID_X_EN: 1
; COMPUTE_PGM_RSRC2:TGID_Y_EN: 0
; COMPUTE_PGM_RSRC2:TGID_Z_EN: 0
; COMPUTE_PGM_RSRC2:TIDIG_COMP_CNT: 0
	.section	.text._ZN2at6native12_GLOBAL__N_125multi_tensor_apply_kernelINS1_18TensorListMetadataILi1EEENS1_14UnaryOpFunctorIfLi1ELi1ELi0EEEJZZZNS0_47_amp_foreach_non_finite_check_and_unscale_cuda_EN3c108ArrayRefINS_6TensorEEERS9_RKS9_ENKUlvE_clEvENKUlvE0_clEvEUlfE_EEEvT_T0_DpT1_,"axG",@progbits,_ZN2at6native12_GLOBAL__N_125multi_tensor_apply_kernelINS1_18TensorListMetadataILi1EEENS1_14UnaryOpFunctorIfLi1ELi1ELi0EEEJZZZNS0_47_amp_foreach_non_finite_check_and_unscale_cuda_EN3c108ArrayRefINS_6TensorEEERS9_RKS9_ENKUlvE_clEvENKUlvE0_clEvEUlfE_EEEvT_T0_DpT1_,comdat
	.globl	_ZN2at6native12_GLOBAL__N_125multi_tensor_apply_kernelINS1_18TensorListMetadataILi1EEENS1_14UnaryOpFunctorIfLi1ELi1ELi0EEEJZZZNS0_47_amp_foreach_non_finite_check_and_unscale_cuda_EN3c108ArrayRefINS_6TensorEEERS9_RKS9_ENKUlvE_clEvENKUlvE0_clEvEUlfE_EEEvT_T0_DpT1_ ; -- Begin function _ZN2at6native12_GLOBAL__N_125multi_tensor_apply_kernelINS1_18TensorListMetadataILi1EEENS1_14UnaryOpFunctorIfLi1ELi1ELi0EEEJZZZNS0_47_amp_foreach_non_finite_check_and_unscale_cuda_EN3c108ArrayRefINS_6TensorEEERS9_RKS9_ENKUlvE_clEvENKUlvE0_clEvEUlfE_EEEvT_T0_DpT1_
	.p2align	8
	.type	_ZN2at6native12_GLOBAL__N_125multi_tensor_apply_kernelINS1_18TensorListMetadataILi1EEENS1_14UnaryOpFunctorIfLi1ELi1ELi0EEEJZZZNS0_47_amp_foreach_non_finite_check_and_unscale_cuda_EN3c108ArrayRefINS_6TensorEEERS9_RKS9_ENKUlvE_clEvENKUlvE0_clEvEUlfE_EEEvT_T0_DpT1_,@function
_ZN2at6native12_GLOBAL__N_125multi_tensor_apply_kernelINS1_18TensorListMetadataILi1EEENS1_14UnaryOpFunctorIfLi1ELi1ELi0EEEJZZZNS0_47_amp_foreach_non_finite_check_and_unscale_cuda_EN3c108ArrayRefINS_6TensorEEERS9_RKS9_ENKUlvE_clEvENKUlvE0_clEvEUlfE_EEEvT_T0_DpT1_: ; @_ZN2at6native12_GLOBAL__N_125multi_tensor_apply_kernelINS1_18TensorListMetadataILi1EEENS1_14UnaryOpFunctorIfLi1ELi1ELi0EEEJZZZNS0_47_amp_foreach_non_finite_check_and_unscale_cuda_EN3c108ArrayRefINS_6TensorEEERS9_RKS9_ENKUlvE_clEvENKUlvE0_clEvEUlfE_EEEvT_T0_DpT1_
; %bb.0:
	v_mov_b32_e32 v1, s15
	s_add_u32 s2, s0, s15
	s_mul_hi_u32 s3, s15, 3
	s_mul_i32 s15, s15, 3
	s_addc_u32 s4, s1, 0
	global_load_u8 v1, v1, s[0:1] offset:1760
	s_add_u32 s2, s2, s15
	s_addc_u32 s3, s4, s3
	s_mov_b32 s17, 0
	s_load_b32 s2, s[2:3], 0x820
	s_waitcnt vmcnt(0)
	v_readfirstlane_b32 s3, v1
	s_delay_alu instid0(VALU_DEP_1)
	s_lshl_b32 s3, s3, 3
	s_clause 0x2
	s_load_b64 s[12:13], s[0:1], s3 offset:0x0
	s_load_b64 s[4:5], s[0:1], s3 offset:0x370
	s_load_b128 s[8:11], s[0:1], 0xd30
	s_waitcnt lgkmcnt(0)
	s_ashr_i32 s3, s2, 31
	s_delay_alu instid0(SALU_CYCLE_1)
	s_lshl_b64 s[14:15], s[2:3], 18
	s_lshl_b64 s[2:3], s[2:3], 16
	s_and_b32 s16, s12, 15
	s_sub_u32 s6, s4, s2
	s_subb_u32 s7, s5, s3
	s_and_b32 s2, s4, 3
	s_mov_b32 s3, s17
	s_delay_alu instid0(SALU_CYCLE_1) | instskip(NEXT) | instid1(SALU_CYCLE_1)
	s_or_b64 s[2:3], s[16:17], s[2:3]
	s_cmp_eq_u64 s[2:3], 0
	s_cbranch_scc1 .LBB26_29
; %bb.1:
	v_cmp_lt_i64_e64 s2, s[6:7], 1
	s_delay_alu instid0(VALU_DEP_1)
	s_and_b32 vcc_lo, exec_lo, s2
	s_cbranch_vccnz .LBB26_28
; %bb.2:
	s_load_b32 s2, s[0:1], 0xd4c
	v_cmp_gt_u64_e64 s3, 0x10000, s[6:7]
	v_lshlrev_b32_e32 v1, 2, v0
	v_dual_mov_b32 v5, 0 :: v_dual_mov_b32 v12, 1.0
	s_waitcnt lgkmcnt(0)
	s_and_b32 s2, s2, 0xffff
	s_delay_alu instid0(VALU_DEP_3)
	s_and_b32 s3, s3, exec_lo
	v_add_co_u32 v6, s5, v0, s2
	s_cselect_b32 s17, s7, 0
	s_cselect_b32 s16, s6, 0x10000
	s_lshl_b32 s3, s2, 1
	s_lshl_b32 s20, s2, 2
	v_lshlrev_b32_e32 v3, 2, v6
	v_add_co_ci_u32_e64 v7, null, 0, 0, s5
	s_add_u32 s5, s12, s14
	v_add_co_u32 v10, s3, s3, v0
	s_mul_i32 s4, s2, 3
	s_addc_u32 s18, s13, s15
	v_add_co_ci_u32_e64 v11, null, 0, 0, s3
	v_add_co_u32 v1, s3, s5, v1
	v_add_co_u32 v8, s4, s4, v0
	v_add_co_ci_u32_e64 v2, null, s18, 0, s3
	v_add_co_u32 v3, s3, s5, v3
	v_add_co_ci_u32_e64 v9, null, 0, 0, s4
	v_add_co_ci_u32_e64 v4, null, s18, 0, s3
	s_lshl_b32 s21, s2, 4
	s_mul_i32 s22, s2, 12
	s_lshl_b32 s23, s2, 3
	s_mov_b64 s[18:19], 0
	s_branch .LBB26_4
.LBB26_3:                               ;   in Loop: Header=BB26_4 Depth=1
	s_or_b32 exec_lo, exec_lo, s2
	s_add_u32 s18, s18, s20
	s_addc_u32 s19, s19, 0
	v_add_co_u32 v1, vcc_lo, v1, s21
	v_cmp_ge_i64_e64 s2, s[18:19], s[6:7]
	v_cmp_lt_u64_e64 s3, 0xffff, s[18:19]
	v_add_co_ci_u32_e32 v2, vcc_lo, 0, v2, vcc_lo
	v_add_co_u32 v3, vcc_lo, v3, s21
	v_add_co_ci_u32_e32 v4, vcc_lo, 0, v4, vcc_lo
	s_delay_alu instid0(VALU_DEP_4) | instskip(NEXT) | instid1(SALU_CYCLE_1)
	s_or_b32 s2, s2, s3
	s_and_b32 vcc_lo, exec_lo, s2
	s_cbranch_vccnz .LBB26_28
.LBB26_4:                               ; =>This Inner Loop Header: Depth=1
	v_add_co_u32 v13, s2, v0, s18
	s_delay_alu instid0(VALU_DEP_1) | instskip(NEXT) | instid1(VALU_DEP_1)
	v_add_co_ci_u32_e64 v14, null, 0, s19, s2
	v_cmp_gt_u64_e32 vcc_lo, s[16:17], v[13:14]
	v_mov_b32_e32 v14, 0
	s_and_saveexec_b32 s2, vcc_lo
	s_cbranch_execz .LBB26_6
; %bb.5:                                ;   in Loop: Header=BB26_4 Depth=1
	global_load_b32 v14, v[1:2], off
.LBB26_6:                               ;   in Loop: Header=BB26_4 Depth=1
	s_or_b32 exec_lo, exec_lo, s2
	v_add_co_u32 v15, s2, v6, s18
	s_delay_alu instid0(VALU_DEP_1) | instskip(SKIP_1) | instid1(VALU_DEP_2)
	v_add_co_ci_u32_e64 v16, s2, s19, v7, s2
	v_mov_b32_e32 v13, 0
	v_cmp_gt_u64_e64 s2, s[16:17], v[15:16]
	v_mov_b32_e32 v15, 0
	s_delay_alu instid0(VALU_DEP_2)
	s_and_saveexec_b32 s3, s2
	s_cbranch_execz .LBB26_8
; %bb.7:                                ;   in Loop: Header=BB26_4 Depth=1
	global_load_b32 v15, v[3:4], off
.LBB26_8:                               ;   in Loop: Header=BB26_4 Depth=1
	s_or_b32 exec_lo, exec_lo, s3
	v_add_co_u32 v16, s3, v10, s18
	s_waitcnt vmcnt(0)
	v_add_co_ci_u32_e64 v17, s3, s19, v11, s3
	s_delay_alu instid0(VALU_DEP_1) | instskip(NEXT) | instid1(VALU_DEP_1)
	v_cmp_gt_u64_e64 s3, s[16:17], v[16:17]
	s_and_saveexec_b32 s5, s3
	s_cbranch_execz .LBB26_10
; %bb.9:                                ;   in Loop: Header=BB26_4 Depth=1
	v_add_co_u32 v16, s4, v1, s23
	s_delay_alu instid0(VALU_DEP_1)
	v_add_co_ci_u32_e64 v17, s4, 0, v2, s4
	global_load_b32 v13, v[16:17], off
.LBB26_10:                              ;   in Loop: Header=BB26_4 Depth=1
	s_or_b32 exec_lo, exec_lo, s5
	v_add_co_u32 v16, s4, v8, s18
	s_delay_alu instid0(VALU_DEP_1) | instskip(NEXT) | instid1(VALU_DEP_1)
	v_add_co_ci_u32_e64 v17, s4, s19, v9, s4
	v_cmp_gt_u64_e64 s4, s[16:17], v[16:17]
	v_mov_b32_e32 v16, 0
	s_delay_alu instid0(VALU_DEP_2)
	s_and_saveexec_b32 s24, s4
	s_cbranch_execz .LBB26_12
; %bb.11:                               ;   in Loop: Header=BB26_4 Depth=1
	v_add_co_u32 v16, s5, v1, s22
	s_delay_alu instid0(VALU_DEP_1)
	v_add_co_ci_u32_e64 v17, s5, 0, v2, s5
	global_load_b32 v16, v[16:17], off
.LBB26_12:                              ;   in Loop: Header=BB26_4 Depth=1
	s_or_b32 exec_lo, exec_lo, s24
	s_delay_alu instid0(SALU_CYCLE_1)
	s_mov_b32 s5, exec_lo
	s_waitcnt vmcnt(0)
	v_cmpx_nlg_f32_e64 0x7f800000, |v14|
	s_cbranch_execz .LBB26_14
; %bb.13:                               ;   in Loop: Header=BB26_4 Depth=1
	global_store_b32 v5, v12, s[8:9]
.LBB26_14:                              ;   in Loop: Header=BB26_4 Depth=1
	s_or_b32 exec_lo, exec_lo, s5
	global_load_b32 v20, v5, s[10:11]
	s_mov_b32 s5, exec_lo
	s_waitcnt vmcnt(0)
	v_mov_b32_e32 v18, v20
	v_cmpx_nlg_f32_e64 0x7f800000, |v15|
	s_cbranch_execz .LBB26_16
; %bb.15:                               ;   in Loop: Header=BB26_4 Depth=1
	global_store_b32 v5, v12, s[8:9]
	global_load_b32 v18, v5, s[10:11]
.LBB26_16:                              ;   in Loop: Header=BB26_4 Depth=1
	s_or_b32 exec_lo, exec_lo, s5
	s_waitcnt vmcnt(0)
	v_mov_b32_e32 v19, v18
	s_mov_b32 s5, exec_lo
	v_cmpx_nlg_f32_e64 0x7f800000, |v13|
	s_cbranch_execz .LBB26_18
; %bb.17:                               ;   in Loop: Header=BB26_4 Depth=1
	global_store_b32 v5, v12, s[8:9]
	global_load_b32 v19, v5, s[10:11]
.LBB26_18:                              ;   in Loop: Header=BB26_4 Depth=1
	s_or_b32 exec_lo, exec_lo, s5
	s_waitcnt vmcnt(0)
	v_mov_b32_e32 v17, v19
	s_mov_b32 s5, exec_lo
	v_cmpx_nlg_f32_e64 0x7f800000, |v16|
	s_cbranch_execnz .LBB26_23
; %bb.19:                               ;   in Loop: Header=BB26_4 Depth=1
	s_or_b32 exec_lo, exec_lo, s5
	s_and_saveexec_b32 s5, vcc_lo
	s_delay_alu instid0(SALU_CYCLE_1)
	s_xor_b32 s5, exec_lo, s5
	s_cbranch_execnz .LBB26_24
.LBB26_20:                              ;   in Loop: Header=BB26_4 Depth=1
	s_or_b32 exec_lo, exec_lo, s5
	s_and_saveexec_b32 s5, s2
	s_cbranch_execnz .LBB26_25
.LBB26_21:                              ;   in Loop: Header=BB26_4 Depth=1
	s_or_b32 exec_lo, exec_lo, s5
	s_and_saveexec_b32 s2, s3
	s_cbranch_execnz .LBB26_26
.LBB26_22:                              ;   in Loop: Header=BB26_4 Depth=1
	s_or_b32 exec_lo, exec_lo, s2
	s_and_saveexec_b32 s2, s4
	s_cbranch_execz .LBB26_3
	s_branch .LBB26_27
.LBB26_23:                              ;   in Loop: Header=BB26_4 Depth=1
	global_store_b32 v5, v12, s[8:9]
	global_load_b32 v17, v5, s[10:11]
	s_or_b32 exec_lo, exec_lo, s5
	s_and_saveexec_b32 s5, vcc_lo
	s_delay_alu instid0(SALU_CYCLE_1)
	s_xor_b32 s5, exec_lo, s5
	s_cbranch_execz .LBB26_20
.LBB26_24:                              ;   in Loop: Header=BB26_4 Depth=1
	v_mul_f32_e32 v21, v14, v20
	v_cmp_eq_f32_e32 vcc_lo, 1.0, v20
	s_delay_alu instid0(VALU_DEP_2)
	v_cndmask_b32_e32 v14, v21, v14, vcc_lo
	global_store_b32 v[1:2], v14, off
	s_or_b32 exec_lo, exec_lo, s5
	s_and_saveexec_b32 s5, s2
	s_cbranch_execz .LBB26_21
.LBB26_25:                              ;   in Loop: Header=BB26_4 Depth=1
	v_mul_f32_e32 v14, v15, v18
	v_cmp_eq_f32_e32 vcc_lo, 1.0, v18
	s_delay_alu instid0(VALU_DEP_2)
	v_cndmask_b32_e32 v14, v14, v15, vcc_lo
	global_store_b32 v[3:4], v14, off
	s_or_b32 exec_lo, exec_lo, s5
	s_and_saveexec_b32 s2, s3
	s_cbranch_execz .LBB26_22
.LBB26_26:                              ;   in Loop: Header=BB26_4 Depth=1
	v_mul_f32_e32 v14, v13, v19
	v_cmp_eq_f32_e32 vcc_lo, 1.0, v19
	s_delay_alu instid0(VALU_DEP_2)
	v_cndmask_b32_e32 v15, v14, v13, vcc_lo
	v_add_co_u32 v13, vcc_lo, v1, s23
	v_add_co_ci_u32_e32 v14, vcc_lo, 0, v2, vcc_lo
	global_store_b32 v[13:14], v15, off
	s_or_b32 exec_lo, exec_lo, s2
	s_and_saveexec_b32 s2, s4
	s_cbranch_execz .LBB26_3
.LBB26_27:                              ;   in Loop: Header=BB26_4 Depth=1
	s_waitcnt vmcnt(0)
	v_mul_f32_e32 v13, v16, v17
	v_cmp_eq_f32_e32 vcc_lo, 1.0, v17
	s_delay_alu instid0(VALU_DEP_2)
	v_cndmask_b32_e32 v15, v13, v16, vcc_lo
	v_add_co_u32 v13, vcc_lo, v1, s22
	v_add_co_ci_u32_e32 v14, vcc_lo, 0, v2, vcc_lo
	global_store_b32 v[13:14], v15, off
	s_branch .LBB26_3
.LBB26_28:
	s_cbranch_execz .LBB26_30
	s_branch .LBB26_41
.LBB26_29:
.LBB26_30:
	v_dual_mov_b32 v4, 0 :: v_dual_lshlrev_b32 v3, 2, v0
	s_mov_b32 s2, 0
	s_mov_b32 s3, exec_lo
	s_delay_alu instid0(VALU_DEP_1)
	v_cmpx_gt_i64_e64 s[6:7], v[3:4]
	s_cbranch_execz .LBB26_41
; %bb.31:
	s_load_b32 s0, s[0:1], 0xd4c
	v_mov_b32_e32 v9, 1.0
	s_waitcnt lgkmcnt(0)
	s_and_b32 s0, s0, 0xffff
	s_delay_alu instid0(SALU_CYCLE_1) | instskip(SKIP_4) | instid1(VALU_DEP_1)
	v_add_lshl_u32 v3, v0, s0, 2
	v_dual_mov_b32 v8, v4 :: v_dual_lshlrev_b32 v1, 4, v0
	s_lshl_b32 s1, s0, 2
	s_add_u32 s3, s12, s14
	s_addc_u32 s4, s13, s15
	v_add_co_u32 v1, s3, s3, v1
	s_delay_alu instid0(VALU_DEP_1) | instskip(SKIP_1) | instid1(VALU_DEP_3)
	v_add_co_ci_u32_e64 v2, null, s4, 0, s3
	v_mov_b32_e32 v7, v3
	v_add_co_u32 v5, vcc_lo, v1, 8
	s_delay_alu instid0(VALU_DEP_3)
	v_add_co_ci_u32_e32 v6, vcc_lo, 0, v2, vcc_lo
	s_lshl_b32 s3, s0, 4
	s_branch .LBB26_33
.LBB26_32:                              ;   in Loop: Header=BB26_33 Depth=1
	s_or_b32 exec_lo, exec_lo, s0
	v_dual_mul_f32 v14, v2, v12 :: v_dual_mul_f32 v15, v1, v11
	v_cmp_eq_f32_e32 vcc_lo, 1.0, v12
	s_waitcnt vmcnt(0)
	v_dual_mul_f32 v16, v0, v10 :: v_dual_mul_f32 v17, v3, v13
	v_cmp_lt_u64_e64 s0, 0xffff, v[7:8]
	v_cndmask_b32_e32 v2, v14, v2, vcc_lo
	v_cmp_eq_f32_e32 vcc_lo, 1.0, v11
	v_cndmask_b32_e32 v1, v15, v1, vcc_lo
	v_cmp_eq_f32_e32 vcc_lo, 1.0, v10
	;; [unrolled: 2-line block ×3, first 2 shown]
	v_cndmask_b32_e32 v3, v17, v3, vcc_lo
	v_cmp_le_i64_e32 vcc_lo, s[6:7], v[7:8]
	global_store_b128 v[5:6], v[0:3], off offset:-8
	s_or_b32 s0, vcc_lo, s0
	v_add_co_u32 v7, vcc_lo, v7, s1
	v_add_co_ci_u32_e32 v8, vcc_lo, 0, v8, vcc_lo
	v_add_co_u32 v5, vcc_lo, v5, s3
	v_add_co_ci_u32_e32 v6, vcc_lo, 0, v6, vcc_lo
	s_and_b32 s0, exec_lo, s0
	s_delay_alu instid0(SALU_CYCLE_1) | instskip(NEXT) | instid1(SALU_CYCLE_1)
	s_or_b32 s2, s0, s2
	s_and_not1_b32 exec_lo, exec_lo, s2
	s_cbranch_execz .LBB26_41
.LBB26_33:                              ; =>This Inner Loop Header: Depth=1
	global_load_b128 v[0:3], v[5:6], off offset:-8
	s_mov_b32 s0, exec_lo
	s_waitcnt vmcnt(0)
	v_cmpx_nlg_f32_e64 0x7f800000, |v0|
	s_cbranch_execz .LBB26_35
; %bb.34:                               ;   in Loop: Header=BB26_33 Depth=1
	global_store_b32 v4, v9, s[8:9]
.LBB26_35:                              ;   in Loop: Header=BB26_33 Depth=1
	s_or_b32 exec_lo, exec_lo, s0
	global_load_b32 v10, v4, s[10:11]
	s_mov_b32 s0, exec_lo
	s_waitcnt vmcnt(0)
	v_mov_b32_e32 v11, v10
	v_cmpx_nlg_f32_e64 0x7f800000, |v1|
	s_cbranch_execz .LBB26_37
; %bb.36:                               ;   in Loop: Header=BB26_33 Depth=1
	global_store_b32 v4, v9, s[8:9]
	global_load_b32 v11, v4, s[10:11]
.LBB26_37:                              ;   in Loop: Header=BB26_33 Depth=1
	s_or_b32 exec_lo, exec_lo, s0
	s_waitcnt vmcnt(0)
	v_mov_b32_e32 v12, v11
	s_mov_b32 s0, exec_lo
	v_cmpx_nlg_f32_e64 0x7f800000, |v2|
	s_cbranch_execz .LBB26_39
; %bb.38:                               ;   in Loop: Header=BB26_33 Depth=1
	global_store_b32 v4, v9, s[8:9]
	global_load_b32 v12, v4, s[10:11]
.LBB26_39:                              ;   in Loop: Header=BB26_33 Depth=1
	s_or_b32 exec_lo, exec_lo, s0
	s_waitcnt vmcnt(0)
	v_mov_b32_e32 v13, v12
	s_mov_b32 s0, exec_lo
	v_cmpx_nlg_f32_e64 0x7f800000, |v3|
	s_cbranch_execz .LBB26_32
; %bb.40:                               ;   in Loop: Header=BB26_33 Depth=1
	global_store_b32 v4, v9, s[8:9]
	global_load_b32 v13, v4, s[10:11]
	s_branch .LBB26_32
.LBB26_41:
	s_nop 0
	s_sendmsg sendmsg(MSG_DEALLOC_VGPRS)
	s_endpgm
	.section	.rodata,"a",@progbits
	.p2align	6, 0x0
	.amdhsa_kernel _ZN2at6native12_GLOBAL__N_125multi_tensor_apply_kernelINS1_18TensorListMetadataILi1EEENS1_14UnaryOpFunctorIfLi1ELi1ELi0EEEJZZZNS0_47_amp_foreach_non_finite_check_and_unscale_cuda_EN3c108ArrayRefINS_6TensorEEERS9_RKS9_ENKUlvE_clEvENKUlvE0_clEvEUlfE_EEEvT_T0_DpT1_
		.amdhsa_group_segment_fixed_size 0
		.amdhsa_private_segment_fixed_size 0
		.amdhsa_kernarg_size 3648
		.amdhsa_user_sgpr_count 15
		.amdhsa_user_sgpr_dispatch_ptr 0
		.amdhsa_user_sgpr_queue_ptr 0
		.amdhsa_user_sgpr_kernarg_segment_ptr 1
		.amdhsa_user_sgpr_dispatch_id 0
		.amdhsa_user_sgpr_private_segment_size 0
		.amdhsa_wavefront_size32 1
		.amdhsa_uses_dynamic_stack 0
		.amdhsa_enable_private_segment 0
		.amdhsa_system_sgpr_workgroup_id_x 1
		.amdhsa_system_sgpr_workgroup_id_y 0
		.amdhsa_system_sgpr_workgroup_id_z 0
		.amdhsa_system_sgpr_workgroup_info 0
		.amdhsa_system_vgpr_workitem_id 0
		.amdhsa_next_free_vgpr 22
		.amdhsa_next_free_sgpr 25
		.amdhsa_reserve_vcc 1
		.amdhsa_float_round_mode_32 0
		.amdhsa_float_round_mode_16_64 0
		.amdhsa_float_denorm_mode_32 3
		.amdhsa_float_denorm_mode_16_64 3
		.amdhsa_dx10_clamp 1
		.amdhsa_ieee_mode 1
		.amdhsa_fp16_overflow 0
		.amdhsa_workgroup_processor_mode 1
		.amdhsa_memory_ordered 1
		.amdhsa_forward_progress 0
		.amdhsa_shared_vgpr_count 0
		.amdhsa_exception_fp_ieee_invalid_op 0
		.amdhsa_exception_fp_denorm_src 0
		.amdhsa_exception_fp_ieee_div_zero 0
		.amdhsa_exception_fp_ieee_overflow 0
		.amdhsa_exception_fp_ieee_underflow 0
		.amdhsa_exception_fp_ieee_inexact 0
		.amdhsa_exception_int_div_zero 0
	.end_amdhsa_kernel
	.section	.text._ZN2at6native12_GLOBAL__N_125multi_tensor_apply_kernelINS1_18TensorListMetadataILi1EEENS1_14UnaryOpFunctorIfLi1ELi1ELi0EEEJZZZNS0_47_amp_foreach_non_finite_check_and_unscale_cuda_EN3c108ArrayRefINS_6TensorEEERS9_RKS9_ENKUlvE_clEvENKUlvE0_clEvEUlfE_EEEvT_T0_DpT1_,"axG",@progbits,_ZN2at6native12_GLOBAL__N_125multi_tensor_apply_kernelINS1_18TensorListMetadataILi1EEENS1_14UnaryOpFunctorIfLi1ELi1ELi0EEEJZZZNS0_47_amp_foreach_non_finite_check_and_unscale_cuda_EN3c108ArrayRefINS_6TensorEEERS9_RKS9_ENKUlvE_clEvENKUlvE0_clEvEUlfE_EEEvT_T0_DpT1_,comdat
.Lfunc_end26:
	.size	_ZN2at6native12_GLOBAL__N_125multi_tensor_apply_kernelINS1_18TensorListMetadataILi1EEENS1_14UnaryOpFunctorIfLi1ELi1ELi0EEEJZZZNS0_47_amp_foreach_non_finite_check_and_unscale_cuda_EN3c108ArrayRefINS_6TensorEEERS9_RKS9_ENKUlvE_clEvENKUlvE0_clEvEUlfE_EEEvT_T0_DpT1_, .Lfunc_end26-_ZN2at6native12_GLOBAL__N_125multi_tensor_apply_kernelINS1_18TensorListMetadataILi1EEENS1_14UnaryOpFunctorIfLi1ELi1ELi0EEEJZZZNS0_47_amp_foreach_non_finite_check_and_unscale_cuda_EN3c108ArrayRefINS_6TensorEEERS9_RKS9_ENKUlvE_clEvENKUlvE0_clEvEUlfE_EEEvT_T0_DpT1_
                                        ; -- End function
	.section	.AMDGPU.csdata,"",@progbits
; Kernel info:
; codeLenInByte = 1596
; NumSgprs: 27
; NumVgprs: 22
; ScratchSize: 0
; MemoryBound: 0
; FloatMode: 240
; IeeeMode: 1
; LDSByteSize: 0 bytes/workgroup (compile time only)
; SGPRBlocks: 3
; VGPRBlocks: 2
; NumSGPRsForWavesPerEU: 27
; NumVGPRsForWavesPerEU: 22
; Occupancy: 16
; WaveLimiterHint : 0
; COMPUTE_PGM_RSRC2:SCRATCH_EN: 0
; COMPUTE_PGM_RSRC2:USER_SGPR: 15
; COMPUTE_PGM_RSRC2:TRAP_HANDLER: 0
; COMPUTE_PGM_RSRC2:TGID_X_EN: 1
; COMPUTE_PGM_RSRC2:TGID_Y_EN: 0
; COMPUTE_PGM_RSRC2:TGID_Z_EN: 0
; COMPUTE_PGM_RSRC2:TIDIG_COMP_CNT: 0
	.section	.text._ZN2at6native12_GLOBAL__N_125multi_tensor_apply_kernelINS1_18TensorListMetadataILi1EEENS1_14UnaryOpFunctorIN3c104HalfELi1ELi1ELi0EEEJZZZNS0_47_amp_foreach_non_finite_check_and_unscale_cuda_ENS6_8ArrayRefINS_6TensorEEERSA_RKSA_ENKUlvE_clEvENKUlvE1_clEvEUlfE_EEEvT_T0_DpT1_,"axG",@progbits,_ZN2at6native12_GLOBAL__N_125multi_tensor_apply_kernelINS1_18TensorListMetadataILi1EEENS1_14UnaryOpFunctorIN3c104HalfELi1ELi1ELi0EEEJZZZNS0_47_amp_foreach_non_finite_check_and_unscale_cuda_ENS6_8ArrayRefINS_6TensorEEERSA_RKSA_ENKUlvE_clEvENKUlvE1_clEvEUlfE_EEEvT_T0_DpT1_,comdat
	.globl	_ZN2at6native12_GLOBAL__N_125multi_tensor_apply_kernelINS1_18TensorListMetadataILi1EEENS1_14UnaryOpFunctorIN3c104HalfELi1ELi1ELi0EEEJZZZNS0_47_amp_foreach_non_finite_check_and_unscale_cuda_ENS6_8ArrayRefINS_6TensorEEERSA_RKSA_ENKUlvE_clEvENKUlvE1_clEvEUlfE_EEEvT_T0_DpT1_ ; -- Begin function _ZN2at6native12_GLOBAL__N_125multi_tensor_apply_kernelINS1_18TensorListMetadataILi1EEENS1_14UnaryOpFunctorIN3c104HalfELi1ELi1ELi0EEEJZZZNS0_47_amp_foreach_non_finite_check_and_unscale_cuda_ENS6_8ArrayRefINS_6TensorEEERSA_RKSA_ENKUlvE_clEvENKUlvE1_clEvEUlfE_EEEvT_T0_DpT1_
	.p2align	8
	.type	_ZN2at6native12_GLOBAL__N_125multi_tensor_apply_kernelINS1_18TensorListMetadataILi1EEENS1_14UnaryOpFunctorIN3c104HalfELi1ELi1ELi0EEEJZZZNS0_47_amp_foreach_non_finite_check_and_unscale_cuda_ENS6_8ArrayRefINS_6TensorEEERSA_RKSA_ENKUlvE_clEvENKUlvE1_clEvEUlfE_EEEvT_T0_DpT1_,@function
_ZN2at6native12_GLOBAL__N_125multi_tensor_apply_kernelINS1_18TensorListMetadataILi1EEENS1_14UnaryOpFunctorIN3c104HalfELi1ELi1ELi0EEEJZZZNS0_47_amp_foreach_non_finite_check_and_unscale_cuda_ENS6_8ArrayRefINS_6TensorEEERSA_RKSA_ENKUlvE_clEvENKUlvE1_clEvEUlfE_EEEvT_T0_DpT1_: ; @_ZN2at6native12_GLOBAL__N_125multi_tensor_apply_kernelINS1_18TensorListMetadataILi1EEENS1_14UnaryOpFunctorIN3c104HalfELi1ELi1ELi0EEEJZZZNS0_47_amp_foreach_non_finite_check_and_unscale_cuda_ENS6_8ArrayRefINS_6TensorEEERSA_RKSA_ENKUlvE_clEvENKUlvE1_clEvEUlfE_EEEvT_T0_DpT1_
; %bb.0:
	v_mov_b32_e32 v1, s15
	s_add_u32 s2, s0, s15
	s_mul_hi_u32 s3, s15, 3
	s_mul_i32 s15, s15, 3
	s_addc_u32 s4, s1, 0
	global_load_u8 v1, v1, s[0:1] offset:1760
	s_add_u32 s2, s2, s15
	s_addc_u32 s3, s4, s3
	s_mov_b32 s17, 0
	s_load_b32 s2, s[2:3], 0x820
	s_waitcnt vmcnt(0)
	v_readfirstlane_b32 s3, v1
	s_delay_alu instid0(VALU_DEP_1)
	s_lshl_b32 s3, s3, 3
	s_clause 0x2
	s_load_b64 s[12:13], s[0:1], s3 offset:0x0
	s_load_b64 s[4:5], s[0:1], s3 offset:0x370
	s_load_b128 s[8:11], s[0:1], 0xd30
	s_waitcnt lgkmcnt(0)
	s_ashr_i32 s3, s2, 31
	s_delay_alu instid0(SALU_CYCLE_1)
	s_lshl_b64 s[14:15], s[2:3], 17
	s_lshl_b64 s[2:3], s[2:3], 16
	s_and_b32 s16, s12, 7
	s_sub_u32 s6, s4, s2
	s_subb_u32 s7, s5, s3
	s_and_b32 s2, s4, 3
	s_mov_b32 s3, s17
	s_delay_alu instid0(SALU_CYCLE_1) | instskip(NEXT) | instid1(SALU_CYCLE_1)
	s_or_b64 s[2:3], s[16:17], s[2:3]
	s_cmp_eq_u64 s[2:3], 0
	s_cbranch_scc1 .LBB27_29
; %bb.1:
	v_cmp_lt_i64_e64 s2, s[6:7], 1
	s_delay_alu instid0(VALU_DEP_1)
	s_and_b32 vcc_lo, exec_lo, s2
	s_cbranch_vccnz .LBB27_28
; %bb.2:
	s_load_b32 s2, s[0:1], 0xd4c
	v_cmp_gt_u64_e64 s3, 0x10000, s[6:7]
	v_lshlrev_b32_e32 v1, 1, v0
	v_dual_mov_b32 v5, 0 :: v_dual_mov_b32 v12, 1.0
	s_waitcnt lgkmcnt(0)
	s_and_b32 s2, s2, 0xffff
	s_delay_alu instid0(VALU_DEP_3)
	s_and_b32 s3, s3, exec_lo
	v_add_co_u32 v6, s5, v0, s2
	s_cselect_b32 s17, s7, 0
	s_cselect_b32 s16, s6, 0x10000
	s_lshl_b32 s3, s2, 1
	s_lshl_b32 s20, s2, 2
	v_lshlrev_b32_e32 v3, 1, v6
	v_add_co_ci_u32_e64 v7, null, 0, 0, s5
	s_add_u32 s5, s12, s14
	v_add_co_u32 v10, s3, s3, v0
	s_mul_i32 s4, s2, 3
	s_addc_u32 s18, s13, s15
	v_add_co_ci_u32_e64 v11, null, 0, 0, s3
	v_add_co_u32 v1, s3, s5, v1
	v_add_co_u32 v8, s4, s4, v0
	v_add_co_ci_u32_e64 v2, null, s18, 0, s3
	v_add_co_u32 v3, s3, s5, v3
	v_add_co_ci_u32_e64 v9, null, 0, 0, s4
	v_add_co_ci_u32_e64 v4, null, s18, 0, s3
	s_lshl_b32 s21, s2, 3
	s_mul_i32 s22, s2, 6
	s_mov_b64 s[18:19], 0
	s_branch .LBB27_4
.LBB27_3:                               ;   in Loop: Header=BB27_4 Depth=1
	s_or_b32 exec_lo, exec_lo, s2
	s_add_u32 s18, s18, s20
	s_addc_u32 s19, s19, 0
	v_add_co_u32 v1, vcc_lo, v1, s21
	v_cmp_ge_i64_e64 s2, s[18:19], s[6:7]
	v_cmp_lt_u64_e64 s3, 0xffff, s[18:19]
	v_add_co_ci_u32_e32 v2, vcc_lo, 0, v2, vcc_lo
	v_add_co_u32 v3, vcc_lo, v3, s21
	v_add_co_ci_u32_e32 v4, vcc_lo, 0, v4, vcc_lo
	s_delay_alu instid0(VALU_DEP_4) | instskip(NEXT) | instid1(SALU_CYCLE_1)
	s_or_b32 s2, s2, s3
	s_and_b32 vcc_lo, exec_lo, s2
	s_cbranch_vccnz .LBB27_28
.LBB27_4:                               ; =>This Inner Loop Header: Depth=1
	v_add_co_u32 v13, s2, v0, s18
	s_delay_alu instid0(VALU_DEP_1) | instskip(NEXT) | instid1(VALU_DEP_1)
	v_add_co_ci_u32_e64 v14, null, 0, s19, s2
	v_cmp_gt_u64_e32 vcc_lo, s[16:17], v[13:14]
	v_mov_b32_e32 v14, 0
	s_and_saveexec_b32 s2, vcc_lo
	s_cbranch_execz .LBB27_6
; %bb.5:                                ;   in Loop: Header=BB27_4 Depth=1
	global_load_u16 v14, v[1:2], off
.LBB27_6:                               ;   in Loop: Header=BB27_4 Depth=1
	s_or_b32 exec_lo, exec_lo, s2
	v_add_co_u32 v15, s2, v6, s18
	s_delay_alu instid0(VALU_DEP_1) | instskip(SKIP_1) | instid1(VALU_DEP_2)
	v_add_co_ci_u32_e64 v16, s2, s19, v7, s2
	v_mov_b32_e32 v13, 0
	v_cmp_gt_u64_e64 s2, s[16:17], v[15:16]
	v_mov_b32_e32 v15, 0
	s_delay_alu instid0(VALU_DEP_2)
	s_and_saveexec_b32 s3, s2
	s_cbranch_execz .LBB27_8
; %bb.7:                                ;   in Loop: Header=BB27_4 Depth=1
	global_load_u16 v15, v[3:4], off
.LBB27_8:                               ;   in Loop: Header=BB27_4 Depth=1
	s_or_b32 exec_lo, exec_lo, s3
	v_add_co_u32 v16, s3, v10, s18
	s_delay_alu instid0(VALU_DEP_1) | instskip(NEXT) | instid1(VALU_DEP_1)
	v_add_co_ci_u32_e64 v17, s3, s19, v11, s3
	v_cmp_gt_u64_e64 s3, s[16:17], v[16:17]
	s_delay_alu instid0(VALU_DEP_1)
	s_and_saveexec_b32 s5, s3
	s_cbranch_execz .LBB27_10
; %bb.9:                                ;   in Loop: Header=BB27_4 Depth=1
	v_add_co_u32 v16, s4, v1, s20
	s_delay_alu instid0(VALU_DEP_1)
	v_add_co_ci_u32_e64 v17, s4, 0, v2, s4
	global_load_u16 v13, v[16:17], off
.LBB27_10:                              ;   in Loop: Header=BB27_4 Depth=1
	s_or_b32 exec_lo, exec_lo, s5
	v_add_co_u32 v16, s4, v8, s18
	s_delay_alu instid0(VALU_DEP_1) | instskip(NEXT) | instid1(VALU_DEP_1)
	v_add_co_ci_u32_e64 v17, s4, s19, v9, s4
	v_cmp_gt_u64_e64 s4, s[16:17], v[16:17]
	v_mov_b32_e32 v16, 0
	s_delay_alu instid0(VALU_DEP_2)
	s_and_saveexec_b32 s23, s4
	s_cbranch_execz .LBB27_12
; %bb.11:                               ;   in Loop: Header=BB27_4 Depth=1
	v_add_co_u32 v16, s5, v1, s22
	s_delay_alu instid0(VALU_DEP_1)
	v_add_co_ci_u32_e64 v17, s5, 0, v2, s5
	global_load_u16 v16, v[16:17], off
.LBB27_12:                              ;   in Loop: Header=BB27_4 Depth=1
	s_or_b32 exec_lo, exec_lo, s23
	s_waitcnt vmcnt(0)
	v_cvt_f32_f16_e32 v19, v14
	s_mov_b32 s5, exec_lo
	s_delay_alu instid0(VALU_DEP_1)
	v_cmpx_nlg_f32_e64 0x7f800000, |v19|
	s_cbranch_execz .LBB27_14
; %bb.13:                               ;   in Loop: Header=BB27_4 Depth=1
	global_store_b32 v5, v12, s[8:9]
.LBB27_14:                              ;   in Loop: Header=BB27_4 Depth=1
	s_or_b32 exec_lo, exec_lo, s5
	global_load_b32 v24, v5, s[10:11]
	v_cvt_f32_f16_e32 v17, v15
	s_mov_b32 s5, exec_lo
	s_waitcnt vmcnt(0)
	v_mov_b32_e32 v21, v24
	s_delay_alu instid0(VALU_DEP_2)
	v_cmpx_nlg_f32_e64 0x7f800000, |v17|
	s_cbranch_execz .LBB27_16
; %bb.15:                               ;   in Loop: Header=BB27_4 Depth=1
	global_store_b32 v5, v12, s[8:9]
	global_load_b32 v21, v5, s[10:11]
.LBB27_16:                              ;   in Loop: Header=BB27_4 Depth=1
	s_or_b32 exec_lo, exec_lo, s5
	v_cvt_f32_f16_e32 v20, v13
	s_waitcnt vmcnt(0)
	v_mov_b32_e32 v23, v21
	s_mov_b32 s5, exec_lo
	s_delay_alu instid0(VALU_DEP_2)
	v_cmpx_nlg_f32_e64 0x7f800000, |v20|
	s_cbranch_execz .LBB27_18
; %bb.17:                               ;   in Loop: Header=BB27_4 Depth=1
	global_store_b32 v5, v12, s[8:9]
	global_load_b32 v23, v5, s[10:11]
.LBB27_18:                              ;   in Loop: Header=BB27_4 Depth=1
	s_or_b32 exec_lo, exec_lo, s5
	v_cvt_f32_f16_e32 v18, v16
	s_waitcnt vmcnt(0)
	v_mov_b32_e32 v22, v23
	s_mov_b32 s5, exec_lo
	s_delay_alu instid0(VALU_DEP_2)
	v_cmpx_nlg_f32_e64 0x7f800000, |v18|
	s_cbranch_execnz .LBB27_23
; %bb.19:                               ;   in Loop: Header=BB27_4 Depth=1
	s_or_b32 exec_lo, exec_lo, s5
	s_and_saveexec_b32 s5, vcc_lo
	s_delay_alu instid0(SALU_CYCLE_1)
	s_xor_b32 s5, exec_lo, s5
	s_cbranch_execnz .LBB27_24
.LBB27_20:                              ;   in Loop: Header=BB27_4 Depth=1
	s_or_b32 exec_lo, exec_lo, s5
	s_and_saveexec_b32 s5, s2
	s_cbranch_execnz .LBB27_25
.LBB27_21:                              ;   in Loop: Header=BB27_4 Depth=1
	s_or_b32 exec_lo, exec_lo, s5
	s_and_saveexec_b32 s2, s3
	s_cbranch_execnz .LBB27_26
.LBB27_22:                              ;   in Loop: Header=BB27_4 Depth=1
	s_or_b32 exec_lo, exec_lo, s2
	s_and_saveexec_b32 s2, s4
	s_cbranch_execz .LBB27_3
	s_branch .LBB27_27
.LBB27_23:                              ;   in Loop: Header=BB27_4 Depth=1
	global_store_b32 v5, v12, s[8:9]
	global_load_b32 v22, v5, s[10:11]
	s_or_b32 exec_lo, exec_lo, s5
	s_and_saveexec_b32 s5, vcc_lo
	s_delay_alu instid0(SALU_CYCLE_1)
	s_xor_b32 s5, exec_lo, s5
	s_cbranch_execz .LBB27_20
.LBB27_24:                              ;   in Loop: Header=BB27_4 Depth=1
	v_fma_mixlo_f16 v19, v24, v19, 0
	v_cmp_eq_f32_e32 vcc_lo, 1.0, v24
	s_delay_alu instid0(VALU_DEP_2)
	v_cndmask_b32_e32 v14, v19, v14, vcc_lo
	global_store_b16 v[1:2], v14, off
	s_or_b32 exec_lo, exec_lo, s5
	s_and_saveexec_b32 s5, s2
	s_cbranch_execz .LBB27_21
.LBB27_25:                              ;   in Loop: Header=BB27_4 Depth=1
	v_fma_mixlo_f16 v14, v21, v17, 0
	v_cmp_eq_f32_e32 vcc_lo, 1.0, v21
	s_delay_alu instid0(VALU_DEP_2)
	v_cndmask_b32_e32 v14, v14, v15, vcc_lo
	global_store_b16 v[3:4], v14, off
	s_or_b32 exec_lo, exec_lo, s5
	s_and_saveexec_b32 s2, s3
	s_cbranch_execz .LBB27_22
.LBB27_26:                              ;   in Loop: Header=BB27_4 Depth=1
	v_fma_mixlo_f16 v14, v23, v20, 0
	v_cmp_eq_f32_e32 vcc_lo, 1.0, v23
	s_delay_alu instid0(VALU_DEP_2)
	v_cndmask_b32_e32 v15, v14, v13, vcc_lo
	v_add_co_u32 v13, vcc_lo, v1, s20
	v_add_co_ci_u32_e32 v14, vcc_lo, 0, v2, vcc_lo
	global_store_b16 v[13:14], v15, off
	s_or_b32 exec_lo, exec_lo, s2
	s_and_saveexec_b32 s2, s4
	s_cbranch_execz .LBB27_3
.LBB27_27:                              ;   in Loop: Header=BB27_4 Depth=1
	s_waitcnt vmcnt(0)
	v_fma_mixlo_f16 v13, v22, v18, 0
	v_cmp_eq_f32_e32 vcc_lo, 1.0, v22
	s_delay_alu instid0(VALU_DEP_2)
	v_cndmask_b32_e32 v15, v13, v16, vcc_lo
	v_add_co_u32 v13, vcc_lo, v1, s22
	v_add_co_ci_u32_e32 v14, vcc_lo, 0, v2, vcc_lo
	global_store_b16 v[13:14], v15, off
	s_branch .LBB27_3
.LBB27_28:
	s_cbranch_execz .LBB27_30
	s_branch .LBB27_41
.LBB27_29:
.LBB27_30:
	v_dual_mov_b32 v2, 0 :: v_dual_lshlrev_b32 v1, 2, v0
	s_mov_b32 s2, 0
	s_mov_b32 s3, exec_lo
	s_delay_alu instid0(VALU_DEP_1)
	v_cmpx_gt_i64_e64 s[6:7], v[1:2]
	s_cbranch_execz .LBB27_41
; %bb.31:
	s_load_b32 s0, s[0:1], 0xd4c
	v_lshlrev_b32_e32 v1, 3, v0
	s_waitcnt lgkmcnt(0)
	s_and_b32 s0, s0, 0xffff
	s_delay_alu instid0(SALU_CYCLE_1)
	s_lshl_b32 s1, s0, 2
	s_add_u32 s3, s12, s14
	s_addc_u32 s4, s13, s15
	v_add_co_u32 v3, s3, s3, v1
	v_add_lshl_u32 v1, v0, s0, 2
	v_add_co_ci_u32_e64 v4, null, s4, 0, s3
	s_delay_alu instid0(VALU_DEP_3) | instskip(NEXT) | instid1(VALU_DEP_3)
	v_add_co_u32 v3, vcc_lo, v3, 4
	v_dual_mov_b32 v7, 1.0 :: v_dual_mov_b32 v0, v1
	s_delay_alu instid0(VALU_DEP_3)
	v_add_co_ci_u32_e32 v4, vcc_lo, 0, v4, vcc_lo
	v_mov_b32_e32 v1, v2
	s_lshl_b32 s3, s0, 3
	s_branch .LBB27_33
.LBB27_32:                              ;   in Loop: Header=BB27_33 Depth=1
	s_or_b32 exec_lo, exec_lo, s0
	v_fma_mixlo_f16 v14, v13, v14, 0
	v_cmp_eq_f32_e32 vcc_lo, 1.0, v13
	v_fma_mixlo_f16 v12, v11, v12, 0
	s_waitcnt vmcnt(0)
	v_fma_mixlo_f16 v17, v16, v17, 0
	v_fma_mixlo_f16 v8, v9, v8, 0
	v_cmp_lt_u64_e64 s0, 0xffff, v[0:1]
	v_cndmask_b32_e32 v6, v14, v6, vcc_lo
	v_cmp_eq_f32_e32 vcc_lo, 1.0, v11
	v_cndmask_b32_e32 v10, v12, v10, vcc_lo
	v_cmp_eq_f32_e32 vcc_lo, 1.0, v16
	;; [unrolled: 2-line block ×3, first 2 shown]
	s_delay_alu instid0(VALU_DEP_2) | instskip(SKIP_2) | instid1(VALU_DEP_2)
	v_perm_b32 v6, v11, v6, 0x5040100
	v_cndmask_b32_e32 v5, v8, v5, vcc_lo
	v_cmp_le_i64_e32 vcc_lo, s[6:7], v[0:1]
	v_perm_b32 v5, v10, v5, 0x5040100
	s_or_b32 s0, vcc_lo, s0
	v_add_co_u32 v0, vcc_lo, v0, s1
	v_add_co_ci_u32_e32 v1, vcc_lo, 0, v1, vcc_lo
	global_store_b64 v[3:4], v[5:6], off offset:-4
	v_add_co_u32 v3, vcc_lo, v3, s3
	v_add_co_ci_u32_e32 v4, vcc_lo, 0, v4, vcc_lo
	s_and_b32 s0, exec_lo, s0
	s_delay_alu instid0(SALU_CYCLE_1) | instskip(NEXT) | instid1(SALU_CYCLE_1)
	s_or_b32 s2, s0, s2
	s_and_not1_b32 exec_lo, exec_lo, s2
	s_cbranch_execz .LBB27_41
.LBB27_33:                              ; =>This Inner Loop Header: Depth=1
	global_load_b64 v[5:6], v[3:4], off offset:-4
	s_mov_b32 s0, exec_lo
	s_waitcnt vmcnt(0)
	v_cvt_f32_f16_e32 v8, v5
	s_delay_alu instid0(VALU_DEP_1)
	v_cmpx_nlg_f32_e64 0x7f800000, |v8|
	s_cbranch_execz .LBB27_35
; %bb.34:                               ;   in Loop: Header=BB27_33 Depth=1
	global_store_b32 v2, v7, s[8:9]
.LBB27_35:                              ;   in Loop: Header=BB27_33 Depth=1
	s_or_b32 exec_lo, exec_lo, s0
	global_load_b32 v9, v2, s[10:11]
	v_lshrrev_b32_e32 v10, 16, v5
	s_mov_b32 s0, exec_lo
	s_delay_alu instid0(VALU_DEP_1) | instskip(SKIP_2) | instid1(VALU_DEP_2)
	v_cvt_f32_f16_e32 v12, v10
	s_waitcnt vmcnt(0)
	v_mov_b32_e32 v11, v9
	v_cmpx_nlg_f32_e64 0x7f800000, |v12|
	s_cbranch_execz .LBB27_37
; %bb.36:                               ;   in Loop: Header=BB27_33 Depth=1
	global_store_b32 v2, v7, s[8:9]
	global_load_b32 v11, v2, s[10:11]
.LBB27_37:                              ;   in Loop: Header=BB27_33 Depth=1
	s_or_b32 exec_lo, exec_lo, s0
	v_cvt_f32_f16_e32 v14, v6
	s_waitcnt vmcnt(0)
	v_mov_b32_e32 v13, v11
	s_mov_b32 s0, exec_lo
	s_delay_alu instid0(VALU_DEP_2)
	v_cmpx_nlg_f32_e64 0x7f800000, |v14|
	s_cbranch_execz .LBB27_39
; %bb.38:                               ;   in Loop: Header=BB27_33 Depth=1
	global_store_b32 v2, v7, s[8:9]
	global_load_b32 v13, v2, s[10:11]
.LBB27_39:                              ;   in Loop: Header=BB27_33 Depth=1
	s_or_b32 exec_lo, exec_lo, s0
	v_lshrrev_b32_e32 v15, 16, v6
	s_waitcnt vmcnt(0)
	v_mov_b32_e32 v16, v13
	s_mov_b32 s0, exec_lo
	s_delay_alu instid0(VALU_DEP_2) | instskip(NEXT) | instid1(VALU_DEP_1)
	v_cvt_f32_f16_e32 v17, v15
	v_cmpx_nlg_f32_e64 0x7f800000, |v17|
	s_cbranch_execz .LBB27_32
; %bb.40:                               ;   in Loop: Header=BB27_33 Depth=1
	global_store_b32 v2, v7, s[8:9]
	global_load_b32 v16, v2, s[10:11]
	s_branch .LBB27_32
.LBB27_41:
	s_nop 0
	s_sendmsg sendmsg(MSG_DEALLOC_VGPRS)
	s_endpgm
	.section	.rodata,"a",@progbits
	.p2align	6, 0x0
	.amdhsa_kernel _ZN2at6native12_GLOBAL__N_125multi_tensor_apply_kernelINS1_18TensorListMetadataILi1EEENS1_14UnaryOpFunctorIN3c104HalfELi1ELi1ELi0EEEJZZZNS0_47_amp_foreach_non_finite_check_and_unscale_cuda_ENS6_8ArrayRefINS_6TensorEEERSA_RKSA_ENKUlvE_clEvENKUlvE1_clEvEUlfE_EEEvT_T0_DpT1_
		.amdhsa_group_segment_fixed_size 0
		.amdhsa_private_segment_fixed_size 0
		.amdhsa_kernarg_size 3648
		.amdhsa_user_sgpr_count 15
		.amdhsa_user_sgpr_dispatch_ptr 0
		.amdhsa_user_sgpr_queue_ptr 0
		.amdhsa_user_sgpr_kernarg_segment_ptr 1
		.amdhsa_user_sgpr_dispatch_id 0
		.amdhsa_user_sgpr_private_segment_size 0
		.amdhsa_wavefront_size32 1
		.amdhsa_uses_dynamic_stack 0
		.amdhsa_enable_private_segment 0
		.amdhsa_system_sgpr_workgroup_id_x 1
		.amdhsa_system_sgpr_workgroup_id_y 0
		.amdhsa_system_sgpr_workgroup_id_z 0
		.amdhsa_system_sgpr_workgroup_info 0
		.amdhsa_system_vgpr_workitem_id 0
		.amdhsa_next_free_vgpr 25
		.amdhsa_next_free_sgpr 24
		.amdhsa_reserve_vcc 1
		.amdhsa_float_round_mode_32 0
		.amdhsa_float_round_mode_16_64 0
		.amdhsa_float_denorm_mode_32 3
		.amdhsa_float_denorm_mode_16_64 3
		.amdhsa_dx10_clamp 1
		.amdhsa_ieee_mode 1
		.amdhsa_fp16_overflow 0
		.amdhsa_workgroup_processor_mode 1
		.amdhsa_memory_ordered 1
		.amdhsa_forward_progress 0
		.amdhsa_shared_vgpr_count 0
		.amdhsa_exception_fp_ieee_invalid_op 0
		.amdhsa_exception_fp_denorm_src 0
		.amdhsa_exception_fp_ieee_div_zero 0
		.amdhsa_exception_fp_ieee_overflow 0
		.amdhsa_exception_fp_ieee_underflow 0
		.amdhsa_exception_fp_ieee_inexact 0
		.amdhsa_exception_int_div_zero 0
	.end_amdhsa_kernel
	.section	.text._ZN2at6native12_GLOBAL__N_125multi_tensor_apply_kernelINS1_18TensorListMetadataILi1EEENS1_14UnaryOpFunctorIN3c104HalfELi1ELi1ELi0EEEJZZZNS0_47_amp_foreach_non_finite_check_and_unscale_cuda_ENS6_8ArrayRefINS_6TensorEEERSA_RKSA_ENKUlvE_clEvENKUlvE1_clEvEUlfE_EEEvT_T0_DpT1_,"axG",@progbits,_ZN2at6native12_GLOBAL__N_125multi_tensor_apply_kernelINS1_18TensorListMetadataILi1EEENS1_14UnaryOpFunctorIN3c104HalfELi1ELi1ELi0EEEJZZZNS0_47_amp_foreach_non_finite_check_and_unscale_cuda_ENS6_8ArrayRefINS_6TensorEEERSA_RKSA_ENKUlvE_clEvENKUlvE1_clEvEUlfE_EEEvT_T0_DpT1_,comdat
.Lfunc_end27:
	.size	_ZN2at6native12_GLOBAL__N_125multi_tensor_apply_kernelINS1_18TensorListMetadataILi1EEENS1_14UnaryOpFunctorIN3c104HalfELi1ELi1ELi0EEEJZZZNS0_47_amp_foreach_non_finite_check_and_unscale_cuda_ENS6_8ArrayRefINS_6TensorEEERSA_RKSA_ENKUlvE_clEvENKUlvE1_clEvEUlfE_EEEvT_T0_DpT1_, .Lfunc_end27-_ZN2at6native12_GLOBAL__N_125multi_tensor_apply_kernelINS1_18TensorListMetadataILi1EEENS1_14UnaryOpFunctorIN3c104HalfELi1ELi1ELi0EEEJZZZNS0_47_amp_foreach_non_finite_check_and_unscale_cuda_ENS6_8ArrayRefINS_6TensorEEERSA_RKSA_ENKUlvE_clEvENKUlvE1_clEvEUlfE_EEEvT_T0_DpT1_
                                        ; -- End function
	.section	.AMDGPU.csdata,"",@progbits
; Kernel info:
; codeLenInByte = 1720
; NumSgprs: 26
; NumVgprs: 25
; ScratchSize: 0
; MemoryBound: 0
; FloatMode: 240
; IeeeMode: 1
; LDSByteSize: 0 bytes/workgroup (compile time only)
; SGPRBlocks: 3
; VGPRBlocks: 3
; NumSGPRsForWavesPerEU: 26
; NumVGPRsForWavesPerEU: 25
; Occupancy: 16
; WaveLimiterHint : 0
; COMPUTE_PGM_RSRC2:SCRATCH_EN: 0
; COMPUTE_PGM_RSRC2:USER_SGPR: 15
; COMPUTE_PGM_RSRC2:TRAP_HANDLER: 0
; COMPUTE_PGM_RSRC2:TGID_X_EN: 1
; COMPUTE_PGM_RSRC2:TGID_Y_EN: 0
; COMPUTE_PGM_RSRC2:TGID_Z_EN: 0
; COMPUTE_PGM_RSRC2:TIDIG_COMP_CNT: 0
	.text
	.p2alignl 7, 3214868480
	.fill 96, 4, 3214868480
	.type	__hip_cuid_906f4939e4db4a2d,@object ; @__hip_cuid_906f4939e4db4a2d
	.section	.bss,"aw",@nobits
	.globl	__hip_cuid_906f4939e4db4a2d
__hip_cuid_906f4939e4db4a2d:
	.byte	0                               ; 0x0
	.size	__hip_cuid_906f4939e4db4a2d, 1

	.ident	"AMD clang version 19.0.0git (https://github.com/RadeonOpenCompute/llvm-project roc-6.4.0 25133 c7fe45cf4b819c5991fe208aaa96edf142730f1d)"
	.section	".note.GNU-stack","",@progbits
	.addrsig
	.addrsig_sym __hip_cuid_906f4939e4db4a2d
	.amdgpu_metadata
---
amdhsa.kernels:
  - .args:
      - .address_space:  global
        .offset:         0
        .size:           8
        .value_kind:     global_buffer
      - .address_space:  global
        .offset:         8
        .size:           8
        .value_kind:     global_buffer
      - .address_space:  global
        .offset:         16
        .size:           8
        .value_kind:     global_buffer
      - .offset:         24
        .size:           8
        .value_kind:     by_value
      - .offset:         32
        .size:           8
        .value_kind:     by_value
      - .offset:         40
        .size:           4
        .value_kind:     by_value
    .group_segment_fixed_size: 0
    .kernarg_segment_align: 8
    .kernarg_segment_size: 44
    .language:       OpenCL C
    .language_version:
      - 2
      - 0
    .max_flat_workgroup_size: 1024
    .name:           _ZN2at6native28amp_update_scale_cuda_kernelEPfPiPKfddi
    .private_segment_fixed_size: 0
    .sgpr_count:     14
    .sgpr_spill_count: 0
    .symbol:         _ZN2at6native28amp_update_scale_cuda_kernelEPfPiPKfddi.kd
    .uniform_work_group_size: 1
    .uses_dynamic_stack: false
    .vgpr_count:     2
    .vgpr_spill_count: 0
    .wavefront_size: 32
    .workgroup_processor_mode: 1
  - .args:
      - .offset:         0
        .size:           4
        .value_kind:     by_value
      - .offset:         8
        .size:           16
        .value_kind:     by_value
      - .offset:         24
        .size:           16
        .value_kind:     by_value
    .group_segment_fixed_size: 0
    .kernarg_segment_align: 8
    .kernarg_segment_size: 40
    .language:       OpenCL C
    .language_version:
      - 2
      - 0
    .max_flat_workgroup_size: 256
    .name:           _ZN2at6native29vectorized_elementwise_kernelILi16EZZZNS0_12_GLOBAL__N_139_amp_non_finite_check_and_unscale_cuda_ERNS_6TensorES4_RKS3_ENKUlvE_clEvENKUlvE_clEvEUldE_St5arrayIPcLm2EEEEviT0_T1_
    .private_segment_fixed_size: 0
    .sgpr_count:     18
    .sgpr_spill_count: 0
    .symbol:         _ZN2at6native29vectorized_elementwise_kernelILi16EZZZNS0_12_GLOBAL__N_139_amp_non_finite_check_and_unscale_cuda_ERNS_6TensorES4_RKS3_ENKUlvE_clEvENKUlvE_clEvEUldE_St5arrayIPcLm2EEEEviT0_T1_.kd
    .uniform_work_group_size: 1
    .uses_dynamic_stack: false
    .vgpr_count:     22
    .vgpr_spill_count: 0
    .wavefront_size: 32
    .workgroup_processor_mode: 1
  - .args:
      - .offset:         0
        .size:           4
        .value_kind:     by_value
      - .offset:         8
        .size:           16
        .value_kind:     by_value
      - .offset:         24
        .size:           16
        .value_kind:     by_value
    .group_segment_fixed_size: 0
    .kernarg_segment_align: 8
    .kernarg_segment_size: 40
    .language:       OpenCL C
    .language_version:
      - 2
      - 0
    .max_flat_workgroup_size: 256
    .name:           _ZN2at6native29vectorized_elementwise_kernelILi8EZZZNS0_12_GLOBAL__N_139_amp_non_finite_check_and_unscale_cuda_ERNS_6TensorES4_RKS3_ENKUlvE_clEvENKUlvE_clEvEUldE_St5arrayIPcLm2EEEEviT0_T1_
    .private_segment_fixed_size: 0
    .sgpr_count:     18
    .sgpr_spill_count: 0
    .symbol:         _ZN2at6native29vectorized_elementwise_kernelILi8EZZZNS0_12_GLOBAL__N_139_amp_non_finite_check_and_unscale_cuda_ERNS_6TensorES4_RKS3_ENKUlvE_clEvENKUlvE_clEvEUldE_St5arrayIPcLm2EEEEviT0_T1_.kd
    .uniform_work_group_size: 1
    .uses_dynamic_stack: false
    .vgpr_count:     22
    .vgpr_spill_count: 0
    .wavefront_size: 32
    .workgroup_processor_mode: 1
  - .args:
      - .offset:         0
        .size:           4
        .value_kind:     by_value
      - .offset:         8
        .size:           16
        .value_kind:     by_value
      - .offset:         24
        .size:           16
        .value_kind:     by_value
    .group_segment_fixed_size: 0
    .kernarg_segment_align: 8
    .kernarg_segment_size: 40
    .language:       OpenCL C
    .language_version:
      - 2
      - 0
    .max_flat_workgroup_size: 256
    .name:           _ZN2at6native29vectorized_elementwise_kernelILi4EZZZNS0_12_GLOBAL__N_139_amp_non_finite_check_and_unscale_cuda_ERNS_6TensorES4_RKS3_ENKUlvE_clEvENKUlvE_clEvEUldE_St5arrayIPcLm2EEEEviT0_T1_
    .private_segment_fixed_size: 0
    .sgpr_count:     18
    .sgpr_spill_count: 0
    .symbol:         _ZN2at6native29vectorized_elementwise_kernelILi4EZZZNS0_12_GLOBAL__N_139_amp_non_finite_check_and_unscale_cuda_ERNS_6TensorES4_RKS3_ENKUlvE_clEvENKUlvE_clEvEUldE_St5arrayIPcLm2EEEEviT0_T1_.kd
    .uniform_work_group_size: 1
    .uses_dynamic_stack: false
    .vgpr_count:     22
    .vgpr_spill_count: 0
    .wavefront_size: 32
    .workgroup_processor_mode: 1
  - .args:
      - .offset:         0
        .size:           4
        .value_kind:     by_value
      - .offset:         8
        .size:           16
        .value_kind:     by_value
      - .offset:         24
        .size:           16
        .value_kind:     by_value
    .group_segment_fixed_size: 0
    .kernarg_segment_align: 8
    .kernarg_segment_size: 40
    .language:       OpenCL C
    .language_version:
      - 2
      - 0
    .max_flat_workgroup_size: 256
    .name:           _ZN2at6native29vectorized_elementwise_kernelILi2EZZZNS0_12_GLOBAL__N_139_amp_non_finite_check_and_unscale_cuda_ERNS_6TensorES4_RKS3_ENKUlvE_clEvENKUlvE_clEvEUldE_St5arrayIPcLm2EEEEviT0_T1_
    .private_segment_fixed_size: 0
    .sgpr_count:     20
    .sgpr_spill_count: 0
    .symbol:         _ZN2at6native29vectorized_elementwise_kernelILi2EZZZNS0_12_GLOBAL__N_139_amp_non_finite_check_and_unscale_cuda_ERNS_6TensorES4_RKS3_ENKUlvE_clEvENKUlvE_clEvEUldE_St5arrayIPcLm2EEEEviT0_T1_.kd
    .uniform_work_group_size: 1
    .uses_dynamic_stack: false
    .vgpr_count:     22
    .vgpr_spill_count: 0
    .wavefront_size: 32
    .workgroup_processor_mode: 1
  - .args:
      - .offset:         0
        .size:           4
        .value_kind:     by_value
      - .offset:         8
        .size:           16
        .value_kind:     by_value
      - .offset:         24
        .size:           16
        .value_kind:     by_value
      - .offset:         40
        .size:           1
        .value_kind:     by_value
      - .offset:         41
        .size:           1
        .value_kind:     by_value
      - .offset:         42
        .size:           1
        .value_kind:     by_value
      - .offset:         43
        .size:           1
        .value_kind:     by_value
    .group_segment_fixed_size: 0
    .kernarg_segment_align: 8
    .kernarg_segment_size: 44
    .language:       OpenCL C
    .language_version:
      - 2
      - 0
    .max_flat_workgroup_size: 256
    .name:           _ZN2at6native27unrolled_elementwise_kernelIZZZNS0_12_GLOBAL__N_139_amp_non_finite_check_and_unscale_cuda_ERNS_6TensorES4_RKS3_ENKUlvE_clEvENKUlvE_clEvEUldE_St5arrayIPcLm2EELi4E23TrivialOffsetCalculatorILi1EjESE_NS0_6memory15LoadWithoutCastENSF_16StoreWithoutCastEEEviT_T0_T2_T3_T4_T5_
    .private_segment_fixed_size: 0
    .sgpr_count:     18
    .sgpr_spill_count: 0
    .symbol:         _ZN2at6native27unrolled_elementwise_kernelIZZZNS0_12_GLOBAL__N_139_amp_non_finite_check_and_unscale_cuda_ERNS_6TensorES4_RKS3_ENKUlvE_clEvENKUlvE_clEvEUldE_St5arrayIPcLm2EELi4E23TrivialOffsetCalculatorILi1EjESE_NS0_6memory15LoadWithoutCastENSF_16StoreWithoutCastEEEviT_T0_T2_T3_T4_T5_.kd
    .uniform_work_group_size: 1
    .uses_dynamic_stack: false
    .vgpr_count:     19
    .vgpr_spill_count: 0
    .wavefront_size: 32
    .workgroup_processor_mode: 1
  - .args:
      - .offset:         0
        .size:           4
        .value_kind:     by_value
      - .offset:         8
        .size:           360
        .value_kind:     by_value
    .group_segment_fixed_size: 0
    .kernarg_segment_align: 8
    .kernarg_segment_size: 368
    .language:       OpenCL C
    .language_version:
      - 2
      - 0
    .max_flat_workgroup_size: 128
    .name:           _ZN2at6native32elementwise_kernel_manual_unrollILi128ELi4EZNS0_22gpu_kernel_impl_nocastIZZZNS0_12_GLOBAL__N_139_amp_non_finite_check_and_unscale_cuda_ERNS_6TensorES5_RKS4_ENKUlvE_clEvENKUlvE_clEvEUldE_EEvRNS_18TensorIteratorBaseERKT_EUlibE_EEviT1_
    .private_segment_fixed_size: 0
    .sgpr_count:     62
    .sgpr_spill_count: 0
    .symbol:         _ZN2at6native32elementwise_kernel_manual_unrollILi128ELi4EZNS0_22gpu_kernel_impl_nocastIZZZNS0_12_GLOBAL__N_139_amp_non_finite_check_and_unscale_cuda_ERNS_6TensorES5_RKS4_ENKUlvE_clEvENKUlvE_clEvEUldE_EEvRNS_18TensorIteratorBaseERKT_EUlibE_EEviT1_.kd
    .uniform_work_group_size: 1
    .uses_dynamic_stack: false
    .vgpr_count:     24
    .vgpr_spill_count: 0
    .wavefront_size: 32
    .workgroup_processor_mode: 1
  - .args:
      - .offset:         0
        .size:           4
        .value_kind:     by_value
      - .offset:         8
        .size:           48
        .value_kind:     by_value
    .group_segment_fixed_size: 0
    .kernarg_segment_align: 8
    .kernarg_segment_size: 56
    .language:       OpenCL C
    .language_version:
      - 2
      - 0
    .max_flat_workgroup_size: 128
    .name:           _ZN2at6native32elementwise_kernel_manual_unrollILi128ELi4EZNS0_15gpu_kernel_implIZZZNS0_12_GLOBAL__N_139_amp_non_finite_check_and_unscale_cuda_ERNS_6TensorES5_RKS4_ENKUlvE_clEvENKUlvE_clEvEUldE_EEvRNS_18TensorIteratorBaseERKT_EUlibE_EEviT1_
    .private_segment_fixed_size: 0
    .sgpr_count:     32
    .sgpr_spill_count: 0
    .symbol:         _ZN2at6native32elementwise_kernel_manual_unrollILi128ELi4EZNS0_15gpu_kernel_implIZZZNS0_12_GLOBAL__N_139_amp_non_finite_check_and_unscale_cuda_ERNS_6TensorES5_RKS4_ENKUlvE_clEvENKUlvE_clEvEUldE_EEvRNS_18TensorIteratorBaseERKT_EUlibE_EEviT1_.kd
    .uniform_work_group_size: 1
    .uses_dynamic_stack: false
    .vgpr_count:     26
    .vgpr_spill_count: 0
    .wavefront_size: 32
    .workgroup_processor_mode: 1
  - .args:
      - .offset:         0
        .size:           4
        .value_kind:     by_value
      - .offset:         8
        .size:           368
        .value_kind:     by_value
    .group_segment_fixed_size: 0
    .kernarg_segment_align: 8
    .kernarg_segment_size: 376
    .language:       OpenCL C
    .language_version:
      - 2
      - 0
    .max_flat_workgroup_size: 128
    .name:           _ZN2at6native32elementwise_kernel_manual_unrollILi128ELi4EZNS0_15gpu_kernel_implIZZZNS0_12_GLOBAL__N_139_amp_non_finite_check_and_unscale_cuda_ERNS_6TensorES5_RKS4_ENKUlvE_clEvENKUlvE_clEvEUldE_EEvRNS_18TensorIteratorBaseERKT_EUlibE0_EEviT1_
    .private_segment_fixed_size: 0
    .sgpr_count:     74
    .sgpr_spill_count: 0
    .symbol:         _ZN2at6native32elementwise_kernel_manual_unrollILi128ELi4EZNS0_15gpu_kernel_implIZZZNS0_12_GLOBAL__N_139_amp_non_finite_check_and_unscale_cuda_ERNS_6TensorES5_RKS4_ENKUlvE_clEvENKUlvE_clEvEUldE_EEvRNS_18TensorIteratorBaseERKT_EUlibE0_EEviT1_.kd
    .uniform_work_group_size: 1
    .uses_dynamic_stack: false
    .vgpr_count:     27
    .vgpr_spill_count: 0
    .wavefront_size: 32
    .workgroup_processor_mode: 1
  - .args:
      - .offset:         0
        .size:           4
        .value_kind:     by_value
      - .offset:         8
        .size:           16
        .value_kind:     by_value
      - .offset:         24
        .size:           16
        .value_kind:     by_value
    .group_segment_fixed_size: 0
    .kernarg_segment_align: 8
    .kernarg_segment_size: 40
    .language:       OpenCL C
    .language_version:
      - 2
      - 0
    .max_flat_workgroup_size: 256
    .name:           _ZN2at6native29vectorized_elementwise_kernelILi16EZZZNS0_12_GLOBAL__N_139_amp_non_finite_check_and_unscale_cuda_ERNS_6TensorES4_RKS3_ENKUlvE_clEvENKUlvE0_clEvEUlfE_St5arrayIPcLm2EEEEviT0_T1_
    .private_segment_fixed_size: 0
    .sgpr_count:     18
    .sgpr_spill_count: 0
    .symbol:         _ZN2at6native29vectorized_elementwise_kernelILi16EZZZNS0_12_GLOBAL__N_139_amp_non_finite_check_and_unscale_cuda_ERNS_6TensorES4_RKS3_ENKUlvE_clEvENKUlvE0_clEvEUlfE_St5arrayIPcLm2EEEEviT0_T1_.kd
    .uniform_work_group_size: 1
    .uses_dynamic_stack: false
    .vgpr_count:     14
    .vgpr_spill_count: 0
    .wavefront_size: 32
    .workgroup_processor_mode: 1
  - .args:
      - .offset:         0
        .size:           4
        .value_kind:     by_value
      - .offset:         8
        .size:           16
        .value_kind:     by_value
      - .offset:         24
        .size:           16
        .value_kind:     by_value
    .group_segment_fixed_size: 0
    .kernarg_segment_align: 8
    .kernarg_segment_size: 40
    .language:       OpenCL C
    .language_version:
      - 2
      - 0
    .max_flat_workgroup_size: 256
    .name:           _ZN2at6native29vectorized_elementwise_kernelILi8EZZZNS0_12_GLOBAL__N_139_amp_non_finite_check_and_unscale_cuda_ERNS_6TensorES4_RKS3_ENKUlvE_clEvENKUlvE0_clEvEUlfE_St5arrayIPcLm2EEEEviT0_T1_
    .private_segment_fixed_size: 0
    .sgpr_count:     18
    .sgpr_spill_count: 0
    .symbol:         _ZN2at6native29vectorized_elementwise_kernelILi8EZZZNS0_12_GLOBAL__N_139_amp_non_finite_check_and_unscale_cuda_ERNS_6TensorES4_RKS3_ENKUlvE_clEvENKUlvE0_clEvEUlfE_St5arrayIPcLm2EEEEviT0_T1_.kd
    .uniform_work_group_size: 1
    .uses_dynamic_stack: false
    .vgpr_count:     14
    .vgpr_spill_count: 0
    .wavefront_size: 32
    .workgroup_processor_mode: 1
  - .args:
      - .offset:         0
        .size:           4
        .value_kind:     by_value
      - .offset:         8
        .size:           16
        .value_kind:     by_value
      - .offset:         24
        .size:           16
        .value_kind:     by_value
    .group_segment_fixed_size: 0
    .kernarg_segment_align: 8
    .kernarg_segment_size: 40
    .language:       OpenCL C
    .language_version:
      - 2
      - 0
    .max_flat_workgroup_size: 256
    .name:           _ZN2at6native29vectorized_elementwise_kernelILi4EZZZNS0_12_GLOBAL__N_139_amp_non_finite_check_and_unscale_cuda_ERNS_6TensorES4_RKS3_ENKUlvE_clEvENKUlvE0_clEvEUlfE_St5arrayIPcLm2EEEEviT0_T1_
    .private_segment_fixed_size: 0
    .sgpr_count:     18
    .sgpr_spill_count: 0
    .symbol:         _ZN2at6native29vectorized_elementwise_kernelILi4EZZZNS0_12_GLOBAL__N_139_amp_non_finite_check_and_unscale_cuda_ERNS_6TensorES4_RKS3_ENKUlvE_clEvENKUlvE0_clEvEUlfE_St5arrayIPcLm2EEEEviT0_T1_.kd
    .uniform_work_group_size: 1
    .uses_dynamic_stack: false
    .vgpr_count:     14
    .vgpr_spill_count: 0
    .wavefront_size: 32
    .workgroup_processor_mode: 1
  - .args:
      - .offset:         0
        .size:           4
        .value_kind:     by_value
      - .offset:         8
        .size:           16
        .value_kind:     by_value
      - .offset:         24
        .size:           16
        .value_kind:     by_value
    .group_segment_fixed_size: 0
    .kernarg_segment_align: 8
    .kernarg_segment_size: 40
    .language:       OpenCL C
    .language_version:
      - 2
      - 0
    .max_flat_workgroup_size: 256
    .name:           _ZN2at6native29vectorized_elementwise_kernelILi2EZZZNS0_12_GLOBAL__N_139_amp_non_finite_check_and_unscale_cuda_ERNS_6TensorES4_RKS3_ENKUlvE_clEvENKUlvE0_clEvEUlfE_St5arrayIPcLm2EEEEviT0_T1_
    .private_segment_fixed_size: 0
    .sgpr_count:     18
    .sgpr_spill_count: 0
    .symbol:         _ZN2at6native29vectorized_elementwise_kernelILi2EZZZNS0_12_GLOBAL__N_139_amp_non_finite_check_and_unscale_cuda_ERNS_6TensorES4_RKS3_ENKUlvE_clEvENKUlvE0_clEvEUlfE_St5arrayIPcLm2EEEEviT0_T1_.kd
    .uniform_work_group_size: 1
    .uses_dynamic_stack: false
    .vgpr_count:     14
    .vgpr_spill_count: 0
    .wavefront_size: 32
    .workgroup_processor_mode: 1
  - .args:
      - .offset:         0
        .size:           4
        .value_kind:     by_value
      - .offset:         8
        .size:           16
        .value_kind:     by_value
      - .offset:         24
        .size:           16
        .value_kind:     by_value
      - .offset:         40
        .size:           1
        .value_kind:     by_value
      - .offset:         41
        .size:           1
        .value_kind:     by_value
      - .offset:         42
        .size:           1
        .value_kind:     by_value
      - .offset:         43
        .size:           1
        .value_kind:     by_value
    .group_segment_fixed_size: 0
    .kernarg_segment_align: 8
    .kernarg_segment_size: 44
    .language:       OpenCL C
    .language_version:
      - 2
      - 0
    .max_flat_workgroup_size: 256
    .name:           _ZN2at6native27unrolled_elementwise_kernelIZZZNS0_12_GLOBAL__N_139_amp_non_finite_check_and_unscale_cuda_ERNS_6TensorES4_RKS3_ENKUlvE_clEvENKUlvE0_clEvEUlfE_St5arrayIPcLm2EELi4E23TrivialOffsetCalculatorILi1EjESE_NS0_6memory15LoadWithoutCastENSF_16StoreWithoutCastEEEviT_T0_T2_T3_T4_T5_
    .private_segment_fixed_size: 0
    .sgpr_count:     18
    .sgpr_spill_count: 0
    .symbol:         _ZN2at6native27unrolled_elementwise_kernelIZZZNS0_12_GLOBAL__N_139_amp_non_finite_check_and_unscale_cuda_ERNS_6TensorES4_RKS3_ENKUlvE_clEvENKUlvE0_clEvEUlfE_St5arrayIPcLm2EELi4E23TrivialOffsetCalculatorILi1EjESE_NS0_6memory15LoadWithoutCastENSF_16StoreWithoutCastEEEviT_T0_T2_T3_T4_T5_.kd
    .uniform_work_group_size: 1
    .uses_dynamic_stack: false
    .vgpr_count:     11
    .vgpr_spill_count: 0
    .wavefront_size: 32
    .workgroup_processor_mode: 1
  - .args:
      - .offset:         0
        .size:           4
        .value_kind:     by_value
      - .offset:         8
        .size:           360
        .value_kind:     by_value
    .group_segment_fixed_size: 0
    .kernarg_segment_align: 8
    .kernarg_segment_size: 368
    .language:       OpenCL C
    .language_version:
      - 2
      - 0
    .max_flat_workgroup_size: 128
    .name:           _ZN2at6native32elementwise_kernel_manual_unrollILi128ELi4EZNS0_22gpu_kernel_impl_nocastIZZZNS0_12_GLOBAL__N_139_amp_non_finite_check_and_unscale_cuda_ERNS_6TensorES5_RKS4_ENKUlvE_clEvENKUlvE0_clEvEUlfE_EEvRNS_18TensorIteratorBaseERKT_EUlibE_EEviT1_
    .private_segment_fixed_size: 0
    .sgpr_count:     62
    .sgpr_spill_count: 0
    .symbol:         _ZN2at6native32elementwise_kernel_manual_unrollILi128ELi4EZNS0_22gpu_kernel_impl_nocastIZZZNS0_12_GLOBAL__N_139_amp_non_finite_check_and_unscale_cuda_ERNS_6TensorES5_RKS4_ENKUlvE_clEvENKUlvE0_clEvEUlfE_EEvRNS_18TensorIteratorBaseERKT_EUlibE_EEviT1_.kd
    .uniform_work_group_size: 1
    .uses_dynamic_stack: false
    .vgpr_count:     18
    .vgpr_spill_count: 0
    .wavefront_size: 32
    .workgroup_processor_mode: 1
  - .args:
      - .offset:         0
        .size:           4
        .value_kind:     by_value
      - .offset:         8
        .size:           48
        .value_kind:     by_value
    .group_segment_fixed_size: 0
    .kernarg_segment_align: 8
    .kernarg_segment_size: 56
    .language:       OpenCL C
    .language_version:
      - 2
      - 0
    .max_flat_workgroup_size: 128
    .name:           _ZN2at6native32elementwise_kernel_manual_unrollILi128ELi4EZNS0_15gpu_kernel_implIZZZNS0_12_GLOBAL__N_139_amp_non_finite_check_and_unscale_cuda_ERNS_6TensorES5_RKS4_ENKUlvE_clEvENKUlvE0_clEvEUlfE_EEvRNS_18TensorIteratorBaseERKT_EUlibE_EEviT1_
    .private_segment_fixed_size: 0
    .sgpr_count:     31
    .sgpr_spill_count: 0
    .symbol:         _ZN2at6native32elementwise_kernel_manual_unrollILi128ELi4EZNS0_15gpu_kernel_implIZZZNS0_12_GLOBAL__N_139_amp_non_finite_check_and_unscale_cuda_ERNS_6TensorES5_RKS4_ENKUlvE_clEvENKUlvE0_clEvEUlfE_EEvRNS_18TensorIteratorBaseERKT_EUlibE_EEviT1_.kd
    .uniform_work_group_size: 1
    .uses_dynamic_stack: false
    .vgpr_count:     16
    .vgpr_spill_count: 0
    .wavefront_size: 32
    .workgroup_processor_mode: 1
  - .args:
      - .offset:         0
        .size:           4
        .value_kind:     by_value
      - .offset:         8
        .size:           368
        .value_kind:     by_value
    .group_segment_fixed_size: 0
    .kernarg_segment_align: 8
    .kernarg_segment_size: 376
    .language:       OpenCL C
    .language_version:
      - 2
      - 0
    .max_flat_workgroup_size: 128
    .name:           _ZN2at6native32elementwise_kernel_manual_unrollILi128ELi4EZNS0_15gpu_kernel_implIZZZNS0_12_GLOBAL__N_139_amp_non_finite_check_and_unscale_cuda_ERNS_6TensorES5_RKS4_ENKUlvE_clEvENKUlvE0_clEvEUlfE_EEvRNS_18TensorIteratorBaseERKT_EUlibE0_EEviT1_
    .private_segment_fixed_size: 0
    .sgpr_count:     74
    .sgpr_spill_count: 0
    .symbol:         _ZN2at6native32elementwise_kernel_manual_unrollILi128ELi4EZNS0_15gpu_kernel_implIZZZNS0_12_GLOBAL__N_139_amp_non_finite_check_and_unscale_cuda_ERNS_6TensorES5_RKS4_ENKUlvE_clEvENKUlvE0_clEvEUlfE_EEvRNS_18TensorIteratorBaseERKT_EUlibE0_EEviT1_.kd
    .uniform_work_group_size: 1
    .uses_dynamic_stack: false
    .vgpr_count:     20
    .vgpr_spill_count: 0
    .wavefront_size: 32
    .workgroup_processor_mode: 1
  - .args:
      - .offset:         0
        .size:           4
        .value_kind:     by_value
      - .offset:         8
        .size:           16
        .value_kind:     by_value
      - .offset:         24
        .size:           16
        .value_kind:     by_value
    .group_segment_fixed_size: 0
    .kernarg_segment_align: 8
    .kernarg_segment_size: 40
    .language:       OpenCL C
    .language_version:
      - 2
      - 0
    .max_flat_workgroup_size: 256
    .name:           _ZN2at6native29vectorized_elementwise_kernelILi16EZZZNS0_12_GLOBAL__N_139_amp_non_finite_check_and_unscale_cuda_ERNS_6TensorES4_RKS3_ENKUlvE_clEvENKUlvE1_clEvEUlN3c104HalfEE_St5arrayIPcLm2EEEEviT0_T1_
    .private_segment_fixed_size: 0
    .sgpr_count:     18
    .sgpr_spill_count: 0
    .symbol:         _ZN2at6native29vectorized_elementwise_kernelILi16EZZZNS0_12_GLOBAL__N_139_amp_non_finite_check_and_unscale_cuda_ERNS_6TensorES4_RKS3_ENKUlvE_clEvENKUlvE1_clEvEUlN3c104HalfEE_St5arrayIPcLm2EEEEviT0_T1_.kd
    .uniform_work_group_size: 1
    .uses_dynamic_stack: false
    .vgpr_count:     27
    .vgpr_spill_count: 0
    .wavefront_size: 32
    .workgroup_processor_mode: 1
  - .args:
      - .offset:         0
        .size:           4
        .value_kind:     by_value
      - .offset:         8
        .size:           16
        .value_kind:     by_value
      - .offset:         24
        .size:           16
        .value_kind:     by_value
    .group_segment_fixed_size: 0
    .kernarg_segment_align: 8
    .kernarg_segment_size: 40
    .language:       OpenCL C
    .language_version:
      - 2
      - 0
    .max_flat_workgroup_size: 256
    .name:           _ZN2at6native29vectorized_elementwise_kernelILi8EZZZNS0_12_GLOBAL__N_139_amp_non_finite_check_and_unscale_cuda_ERNS_6TensorES4_RKS3_ENKUlvE_clEvENKUlvE1_clEvEUlN3c104HalfEE_St5arrayIPcLm2EEEEviT0_T1_
    .private_segment_fixed_size: 0
    .sgpr_count:     18
    .sgpr_spill_count: 0
    .symbol:         _ZN2at6native29vectorized_elementwise_kernelILi8EZZZNS0_12_GLOBAL__N_139_amp_non_finite_check_and_unscale_cuda_ERNS_6TensorES4_RKS3_ENKUlvE_clEvENKUlvE1_clEvEUlN3c104HalfEE_St5arrayIPcLm2EEEEviT0_T1_.kd
    .uniform_work_group_size: 1
    .uses_dynamic_stack: false
    .vgpr_count:     27
    .vgpr_spill_count: 0
    .wavefront_size: 32
    .workgroup_processor_mode: 1
  - .args:
      - .offset:         0
        .size:           4
        .value_kind:     by_value
      - .offset:         8
        .size:           16
        .value_kind:     by_value
      - .offset:         24
        .size:           16
        .value_kind:     by_value
    .group_segment_fixed_size: 0
    .kernarg_segment_align: 8
    .kernarg_segment_size: 40
    .language:       OpenCL C
    .language_version:
      - 2
      - 0
    .max_flat_workgroup_size: 256
    .name:           _ZN2at6native29vectorized_elementwise_kernelILi4EZZZNS0_12_GLOBAL__N_139_amp_non_finite_check_and_unscale_cuda_ERNS_6TensorES4_RKS3_ENKUlvE_clEvENKUlvE1_clEvEUlN3c104HalfEE_St5arrayIPcLm2EEEEviT0_T1_
    .private_segment_fixed_size: 0
    .sgpr_count:     18
    .sgpr_spill_count: 0
    .symbol:         _ZN2at6native29vectorized_elementwise_kernelILi4EZZZNS0_12_GLOBAL__N_139_amp_non_finite_check_and_unscale_cuda_ERNS_6TensorES4_RKS3_ENKUlvE_clEvENKUlvE1_clEvEUlN3c104HalfEE_St5arrayIPcLm2EEEEviT0_T1_.kd
    .uniform_work_group_size: 1
    .uses_dynamic_stack: false
    .vgpr_count:     27
    .vgpr_spill_count: 0
    .wavefront_size: 32
    .workgroup_processor_mode: 1
  - .args:
      - .offset:         0
        .size:           4
        .value_kind:     by_value
      - .offset:         8
        .size:           16
        .value_kind:     by_value
      - .offset:         24
        .size:           16
        .value_kind:     by_value
    .group_segment_fixed_size: 0
    .kernarg_segment_align: 8
    .kernarg_segment_size: 40
    .language:       OpenCL C
    .language_version:
      - 2
      - 0
    .max_flat_workgroup_size: 256
    .name:           _ZN2at6native29vectorized_elementwise_kernelILi2EZZZNS0_12_GLOBAL__N_139_amp_non_finite_check_and_unscale_cuda_ERNS_6TensorES4_RKS3_ENKUlvE_clEvENKUlvE1_clEvEUlN3c104HalfEE_St5arrayIPcLm2EEEEviT0_T1_
    .private_segment_fixed_size: 0
    .sgpr_count:     18
    .sgpr_spill_count: 0
    .symbol:         _ZN2at6native29vectorized_elementwise_kernelILi2EZZZNS0_12_GLOBAL__N_139_amp_non_finite_check_and_unscale_cuda_ERNS_6TensorES4_RKS3_ENKUlvE_clEvENKUlvE1_clEvEUlN3c104HalfEE_St5arrayIPcLm2EEEEviT0_T1_.kd
    .uniform_work_group_size: 1
    .uses_dynamic_stack: false
    .vgpr_count:     27
    .vgpr_spill_count: 0
    .wavefront_size: 32
    .workgroup_processor_mode: 1
  - .args:
      - .offset:         0
        .size:           4
        .value_kind:     by_value
      - .offset:         8
        .size:           16
        .value_kind:     by_value
      - .offset:         24
        .size:           16
        .value_kind:     by_value
      - .offset:         40
        .size:           1
        .value_kind:     by_value
      - .offset:         41
        .size:           1
        .value_kind:     by_value
      - .offset:         42
        .size:           1
        .value_kind:     by_value
      - .offset:         43
        .size:           1
        .value_kind:     by_value
    .group_segment_fixed_size: 0
    .kernarg_segment_align: 8
    .kernarg_segment_size: 44
    .language:       OpenCL C
    .language_version:
      - 2
      - 0
    .max_flat_workgroup_size: 256
    .name:           _ZN2at6native27unrolled_elementwise_kernelIZZZNS0_12_GLOBAL__N_139_amp_non_finite_check_and_unscale_cuda_ERNS_6TensorES4_RKS3_ENKUlvE_clEvENKUlvE1_clEvEUlN3c104HalfEE_St5arrayIPcLm2EELi4E23TrivialOffsetCalculatorILi1EjESG_NS0_6memory15LoadWithoutCastENSH_16StoreWithoutCastEEEviT_T0_T2_T3_T4_T5_
    .private_segment_fixed_size: 0
    .sgpr_count:     18
    .sgpr_spill_count: 0
    .symbol:         _ZN2at6native27unrolled_elementwise_kernelIZZZNS0_12_GLOBAL__N_139_amp_non_finite_check_and_unscale_cuda_ERNS_6TensorES4_RKS3_ENKUlvE_clEvENKUlvE1_clEvEUlN3c104HalfEE_St5arrayIPcLm2EELi4E23TrivialOffsetCalculatorILi1EjESG_NS0_6memory15LoadWithoutCastENSH_16StoreWithoutCastEEEviT_T0_T2_T3_T4_T5_.kd
    .uniform_work_group_size: 1
    .uses_dynamic_stack: false
    .vgpr_count:     10
    .vgpr_spill_count: 0
    .wavefront_size: 32
    .workgroup_processor_mode: 1
  - .args:
      - .offset:         0
        .size:           4
        .value_kind:     by_value
      - .offset:         8
        .size:           360
        .value_kind:     by_value
    .group_segment_fixed_size: 0
    .kernarg_segment_align: 8
    .kernarg_segment_size: 368
    .language:       OpenCL C
    .language_version:
      - 2
      - 0
    .max_flat_workgroup_size: 128
    .name:           _ZN2at6native32elementwise_kernel_manual_unrollILi128ELi8EZNS0_22gpu_kernel_impl_nocastIZZZNS0_12_GLOBAL__N_139_amp_non_finite_check_and_unscale_cuda_ERNS_6TensorES5_RKS4_ENKUlvE_clEvENKUlvE1_clEvEUlN3c104HalfEE_EEvRNS_18TensorIteratorBaseERKT_EUlibE_EEviT1_
    .private_segment_fixed_size: 0
    .sgpr_count:     62
    .sgpr_spill_count: 0
    .symbol:         _ZN2at6native32elementwise_kernel_manual_unrollILi128ELi8EZNS0_22gpu_kernel_impl_nocastIZZZNS0_12_GLOBAL__N_139_amp_non_finite_check_and_unscale_cuda_ERNS_6TensorES5_RKS4_ENKUlvE_clEvENKUlvE1_clEvEUlN3c104HalfEE_EEvRNS_18TensorIteratorBaseERKT_EUlibE_EEviT1_.kd
    .uniform_work_group_size: 1
    .uses_dynamic_stack: false
    .vgpr_count:     33
    .vgpr_spill_count: 0
    .wavefront_size: 32
    .workgroup_processor_mode: 1
  - .args:
      - .offset:         0
        .size:           4
        .value_kind:     by_value
      - .offset:         8
        .size:           48
        .value_kind:     by_value
    .group_segment_fixed_size: 0
    .kernarg_segment_align: 8
    .kernarg_segment_size: 56
    .language:       OpenCL C
    .language_version:
      - 2
      - 0
    .max_flat_workgroup_size: 128
    .name:           _ZN2at6native32elementwise_kernel_manual_unrollILi128ELi4EZNS0_15gpu_kernel_implIZZZNS0_12_GLOBAL__N_139_amp_non_finite_check_and_unscale_cuda_ERNS_6TensorES5_RKS4_ENKUlvE_clEvENKUlvE1_clEvEUlN3c104HalfEE_EEvRNS_18TensorIteratorBaseERKT_EUlibE_EEviT1_
    .private_segment_fixed_size: 0
    .sgpr_count:     31
    .sgpr_spill_count: 0
    .symbol:         _ZN2at6native32elementwise_kernel_manual_unrollILi128ELi4EZNS0_15gpu_kernel_implIZZZNS0_12_GLOBAL__N_139_amp_non_finite_check_and_unscale_cuda_ERNS_6TensorES5_RKS4_ENKUlvE_clEvENKUlvE1_clEvEUlN3c104HalfEE_EEvRNS_18TensorIteratorBaseERKT_EUlibE_EEviT1_.kd
    .uniform_work_group_size: 1
    .uses_dynamic_stack: false
    .vgpr_count:     19
    .vgpr_spill_count: 0
    .wavefront_size: 32
    .workgroup_processor_mode: 1
  - .args:
      - .offset:         0
        .size:           4
        .value_kind:     by_value
      - .offset:         8
        .size:           368
        .value_kind:     by_value
    .group_segment_fixed_size: 0
    .kernarg_segment_align: 8
    .kernarg_segment_size: 376
    .language:       OpenCL C
    .language_version:
      - 2
      - 0
    .max_flat_workgroup_size: 128
    .name:           _ZN2at6native32elementwise_kernel_manual_unrollILi128ELi4EZNS0_15gpu_kernel_implIZZZNS0_12_GLOBAL__N_139_amp_non_finite_check_and_unscale_cuda_ERNS_6TensorES5_RKS4_ENKUlvE_clEvENKUlvE1_clEvEUlN3c104HalfEE_EEvRNS_18TensorIteratorBaseERKT_EUlibE0_EEviT1_
    .private_segment_fixed_size: 0
    .sgpr_count:     74
    .sgpr_spill_count: 0
    .symbol:         _ZN2at6native32elementwise_kernel_manual_unrollILi128ELi4EZNS0_15gpu_kernel_implIZZZNS0_12_GLOBAL__N_139_amp_non_finite_check_and_unscale_cuda_ERNS_6TensorES5_RKS4_ENKUlvE_clEvENKUlvE1_clEvEUlN3c104HalfEE_EEvRNS_18TensorIteratorBaseERKT_EUlibE0_EEviT1_.kd
    .uniform_work_group_size: 1
    .uses_dynamic_stack: false
    .vgpr_count:     21
    .vgpr_spill_count: 0
    .wavefront_size: 32
    .workgroup_processor_mode: 1
  - .args:
      - .offset:         0
        .size:           3368
        .value_kind:     by_value
      - .offset:         3368
        .size:           1
        .value_kind:     by_value
      - .offset:         3376
        .size:           16
        .value_kind:     by_value
      - .offset:         3392
        .size:           4
        .value_kind:     hidden_block_count_x
      - .offset:         3396
        .size:           4
        .value_kind:     hidden_block_count_y
      - .offset:         3400
        .size:           4
        .value_kind:     hidden_block_count_z
      - .offset:         3404
        .size:           2
        .value_kind:     hidden_group_size_x
      - .offset:         3406
        .size:           2
        .value_kind:     hidden_group_size_y
      - .offset:         3408
        .size:           2
        .value_kind:     hidden_group_size_z
      - .offset:         3410
        .size:           2
        .value_kind:     hidden_remainder_x
      - .offset:         3412
        .size:           2
        .value_kind:     hidden_remainder_y
      - .offset:         3414
        .size:           2
        .value_kind:     hidden_remainder_z
      - .offset:         3432
        .size:           8
        .value_kind:     hidden_global_offset_x
      - .offset:         3440
        .size:           8
        .value_kind:     hidden_global_offset_y
      - .offset:         3448
        .size:           8
        .value_kind:     hidden_global_offset_z
      - .offset:         3456
        .size:           2
        .value_kind:     hidden_grid_dims
    .group_segment_fixed_size: 0
    .kernarg_segment_align: 8
    .kernarg_segment_size: 3648
    .language:       OpenCL C
    .language_version:
      - 2
      - 0
    .max_flat_workgroup_size: 512
    .name:           _ZN2at6native12_GLOBAL__N_125multi_tensor_apply_kernelINS1_18TensorListMetadataILi1EEENS1_14UnaryOpFunctorIdLi1ELi1ELi0EEEJZZZNS0_47_amp_foreach_non_finite_check_and_unscale_cuda_EN3c108ArrayRefINS_6TensorEEERS9_RKS9_ENKUlvE_clEvENKUlvE_clEvEUldE_EEEvT_T0_DpT1_
    .private_segment_fixed_size: 0
    .sgpr_count:     27
    .sgpr_spill_count: 0
    .symbol:         _ZN2at6native12_GLOBAL__N_125multi_tensor_apply_kernelINS1_18TensorListMetadataILi1EEENS1_14UnaryOpFunctorIdLi1ELi1ELi0EEEJZZZNS0_47_amp_foreach_non_finite_check_and_unscale_cuda_EN3c108ArrayRefINS_6TensorEEERS9_RKS9_ENKUlvE_clEvENKUlvE_clEvEUldE_EEEvT_T0_DpT1_.kd
    .uniform_work_group_size: 1
    .uses_dynamic_stack: false
    .vgpr_count:     33
    .vgpr_spill_count: 0
    .wavefront_size: 32
    .workgroup_processor_mode: 1
  - .args:
      - .offset:         0
        .size:           3368
        .value_kind:     by_value
      - .offset:         3368
        .size:           1
        .value_kind:     by_value
      - .offset:         3376
        .size:           16
        .value_kind:     by_value
      - .offset:         3392
        .size:           4
        .value_kind:     hidden_block_count_x
      - .offset:         3396
        .size:           4
        .value_kind:     hidden_block_count_y
      - .offset:         3400
        .size:           4
        .value_kind:     hidden_block_count_z
      - .offset:         3404
        .size:           2
        .value_kind:     hidden_group_size_x
      - .offset:         3406
        .size:           2
        .value_kind:     hidden_group_size_y
      - .offset:         3408
        .size:           2
        .value_kind:     hidden_group_size_z
      - .offset:         3410
        .size:           2
        .value_kind:     hidden_remainder_x
      - .offset:         3412
        .size:           2
        .value_kind:     hidden_remainder_y
      - .offset:         3414
        .size:           2
        .value_kind:     hidden_remainder_z
      - .offset:         3432
        .size:           8
        .value_kind:     hidden_global_offset_x
      - .offset:         3440
        .size:           8
        .value_kind:     hidden_global_offset_y
      - .offset:         3448
        .size:           8
        .value_kind:     hidden_global_offset_z
      - .offset:         3456
        .size:           2
        .value_kind:     hidden_grid_dims
    .group_segment_fixed_size: 0
    .kernarg_segment_align: 8
    .kernarg_segment_size: 3648
    .language:       OpenCL C
    .language_version:
      - 2
      - 0
    .max_flat_workgroup_size: 512
    .name:           _ZN2at6native12_GLOBAL__N_125multi_tensor_apply_kernelINS1_18TensorListMetadataILi1EEENS1_14UnaryOpFunctorIfLi1ELi1ELi0EEEJZZZNS0_47_amp_foreach_non_finite_check_and_unscale_cuda_EN3c108ArrayRefINS_6TensorEEERS9_RKS9_ENKUlvE_clEvENKUlvE0_clEvEUlfE_EEEvT_T0_DpT1_
    .private_segment_fixed_size: 0
    .sgpr_count:     27
    .sgpr_spill_count: 0
    .symbol:         _ZN2at6native12_GLOBAL__N_125multi_tensor_apply_kernelINS1_18TensorListMetadataILi1EEENS1_14UnaryOpFunctorIfLi1ELi1ELi0EEEJZZZNS0_47_amp_foreach_non_finite_check_and_unscale_cuda_EN3c108ArrayRefINS_6TensorEEERS9_RKS9_ENKUlvE_clEvENKUlvE0_clEvEUlfE_EEEvT_T0_DpT1_.kd
    .uniform_work_group_size: 1
    .uses_dynamic_stack: false
    .vgpr_count:     22
    .vgpr_spill_count: 0
    .wavefront_size: 32
    .workgroup_processor_mode: 1
  - .args:
      - .offset:         0
        .size:           3368
        .value_kind:     by_value
      - .offset:         3368
        .size:           1
        .value_kind:     by_value
      - .offset:         3376
        .size:           16
        .value_kind:     by_value
      - .offset:         3392
        .size:           4
        .value_kind:     hidden_block_count_x
      - .offset:         3396
        .size:           4
        .value_kind:     hidden_block_count_y
      - .offset:         3400
        .size:           4
        .value_kind:     hidden_block_count_z
      - .offset:         3404
        .size:           2
        .value_kind:     hidden_group_size_x
      - .offset:         3406
        .size:           2
        .value_kind:     hidden_group_size_y
      - .offset:         3408
        .size:           2
        .value_kind:     hidden_group_size_z
      - .offset:         3410
        .size:           2
        .value_kind:     hidden_remainder_x
      - .offset:         3412
        .size:           2
        .value_kind:     hidden_remainder_y
      - .offset:         3414
        .size:           2
        .value_kind:     hidden_remainder_z
      - .offset:         3432
        .size:           8
        .value_kind:     hidden_global_offset_x
      - .offset:         3440
        .size:           8
        .value_kind:     hidden_global_offset_y
      - .offset:         3448
        .size:           8
        .value_kind:     hidden_global_offset_z
      - .offset:         3456
        .size:           2
        .value_kind:     hidden_grid_dims
    .group_segment_fixed_size: 0
    .kernarg_segment_align: 8
    .kernarg_segment_size: 3648
    .language:       OpenCL C
    .language_version:
      - 2
      - 0
    .max_flat_workgroup_size: 512
    .name:           _ZN2at6native12_GLOBAL__N_125multi_tensor_apply_kernelINS1_18TensorListMetadataILi1EEENS1_14UnaryOpFunctorIN3c104HalfELi1ELi1ELi0EEEJZZZNS0_47_amp_foreach_non_finite_check_and_unscale_cuda_ENS6_8ArrayRefINS_6TensorEEERSA_RKSA_ENKUlvE_clEvENKUlvE1_clEvEUlfE_EEEvT_T0_DpT1_
    .private_segment_fixed_size: 0
    .sgpr_count:     26
    .sgpr_spill_count: 0
    .symbol:         _ZN2at6native12_GLOBAL__N_125multi_tensor_apply_kernelINS1_18TensorListMetadataILi1EEENS1_14UnaryOpFunctorIN3c104HalfELi1ELi1ELi0EEEJZZZNS0_47_amp_foreach_non_finite_check_and_unscale_cuda_ENS6_8ArrayRefINS_6TensorEEERSA_RKSA_ENKUlvE_clEvENKUlvE1_clEvEUlfE_EEEvT_T0_DpT1_.kd
    .uniform_work_group_size: 1
    .uses_dynamic_stack: false
    .vgpr_count:     25
    .vgpr_spill_count: 0
    .wavefront_size: 32
    .workgroup_processor_mode: 1
amdhsa.target:   amdgcn-amd-amdhsa--gfx1100
amdhsa.version:
  - 1
  - 2
...

	.end_amdgpu_metadata
